;; amdgpu-corpus repo=ROCm/rccl kind=compiled arch=gfx90a opt=O3
	.text
	.amdgcn_target "amdgcn-amd-amdhsa--gfx90a"
	.amdhsa_code_object_version 6
	.p2align	2                               ; -- Begin function __ockl_fprintf_append_string_n
	.type	__ockl_fprintf_append_string_n,@function
__ockl_fprintf_append_string_n:         ; @__ockl_fprintf_append_string_n
; %bb.0:
	s_waitcnt vmcnt(0) expcnt(0) lgkmcnt(0)
	v_mov_b32_e32 v9, v3
	v_mov_b32_e32 v8, v2
	v_or_b32_e32 v2, 2, v0
	v_cmp_eq_u32_e32 vcc, 0, v6
	s_mov_b32 s22, 0
	v_cndmask_b32_e32 v0, v2, v0, vcc
	s_mov_b64 s[6:7], 0
	v_cmp_ne_u64_e32 vcc, 0, v[8:9]
	v_mbcnt_lo_u32_b32 v2, -1, 0
	s_and_saveexec_b64 s[4:5], vcc
	s_xor_b64 s[10:11], exec, s[4:5]
	s_cbranch_execz .LBB0_86
; %bb.1:
	s_load_dwordx2 s[12:13], s[8:9], 0x50
	v_and_b32_e32 v6, 2, v0
	v_mov_b32_e32 v31, 0
	v_and_b32_e32 v0, -3, v0
	v_mbcnt_hi_u32_b32 v32, -1, v2
	s_movk_i32 s23, 0xff1f
	v_mov_b32_e32 v12, 2
	v_mov_b32_e32 v13, 1
	s_branch .LBB0_3
.LBB0_2:                                ;   in Loop: Header=BB0_3 Depth=1
	s_or_b64 exec, exec, s[16:17]
	v_sub_co_u32_e32 v4, vcc, v4, v34
	v_subb_co_u32_e32 v5, vcc, v5, v35, vcc
	v_cmp_eq_u64_e32 vcc, 0, v[4:5]
	s_or_b64 s[6:7], vcc, s[6:7]
	v_add_co_u32_e32 v8, vcc, v8, v34
	v_addc_co_u32_e32 v9, vcc, v9, v35, vcc
	s_andn2_b64 exec, exec, s[6:7]
	s_cbranch_execz .LBB0_85
.LBB0_3:                                ; =>This Loop Header: Depth=1
                                        ;     Child Loop BB0_6 Depth 2
                                        ;     Child Loop BB0_14 Depth 2
	;; [unrolled: 1-line block ×11, first 2 shown]
	v_cmp_gt_u64_e32 vcc, 56, v[4:5]
	v_cndmask_b32_e32 v35, 0, v5, vcc
	v_cndmask_b32_e32 v34, 56, v4, vcc
	v_cmp_gt_u64_e32 vcc, 8, v[4:5]
                                        ; implicit-def: $vgpr2_vgpr3
                                        ; implicit-def: $sgpr14
	s_and_saveexec_b64 s[4:5], vcc
	s_xor_b64 s[4:5], exec, s[4:5]
	s_cbranch_execz .LBB0_9
; %bb.4:                                ;   in Loop: Header=BB0_3 Depth=1
	s_mov_b64 s[16:17], 0
	v_cmp_ne_u64_e32 vcc, 0, v[4:5]
	s_waitcnt vmcnt(0)
	v_pk_mov_b32 v[2:3], 0, 0
	s_and_saveexec_b64 s[14:15], vcc
	s_cbranch_execz .LBB0_8
; %bb.5:                                ;   in Loop: Header=BB0_3 Depth=1
	v_lshlrev_b64 v[10:11], 3, v[34:35]
	v_pk_mov_b32 v[2:3], 0, 0
	v_pk_mov_b32 v[14:15], v[8:9], v[8:9] op_sel:[0,1]
	s_mov_b64 s[18:19], 0
.LBB0_6:                                ;   Parent Loop BB0_3 Depth=1
                                        ; =>  This Inner Loop Header: Depth=2
	flat_load_ubyte v7, v[14:15]
	v_mov_b32_e32 v17, s22
	v_add_co_u32_e32 v14, vcc, 1, v14
	v_addc_co_u32_e32 v15, vcc, 0, v15, vcc
	s_waitcnt vmcnt(0) lgkmcnt(0)
	v_and_b32_e32 v16, 0xffff, v7
	v_lshlrev_b64 v[16:17], s18, v[16:17]
	s_add_u32 s18, s18, 8
	s_addc_u32 s19, s19, 0
	v_cmp_eq_u32_e32 vcc, s18, v10
	v_or_b32_e32 v3, v17, v3
	s_or_b64 s[16:17], vcc, s[16:17]
	v_or_b32_e32 v2, v16, v2
	s_andn2_b64 exec, exec, s[16:17]
	s_cbranch_execnz .LBB0_6
; %bb.7:                                ;   in Loop: Header=BB0_3 Depth=1
	s_or_b64 exec, exec, s[16:17]
.LBB0_8:                                ;   in Loop: Header=BB0_3 Depth=1
	s_or_b64 exec, exec, s[14:15]
	s_mov_b32 s14, 0
.LBB0_9:                                ;   in Loop: Header=BB0_3 Depth=1
	s_or_saveexec_b64 s[4:5], s[4:5]
	v_mov_b32_e32 v7, s14
	v_pk_mov_b32 v[10:11], v[8:9], v[8:9] op_sel:[0,1]
	s_xor_b64 exec, exec, s[4:5]
	s_cbranch_execz .LBB0_11
; %bb.10:                               ;   in Loop: Header=BB0_3 Depth=1
	s_waitcnt vmcnt(0)
	flat_load_dwordx2 v[2:3], v[8:9]
	v_add_u32_e32 v7, -8, v34
	s_waitcnt vmcnt(0) lgkmcnt(0)
	v_and_b32_e32 v10, 0xff, v3
	v_and_b32_e32 v11, 0xff00, v3
	;; [unrolled: 1-line block ×4, first 2 shown]
	v_or_b32_e32 v10, v10, v11
	v_or3_b32 v3, v10, v14, v3
	v_add_co_u32_e32 v10, vcc, 8, v8
	v_or3_b32 v2, v2, 0, 0
	v_addc_co_u32_e32 v11, vcc, 0, v9, vcc
.LBB0_11:                               ;   in Loop: Header=BB0_3 Depth=1
	s_or_b64 exec, exec, s[4:5]
	v_cmp_gt_u32_e32 vcc, 8, v7
                                        ; implicit-def: $vgpr14_vgpr15
                                        ; implicit-def: $sgpr14
	s_and_saveexec_b64 s[4:5], vcc
	s_xor_b64 s[4:5], exec, s[4:5]
	s_cbranch_execz .LBB0_17
; %bb.12:                               ;   in Loop: Header=BB0_3 Depth=1
	v_cmp_ne_u32_e32 vcc, 0, v7
	v_pk_mov_b32 v[14:15], 0, 0
	s_and_saveexec_b64 s[14:15], vcc
	s_cbranch_execz .LBB0_16
; %bb.13:                               ;   in Loop: Header=BB0_3 Depth=1
	s_mov_b64 s[16:17], 0
	v_pk_mov_b32 v[14:15], 0, 0
	s_mov_b64 s[18:19], 0
	s_mov_b64 s[20:21], 0
.LBB0_14:                               ;   Parent Loop BB0_3 Depth=1
                                        ; =>  This Inner Loop Header: Depth=2
	v_mov_b32_e32 v17, s21
	v_add_co_u32_e32 v16, vcc, s20, v10
	v_addc_co_u32_e32 v17, vcc, v11, v17, vcc
	flat_load_ubyte v16, v[16:17]
	s_add_u32 s20, s20, 1
	v_mov_b32_e32 v17, s22
	s_addc_u32 s21, s21, 0
	v_cmp_eq_u32_e32 vcc, s20, v7
	s_waitcnt vmcnt(0) lgkmcnt(0)
	v_and_b32_e32 v16, 0xffff, v16
	v_lshlrev_b64 v[16:17], s18, v[16:17]
	s_add_u32 s18, s18, 8
	s_addc_u32 s19, s19, 0
	v_or_b32_e32 v15, v17, v15
	s_or_b64 s[16:17], vcc, s[16:17]
	v_or_b32_e32 v14, v16, v14
	s_andn2_b64 exec, exec, s[16:17]
	s_cbranch_execnz .LBB0_14
; %bb.15:                               ;   in Loop: Header=BB0_3 Depth=1
	s_or_b64 exec, exec, s[16:17]
.LBB0_16:                               ;   in Loop: Header=BB0_3 Depth=1
	s_or_b64 exec, exec, s[14:15]
	s_mov_b32 s14, 0
                                        ; implicit-def: $vgpr7
.LBB0_17:                               ;   in Loop: Header=BB0_3 Depth=1
	s_or_saveexec_b64 s[4:5], s[4:5]
	v_mov_b32_e32 v18, s14
	s_xor_b64 exec, exec, s[4:5]
	s_cbranch_execz .LBB0_19
; %bb.18:                               ;   in Loop: Header=BB0_3 Depth=1
	flat_load_dwordx2 v[14:15], v[10:11]
	v_add_u32_e32 v18, -8, v7
	v_add_co_u32_e32 v10, vcc, 8, v10
	v_addc_co_u32_e32 v11, vcc, 0, v11, vcc
	s_waitcnt vmcnt(0) lgkmcnt(0)
	v_and_b32_e32 v7, 0xff, v15
	v_and_b32_e32 v16, 0xff00, v15
	;; [unrolled: 1-line block ×4, first 2 shown]
	v_or_b32_e32 v7, v7, v16
	v_or3_b32 v14, v14, 0, 0
	v_or3_b32 v15, v7, v17, v15
.LBB0_19:                               ;   in Loop: Header=BB0_3 Depth=1
	s_or_b64 exec, exec, s[4:5]
	v_cmp_gt_u32_e32 vcc, 8, v18
                                        ; implicit-def: $sgpr14
	s_and_saveexec_b64 s[4:5], vcc
	s_xor_b64 s[4:5], exec, s[4:5]
	s_cbranch_execz .LBB0_25
; %bb.20:                               ;   in Loop: Header=BB0_3 Depth=1
	v_cmp_ne_u32_e32 vcc, 0, v18
	v_pk_mov_b32 v[16:17], 0, 0
	s_and_saveexec_b64 s[14:15], vcc
	s_cbranch_execz .LBB0_24
; %bb.21:                               ;   in Loop: Header=BB0_3 Depth=1
	s_mov_b64 s[16:17], 0
	v_pk_mov_b32 v[16:17], 0, 0
	s_mov_b64 s[18:19], 0
	s_mov_b64 s[20:21], 0
.LBB0_22:                               ;   Parent Loop BB0_3 Depth=1
                                        ; =>  This Inner Loop Header: Depth=2
	v_mov_b32_e32 v7, s21
	v_add_co_u32_e32 v20, vcc, s20, v10
	v_addc_co_u32_e32 v21, vcc, v11, v7, vcc
	flat_load_ubyte v7, v[20:21]
	s_add_u32 s20, s20, 1
	v_mov_b32_e32 v21, s22
	s_addc_u32 s21, s21, 0
	v_cmp_eq_u32_e32 vcc, s20, v18
	s_waitcnt vmcnt(0) lgkmcnt(0)
	v_and_b32_e32 v20, 0xffff, v7
	v_lshlrev_b64 v[20:21], s18, v[20:21]
	s_add_u32 s18, s18, 8
	s_addc_u32 s19, s19, 0
	v_or_b32_e32 v17, v21, v17
	s_or_b64 s[16:17], vcc, s[16:17]
	v_or_b32_e32 v16, v20, v16
	s_andn2_b64 exec, exec, s[16:17]
	s_cbranch_execnz .LBB0_22
; %bb.23:                               ;   in Loop: Header=BB0_3 Depth=1
	s_or_b64 exec, exec, s[16:17]
.LBB0_24:                               ;   in Loop: Header=BB0_3 Depth=1
	s_or_b64 exec, exec, s[14:15]
	s_mov_b32 s14, 0
                                        ; implicit-def: $vgpr18
.LBB0_25:                               ;   in Loop: Header=BB0_3 Depth=1
	s_or_saveexec_b64 s[4:5], s[4:5]
	v_mov_b32_e32 v7, s14
	s_xor_b64 exec, exec, s[4:5]
	s_cbranch_execz .LBB0_27
; %bb.26:                               ;   in Loop: Header=BB0_3 Depth=1
	flat_load_dwordx2 v[16:17], v[10:11]
	v_add_u32_e32 v7, -8, v18
	v_add_co_u32_e32 v10, vcc, 8, v10
	v_addc_co_u32_e32 v11, vcc, 0, v11, vcc
	s_waitcnt vmcnt(0) lgkmcnt(0)
	v_and_b32_e32 v18, 0xff, v17
	v_and_b32_e32 v19, 0xff00, v17
	;; [unrolled: 1-line block ×4, first 2 shown]
	v_or_b32_e32 v18, v18, v19
	v_or3_b32 v16, v16, 0, 0
	v_or3_b32 v17, v18, v20, v17
.LBB0_27:                               ;   in Loop: Header=BB0_3 Depth=1
	s_or_b64 exec, exec, s[4:5]
	v_cmp_gt_u32_e32 vcc, 8, v7
                                        ; implicit-def: $vgpr18_vgpr19
                                        ; implicit-def: $sgpr14
	s_and_saveexec_b64 s[4:5], vcc
	s_xor_b64 s[4:5], exec, s[4:5]
	s_cbranch_execz .LBB0_33
; %bb.28:                               ;   in Loop: Header=BB0_3 Depth=1
	v_cmp_ne_u32_e32 vcc, 0, v7
	v_pk_mov_b32 v[18:19], 0, 0
	s_and_saveexec_b64 s[14:15], vcc
	s_cbranch_execz .LBB0_32
; %bb.29:                               ;   in Loop: Header=BB0_3 Depth=1
	s_mov_b64 s[16:17], 0
	v_pk_mov_b32 v[18:19], 0, 0
	s_mov_b64 s[18:19], 0
	s_mov_b64 s[20:21], 0
.LBB0_30:                               ;   Parent Loop BB0_3 Depth=1
                                        ; =>  This Inner Loop Header: Depth=2
	v_mov_b32_e32 v21, s21
	v_add_co_u32_e32 v20, vcc, s20, v10
	v_addc_co_u32_e32 v21, vcc, v11, v21, vcc
	flat_load_ubyte v20, v[20:21]
	s_add_u32 s20, s20, 1
	v_mov_b32_e32 v21, s22
	s_addc_u32 s21, s21, 0
	v_cmp_eq_u32_e32 vcc, s20, v7
	s_waitcnt vmcnt(0) lgkmcnt(0)
	v_and_b32_e32 v20, 0xffff, v20
	v_lshlrev_b64 v[20:21], s18, v[20:21]
	s_add_u32 s18, s18, 8
	s_addc_u32 s19, s19, 0
	v_or_b32_e32 v19, v21, v19
	s_or_b64 s[16:17], vcc, s[16:17]
	v_or_b32_e32 v18, v20, v18
	s_andn2_b64 exec, exec, s[16:17]
	s_cbranch_execnz .LBB0_30
; %bb.31:                               ;   in Loop: Header=BB0_3 Depth=1
	s_or_b64 exec, exec, s[16:17]
.LBB0_32:                               ;   in Loop: Header=BB0_3 Depth=1
	s_or_b64 exec, exec, s[14:15]
	s_mov_b32 s14, 0
                                        ; implicit-def: $vgpr7
.LBB0_33:                               ;   in Loop: Header=BB0_3 Depth=1
	s_or_saveexec_b64 s[4:5], s[4:5]
	v_mov_b32_e32 v22, s14
	s_xor_b64 exec, exec, s[4:5]
	s_cbranch_execz .LBB0_35
; %bb.34:                               ;   in Loop: Header=BB0_3 Depth=1
	flat_load_dwordx2 v[18:19], v[10:11]
	v_add_u32_e32 v22, -8, v7
	v_add_co_u32_e32 v10, vcc, 8, v10
	v_addc_co_u32_e32 v11, vcc, 0, v11, vcc
	s_waitcnt vmcnt(0) lgkmcnt(0)
	v_and_b32_e32 v7, 0xff, v19
	v_and_b32_e32 v20, 0xff00, v19
	;; [unrolled: 1-line block ×4, first 2 shown]
	v_or_b32_e32 v7, v7, v20
	v_or3_b32 v18, v18, 0, 0
	v_or3_b32 v19, v7, v21, v19
.LBB0_35:                               ;   in Loop: Header=BB0_3 Depth=1
	s_or_b64 exec, exec, s[4:5]
	v_cmp_gt_u32_e32 vcc, 8, v22
                                        ; implicit-def: $sgpr14
	s_and_saveexec_b64 s[4:5], vcc
	s_xor_b64 s[4:5], exec, s[4:5]
	s_cbranch_execz .LBB0_41
; %bb.36:                               ;   in Loop: Header=BB0_3 Depth=1
	v_cmp_ne_u32_e32 vcc, 0, v22
	v_pk_mov_b32 v[20:21], 0, 0
	s_and_saveexec_b64 s[14:15], vcc
	s_cbranch_execz .LBB0_40
; %bb.37:                               ;   in Loop: Header=BB0_3 Depth=1
	s_mov_b64 s[16:17], 0
	v_pk_mov_b32 v[20:21], 0, 0
	s_mov_b64 s[18:19], 0
	s_mov_b64 s[20:21], 0
.LBB0_38:                               ;   Parent Loop BB0_3 Depth=1
                                        ; =>  This Inner Loop Header: Depth=2
	v_mov_b32_e32 v7, s21
	v_add_co_u32_e32 v24, vcc, s20, v10
	v_addc_co_u32_e32 v25, vcc, v11, v7, vcc
	flat_load_ubyte v7, v[24:25]
	s_add_u32 s20, s20, 1
	v_mov_b32_e32 v25, s22
	s_addc_u32 s21, s21, 0
	v_cmp_eq_u32_e32 vcc, s20, v22
	s_waitcnt vmcnt(0) lgkmcnt(0)
	v_and_b32_e32 v24, 0xffff, v7
	v_lshlrev_b64 v[24:25], s18, v[24:25]
	s_add_u32 s18, s18, 8
	s_addc_u32 s19, s19, 0
	v_or_b32_e32 v21, v25, v21
	s_or_b64 s[16:17], vcc, s[16:17]
	v_or_b32_e32 v20, v24, v20
	s_andn2_b64 exec, exec, s[16:17]
	s_cbranch_execnz .LBB0_38
; %bb.39:                               ;   in Loop: Header=BB0_3 Depth=1
	s_or_b64 exec, exec, s[16:17]
.LBB0_40:                               ;   in Loop: Header=BB0_3 Depth=1
	s_or_b64 exec, exec, s[14:15]
	s_mov_b32 s14, 0
                                        ; implicit-def: $vgpr22
.LBB0_41:                               ;   in Loop: Header=BB0_3 Depth=1
	s_or_saveexec_b64 s[4:5], s[4:5]
	v_mov_b32_e32 v7, s14
	s_xor_b64 exec, exec, s[4:5]
	s_cbranch_execz .LBB0_43
; %bb.42:                               ;   in Loop: Header=BB0_3 Depth=1
	flat_load_dwordx2 v[20:21], v[10:11]
	v_add_u32_e32 v7, -8, v22
	v_add_co_u32_e32 v10, vcc, 8, v10
	v_addc_co_u32_e32 v11, vcc, 0, v11, vcc
	s_waitcnt vmcnt(0) lgkmcnt(0)
	v_and_b32_e32 v22, 0xff, v21
	v_and_b32_e32 v23, 0xff00, v21
	;; [unrolled: 1-line block ×4, first 2 shown]
	v_or_b32_e32 v22, v22, v23
	v_or3_b32 v20, v20, 0, 0
	v_or3_b32 v21, v22, v24, v21
.LBB0_43:                               ;   in Loop: Header=BB0_3 Depth=1
	s_or_b64 exec, exec, s[4:5]
	v_cmp_gt_u32_e32 vcc, 8, v7
                                        ; implicit-def: $vgpr22_vgpr23
                                        ; implicit-def: $sgpr14
	s_and_saveexec_b64 s[4:5], vcc
	s_xor_b64 s[4:5], exec, s[4:5]
	s_cbranch_execz .LBB0_49
; %bb.44:                               ;   in Loop: Header=BB0_3 Depth=1
	v_cmp_ne_u32_e32 vcc, 0, v7
	v_pk_mov_b32 v[22:23], 0, 0
	s_and_saveexec_b64 s[14:15], vcc
	s_cbranch_execz .LBB0_48
; %bb.45:                               ;   in Loop: Header=BB0_3 Depth=1
	s_mov_b64 s[16:17], 0
	v_pk_mov_b32 v[22:23], 0, 0
	s_mov_b64 s[18:19], 0
	s_mov_b64 s[20:21], 0
.LBB0_46:                               ;   Parent Loop BB0_3 Depth=1
                                        ; =>  This Inner Loop Header: Depth=2
	v_mov_b32_e32 v25, s21
	v_add_co_u32_e32 v24, vcc, s20, v10
	v_addc_co_u32_e32 v25, vcc, v11, v25, vcc
	flat_load_ubyte v24, v[24:25]
	s_add_u32 s20, s20, 1
	v_mov_b32_e32 v25, s22
	s_addc_u32 s21, s21, 0
	v_cmp_eq_u32_e32 vcc, s20, v7
	s_waitcnt vmcnt(0) lgkmcnt(0)
	v_and_b32_e32 v24, 0xffff, v24
	v_lshlrev_b64 v[24:25], s18, v[24:25]
	s_add_u32 s18, s18, 8
	s_addc_u32 s19, s19, 0
	v_or_b32_e32 v23, v25, v23
	s_or_b64 s[16:17], vcc, s[16:17]
	v_or_b32_e32 v22, v24, v22
	s_andn2_b64 exec, exec, s[16:17]
	s_cbranch_execnz .LBB0_46
; %bb.47:                               ;   in Loop: Header=BB0_3 Depth=1
	s_or_b64 exec, exec, s[16:17]
.LBB0_48:                               ;   in Loop: Header=BB0_3 Depth=1
	s_or_b64 exec, exec, s[14:15]
	s_mov_b32 s14, 0
                                        ; implicit-def: $vgpr7
.LBB0_49:                               ;   in Loop: Header=BB0_3 Depth=1
	s_or_saveexec_b64 s[4:5], s[4:5]
	v_mov_b32_e32 v26, s14
	s_xor_b64 exec, exec, s[4:5]
	s_cbranch_execz .LBB0_51
; %bb.50:                               ;   in Loop: Header=BB0_3 Depth=1
	flat_load_dwordx2 v[22:23], v[10:11]
	v_add_u32_e32 v26, -8, v7
	v_add_co_u32_e32 v10, vcc, 8, v10
	v_addc_co_u32_e32 v11, vcc, 0, v11, vcc
	s_waitcnt vmcnt(0) lgkmcnt(0)
	v_and_b32_e32 v7, 0xff, v23
	v_and_b32_e32 v24, 0xff00, v23
	v_and_b32_e32 v25, 0xff0000, v23
	v_and_b32_e32 v23, 0xff000000, v23
	v_or_b32_e32 v7, v7, v24
	v_or3_b32 v22, v22, 0, 0
	v_or3_b32 v23, v7, v25, v23
.LBB0_51:                               ;   in Loop: Header=BB0_3 Depth=1
	s_or_b64 exec, exec, s[4:5]
	v_cmp_gt_u32_e32 vcc, 8, v26
	s_and_saveexec_b64 s[4:5], vcc
	s_xor_b64 s[4:5], exec, s[4:5]
	s_cbranch_execz .LBB0_57
; %bb.52:                               ;   in Loop: Header=BB0_3 Depth=1
	v_cmp_ne_u32_e32 vcc, 0, v26
	v_pk_mov_b32 v[24:25], 0, 0
	s_and_saveexec_b64 s[14:15], vcc
	s_cbranch_execz .LBB0_56
; %bb.53:                               ;   in Loop: Header=BB0_3 Depth=1
	s_mov_b64 s[16:17], 0
	v_pk_mov_b32 v[24:25], 0, 0
	s_mov_b64 s[18:19], 0
.LBB0_54:                               ;   Parent Loop BB0_3 Depth=1
                                        ; =>  This Inner Loop Header: Depth=2
	flat_load_ubyte v7, v[10:11]
	v_mov_b32_e32 v29, s22
	v_add_co_u32_e32 v10, vcc, 1, v10
	v_add_u32_e32 v26, -1, v26
	v_addc_co_u32_e32 v11, vcc, 0, v11, vcc
	v_cmp_eq_u32_e32 vcc, 0, v26
	s_waitcnt vmcnt(0) lgkmcnt(0)
	v_and_b32_e32 v28, 0xffff, v7
	v_lshlrev_b64 v[28:29], s18, v[28:29]
	s_add_u32 s18, s18, 8
	s_addc_u32 s19, s19, 0
	v_or_b32_e32 v25, v29, v25
	s_or_b64 s[16:17], vcc, s[16:17]
	v_or_b32_e32 v24, v28, v24
	s_andn2_b64 exec, exec, s[16:17]
	s_cbranch_execnz .LBB0_54
; %bb.55:                               ;   in Loop: Header=BB0_3 Depth=1
	s_or_b64 exec, exec, s[16:17]
.LBB0_56:                               ;   in Loop: Header=BB0_3 Depth=1
	s_or_b64 exec, exec, s[14:15]
                                        ; implicit-def: $vgpr10_vgpr11
.LBB0_57:                               ;   in Loop: Header=BB0_3 Depth=1
	s_andn2_saveexec_b64 s[4:5], s[4:5]
	s_cbranch_execz .LBB0_59
; %bb.58:                               ;   in Loop: Header=BB0_3 Depth=1
	flat_load_dwordx2 v[10:11], v[10:11]
	s_waitcnt vmcnt(0) lgkmcnt(0)
	v_and_b32_e32 v7, 0xff, v11
	v_and_b32_e32 v24, 0xff00, v11
	;; [unrolled: 1-line block ×4, first 2 shown]
	v_or_b32_e32 v7, v7, v24
	v_or3_b32 v25, v7, v25, v11
	v_or3_b32 v24, v10, 0, 0
.LBB0_59:                               ;   in Loop: Header=BB0_3 Depth=1
	s_or_b64 exec, exec, s[4:5]
	v_readfirstlane_b32 s4, v32
	v_cmp_eq_u32_e64 s[4:5], s4, v32
	v_pk_mov_b32 v[10:11], 0, 0
	s_and_saveexec_b64 s[14:15], s[4:5]
	s_cbranch_execz .LBB0_65
; %bb.60:                               ;   in Loop: Header=BB0_3 Depth=1
	s_waitcnt lgkmcnt(0)
	global_load_dwordx2 v[28:29], v31, s[12:13] offset:24 glc
	s_waitcnt vmcnt(0)
	buffer_invl2
	buffer_wbinvl1_vol
	global_load_dwordx2 v[10:11], v31, s[12:13] offset:40
	global_load_dwordx2 v[26:27], v31, s[12:13]
	s_waitcnt vmcnt(1)
	v_and_b32_e32 v7, v10, v28
	v_and_b32_e32 v10, v11, v29
	v_mul_lo_u32 v10, v10, 24
	v_mul_hi_u32 v11, v7, 24
	v_mul_lo_u32 v7, v7, 24
	v_add_u32_e32 v11, v11, v10
	s_waitcnt vmcnt(0)
	v_add_co_u32_e32 v10, vcc, v26, v7
	v_addc_co_u32_e32 v11, vcc, v27, v11, vcc
	global_load_dwordx2 v[26:27], v[10:11], off glc
	s_waitcnt vmcnt(0)
	global_atomic_cmpswap_x2 v[10:11], v31, v[26:29], s[12:13] offset:24 glc
	s_waitcnt vmcnt(0)
	buffer_invl2
	buffer_wbinvl1_vol
	v_cmp_ne_u64_e32 vcc, v[10:11], v[28:29]
	s_and_saveexec_b64 s[16:17], vcc
	s_cbranch_execz .LBB0_64
; %bb.61:                               ;   in Loop: Header=BB0_3 Depth=1
	s_mov_b64 s[18:19], 0
.LBB0_62:                               ;   Parent Loop BB0_3 Depth=1
                                        ; =>  This Inner Loop Header: Depth=2
	s_sleep 1
	global_load_dwordx2 v[26:27], v31, s[12:13] offset:40
	global_load_dwordx2 v[36:37], v31, s[12:13]
	v_pk_mov_b32 v[28:29], v[10:11], v[10:11] op_sel:[0,1]
	s_waitcnt vmcnt(1)
	v_and_b32_e32 v10, v26, v28
	s_waitcnt vmcnt(0)
	v_mad_u64_u32 v[10:11], s[20:21], v10, 24, v[36:37]
	v_and_b32_e32 v7, v27, v29
	v_mov_b32_e32 v26, v11
	v_mad_u64_u32 v[26:27], s[20:21], v7, 24, v[26:27]
	v_mov_b32_e32 v11, v26
	global_load_dwordx2 v[26:27], v[10:11], off glc
	s_waitcnt vmcnt(0)
	global_atomic_cmpswap_x2 v[10:11], v31, v[26:29], s[12:13] offset:24 glc
	s_waitcnt vmcnt(0)
	buffer_invl2
	buffer_wbinvl1_vol
	v_cmp_eq_u64_e32 vcc, v[10:11], v[28:29]
	s_or_b64 s[18:19], vcc, s[18:19]
	s_andn2_b64 exec, exec, s[18:19]
	s_cbranch_execnz .LBB0_62
; %bb.63:                               ;   in Loop: Header=BB0_3 Depth=1
	s_or_b64 exec, exec, s[18:19]
.LBB0_64:                               ;   in Loop: Header=BB0_3 Depth=1
	s_or_b64 exec, exec, s[16:17]
.LBB0_65:                               ;   in Loop: Header=BB0_3 Depth=1
	s_or_b64 exec, exec, s[14:15]
	s_waitcnt lgkmcnt(0)
	global_load_dwordx2 v[36:37], v31, s[12:13] offset:40
	global_load_dwordx4 v[26:29], v31, s[12:13]
	v_readfirstlane_b32 s14, v10
	v_readfirstlane_b32 s15, v11
	s_mov_b64 s[16:17], exec
	s_waitcnt vmcnt(1)
	v_readfirstlane_b32 s18, v36
	v_readfirstlane_b32 s19, v37
	s_and_b64 s[18:19], s[14:15], s[18:19]
	s_mul_i32 s20, s19, 24
	s_mul_hi_u32 s21, s18, 24
	s_mul_i32 s24, s18, 24
	s_add_i32 s20, s21, s20
	v_mov_b32_e32 v7, s20
	s_waitcnt vmcnt(0)
	v_add_co_u32_e32 v36, vcc, s24, v26
	v_addc_co_u32_e32 v37, vcc, v27, v7, vcc
	s_and_saveexec_b64 s[20:21], s[4:5]
	s_cbranch_execz .LBB0_67
; %bb.66:                               ;   in Loop: Header=BB0_3 Depth=1
	v_pk_mov_b32 v[10:11], s[16:17], s[16:17] op_sel:[0,1]
	global_store_dwordx4 v[36:37], v[10:13], off offset:8
.LBB0_67:                               ;   in Loop: Header=BB0_3 Depth=1
	s_or_b64 exec, exec, s[20:21]
	s_lshl_b64 s[16:17], s[18:19], 12
	v_mov_b32_e32 v7, s17
	v_add_co_u32_e32 v10, vcc, s16, v28
	v_addc_co_u32_e32 v7, vcc, v29, v7, vcc
	v_or_b32_e32 v11, 0, v1
	v_cmp_lt_u64_e32 vcc, 56, v[4:5]
	v_or_b32_e32 v28, v0, v6
	v_cndmask_b32_e32 v1, v11, v1, vcc
	v_lshl_add_u32 v11, v34, 2, 28
	v_cndmask_b32_e32 v0, v28, v0, vcc
	v_and_b32_e32 v11, 0x1e0, v11
	v_and_or_b32 v0, v0, s23, v11
	v_lshlrev_b32_e32 v11, 6, v32
	v_readfirstlane_b32 s16, v10
	v_readfirstlane_b32 s17, v7
	s_nop 4
	global_store_dwordx4 v11, v[0:3], s[16:17]
	global_store_dwordx4 v11, v[14:17], s[16:17] offset:16
	global_store_dwordx4 v11, v[18:21], s[16:17] offset:32
	;; [unrolled: 1-line block ×3, first 2 shown]
	s_and_saveexec_b64 s[16:17], s[4:5]
	s_cbranch_execz .LBB0_75
; %bb.68:                               ;   in Loop: Header=BB0_3 Depth=1
	global_load_dwordx2 v[18:19], v31, s[12:13] offset:32 glc
	global_load_dwordx2 v[0:1], v31, s[12:13] offset:40
	v_mov_b32_e32 v16, s14
	v_mov_b32_e32 v17, s15
	s_waitcnt vmcnt(0)
	v_readfirstlane_b32 s18, v0
	v_readfirstlane_b32 s19, v1
	s_and_b64 s[18:19], s[18:19], s[14:15]
	s_mul_i32 s19, s19, 24
	s_mul_hi_u32 s20, s18, 24
	s_mul_i32 s18, s18, 24
	s_add_i32 s19, s20, s19
	v_mov_b32_e32 v0, s19
	v_add_co_u32_e32 v14, vcc, s18, v26
	v_addc_co_u32_e32 v15, vcc, v27, v0, vcc
	global_store_dwordx2 v[14:15], v[18:19], off
	buffer_wbl2
	s_waitcnt vmcnt(0)
	global_atomic_cmpswap_x2 v[2:3], v31, v[16:19], s[12:13] offset:32 glc
	s_waitcnt vmcnt(0)
	v_cmp_ne_u64_e32 vcc, v[2:3], v[18:19]
	s_and_saveexec_b64 s[18:19], vcc
	s_cbranch_execz .LBB0_71
; %bb.69:                               ;   in Loop: Header=BB0_3 Depth=1
	s_mov_b64 s[20:21], 0
.LBB0_70:                               ;   Parent Loop BB0_3 Depth=1
                                        ; =>  This Inner Loop Header: Depth=2
	s_sleep 1
	global_store_dwordx2 v[14:15], v[2:3], off
	v_mov_b32_e32 v0, s14
	v_mov_b32_e32 v1, s15
	buffer_wbl2
	s_waitcnt vmcnt(0)
	global_atomic_cmpswap_x2 v[0:1], v31, v[0:3], s[12:13] offset:32 glc
	s_waitcnt vmcnt(0)
	v_cmp_eq_u64_e32 vcc, v[0:1], v[2:3]
	s_or_b64 s[20:21], vcc, s[20:21]
	v_pk_mov_b32 v[2:3], v[0:1], v[0:1] op_sel:[0,1]
	s_andn2_b64 exec, exec, s[20:21]
	s_cbranch_execnz .LBB0_70
.LBB0_71:                               ;   in Loop: Header=BB0_3 Depth=1
	s_or_b64 exec, exec, s[18:19]
	global_load_dwordx2 v[0:1], v31, s[12:13] offset:16
	s_mov_b64 s[20:21], exec
	v_mbcnt_lo_u32_b32 v2, s20, 0
	v_mbcnt_hi_u32_b32 v2, s21, v2
	v_cmp_eq_u32_e32 vcc, 0, v2
	s_and_saveexec_b64 s[18:19], vcc
	s_cbranch_execz .LBB0_73
; %bb.72:                               ;   in Loop: Header=BB0_3 Depth=1
	s_bcnt1_i32_b64 s20, s[20:21]
	v_mov_b32_e32 v30, s20
	buffer_wbl2
	s_waitcnt vmcnt(0)
	global_atomic_add_x2 v[0:1], v[30:31], off offset:8
.LBB0_73:                               ;   in Loop: Header=BB0_3 Depth=1
	s_or_b64 exec, exec, s[18:19]
	s_waitcnt vmcnt(0)
	global_load_dwordx2 v[2:3], v[0:1], off offset:16
	s_waitcnt vmcnt(0)
	v_cmp_eq_u64_e32 vcc, 0, v[2:3]
	s_cbranch_vccnz .LBB0_75
; %bb.74:                               ;   in Loop: Header=BB0_3 Depth=1
	global_load_dword v30, v[0:1], off offset:24
	s_waitcnt vmcnt(0)
	v_and_b32_e32 v0, 0xffffff, v30
	v_readfirstlane_b32 m0, v0
	buffer_wbl2
	global_store_dwordx2 v[2:3], v[30:31], off
	s_sendmsg sendmsg(MSG_INTERRUPT)
.LBB0_75:                               ;   in Loop: Header=BB0_3 Depth=1
	s_or_b64 exec, exec, s[16:17]
	v_add_co_u32_e32 v0, vcc, v10, v11
	v_addc_co_u32_e32 v1, vcc, 0, v7, vcc
	s_branch .LBB0_79
.LBB0_76:                               ;   in Loop: Header=BB0_79 Depth=2
	s_or_b64 exec, exec, s[16:17]
	v_readfirstlane_b32 s16, v2
	s_cmp_eq_u32 s16, 0
	s_cbranch_scc1 .LBB0_78
; %bb.77:                               ;   in Loop: Header=BB0_79 Depth=2
	s_sleep 1
	s_cbranch_execnz .LBB0_79
	s_branch .LBB0_81
.LBB0_78:                               ;   in Loop: Header=BB0_3 Depth=1
	s_branch .LBB0_81
.LBB0_79:                               ;   Parent Loop BB0_3 Depth=1
                                        ; =>  This Inner Loop Header: Depth=2
	v_mov_b32_e32 v2, 1
	s_and_saveexec_b64 s[16:17], s[4:5]
	s_cbranch_execz .LBB0_76
; %bb.80:                               ;   in Loop: Header=BB0_79 Depth=2
	global_load_dword v2, v[36:37], off offset:20 glc
	s_waitcnt vmcnt(0)
	buffer_invl2
	buffer_wbinvl1_vol
	v_and_b32_e32 v2, 1, v2
	s_branch .LBB0_76
.LBB0_81:                               ;   in Loop: Header=BB0_3 Depth=1
	global_load_dwordx4 v[0:3], v[0:1], off
	s_and_saveexec_b64 s[16:17], s[4:5]
	s_cbranch_execz .LBB0_2
; %bb.82:                               ;   in Loop: Header=BB0_3 Depth=1
	global_load_dwordx2 v[2:3], v31, s[12:13] offset:40
	global_load_dwordx2 v[10:11], v31, s[12:13] offset:24 glc
	global_load_dwordx2 v[18:19], v31, s[12:13]
	v_mov_b32_e32 v7, s15
	s_waitcnt vmcnt(2)
	v_add_co_u32_e32 v17, vcc, 1, v2
	v_addc_co_u32_e32 v20, vcc, 0, v3, vcc
	v_add_co_u32_e32 v14, vcc, s14, v17
	v_addc_co_u32_e32 v15, vcc, v20, v7, vcc
	v_cmp_eq_u64_e32 vcc, 0, v[14:15]
	v_cndmask_b32_e32 v15, v15, v20, vcc
	v_cndmask_b32_e32 v14, v14, v17, vcc
	v_and_b32_e32 v3, v15, v3
	v_and_b32_e32 v2, v14, v2
	v_mul_lo_u32 v3, v3, 24
	v_mul_hi_u32 v7, v2, 24
	v_mul_lo_u32 v2, v2, 24
	v_add_u32_e32 v3, v7, v3
	s_waitcnt vmcnt(0)
	v_add_co_u32_e32 v2, vcc, v18, v2
	v_addc_co_u32_e32 v3, vcc, v19, v3, vcc
	v_mov_b32_e32 v16, v10
	global_store_dwordx2 v[2:3], v[10:11], off
	v_mov_b32_e32 v17, v11
	buffer_wbl2
	s_waitcnt vmcnt(0)
	global_atomic_cmpswap_x2 v[16:17], v31, v[14:17], s[12:13] offset:24 glc
	s_waitcnt vmcnt(0)
	v_cmp_ne_u64_e32 vcc, v[16:17], v[10:11]
	s_and_b64 exec, exec, vcc
	s_cbranch_execz .LBB0_2
; %bb.83:                               ;   in Loop: Header=BB0_3 Depth=1
	s_mov_b64 s[4:5], 0
.LBB0_84:                               ;   Parent Loop BB0_3 Depth=1
                                        ; =>  This Inner Loop Header: Depth=2
	s_sleep 1
	global_store_dwordx2 v[2:3], v[16:17], off
	buffer_wbl2
	s_waitcnt vmcnt(0)
	global_atomic_cmpswap_x2 v[10:11], v31, v[14:17], s[12:13] offset:24 glc
	s_waitcnt vmcnt(0)
	v_cmp_eq_u64_e32 vcc, v[10:11], v[16:17]
	s_or_b64 s[4:5], vcc, s[4:5]
	v_pk_mov_b32 v[16:17], v[10:11], v[10:11] op_sel:[0,1]
	s_andn2_b64 exec, exec, s[4:5]
	s_cbranch_execnz .LBB0_84
	s_branch .LBB0_2
.LBB0_85:
	s_or_b64 exec, exec, s[6:7]
                                        ; implicit-def: $vgpr0
                                        ; implicit-def: $vgpr1
                                        ; implicit-def: $vgpr2
.LBB0_86:
	s_andn2_saveexec_b64 s[6:7], s[10:11]
	s_cbranch_execz .LBB0_109
; %bb.87:
	s_load_dwordx2 s[8:9], s[8:9], 0x50
	s_waitcnt vmcnt(0)
	v_mbcnt_hi_u32_b32 v3, -1, v2
	v_readfirstlane_b32 s4, v3
	v_cmp_eq_u32_e64 s[4:5], s4, v3
	v_pk_mov_b32 v[8:9], 0, 0
	s_and_saveexec_b64 s[10:11], s[4:5]
	s_cbranch_execz .LBB0_93
; %bb.88:
	v_mov_b32_e32 v2, 0
	s_waitcnt lgkmcnt(0)
	global_load_dwordx2 v[6:7], v2, s[8:9] offset:24 glc
	s_waitcnt vmcnt(0)
	buffer_invl2
	buffer_wbinvl1_vol
	global_load_dwordx2 v[4:5], v2, s[8:9] offset:40
	global_load_dwordx2 v[8:9], v2, s[8:9]
	s_waitcnt vmcnt(1)
	v_and_b32_e32 v4, v4, v6
	v_and_b32_e32 v5, v5, v7
	v_mul_lo_u32 v5, v5, 24
	v_mul_hi_u32 v10, v4, 24
	v_mul_lo_u32 v4, v4, 24
	v_add_u32_e32 v5, v10, v5
	s_waitcnt vmcnt(0)
	v_add_co_u32_e32 v4, vcc, v8, v4
	v_addc_co_u32_e32 v5, vcc, v9, v5, vcc
	global_load_dwordx2 v[4:5], v[4:5], off glc
	s_waitcnt vmcnt(0)
	global_atomic_cmpswap_x2 v[8:9], v2, v[4:7], s[8:9] offset:24 glc
	s_waitcnt vmcnt(0)
	buffer_invl2
	buffer_wbinvl1_vol
	v_cmp_ne_u64_e32 vcc, v[8:9], v[6:7]
	s_and_saveexec_b64 s[12:13], vcc
	s_cbranch_execz .LBB0_92
; %bb.89:
	s_mov_b64 s[14:15], 0
.LBB0_90:                               ; =>This Inner Loop Header: Depth=1
	s_sleep 1
	global_load_dwordx2 v[4:5], v2, s[8:9] offset:40
	global_load_dwordx2 v[10:11], v2, s[8:9]
	v_pk_mov_b32 v[6:7], v[8:9], v[8:9] op_sel:[0,1]
	s_waitcnt vmcnt(1)
	v_and_b32_e32 v4, v4, v6
	v_and_b32_e32 v9, v5, v7
	s_waitcnt vmcnt(0)
	v_mad_u64_u32 v[4:5], s[16:17], v4, 24, v[10:11]
	v_mov_b32_e32 v8, v5
	v_mad_u64_u32 v[8:9], s[16:17], v9, 24, v[8:9]
	v_mov_b32_e32 v5, v8
	global_load_dwordx2 v[4:5], v[4:5], off glc
	s_waitcnt vmcnt(0)
	global_atomic_cmpswap_x2 v[8:9], v2, v[4:7], s[8:9] offset:24 glc
	s_waitcnt vmcnt(0)
	buffer_invl2
	buffer_wbinvl1_vol
	v_cmp_eq_u64_e32 vcc, v[8:9], v[6:7]
	s_or_b64 s[14:15], vcc, s[14:15]
	s_andn2_b64 exec, exec, s[14:15]
	s_cbranch_execnz .LBB0_90
; %bb.91:
	s_or_b64 exec, exec, s[14:15]
.LBB0_92:
	s_or_b64 exec, exec, s[12:13]
.LBB0_93:
	s_or_b64 exec, exec, s[10:11]
	v_mov_b32_e32 v2, 0
	s_waitcnt lgkmcnt(0)
	global_load_dwordx2 v[10:11], v2, s[8:9] offset:40
	global_load_dwordx4 v[4:7], v2, s[8:9]
	v_readfirstlane_b32 s10, v8
	v_readfirstlane_b32 s11, v9
	s_mov_b64 s[12:13], exec
	s_waitcnt vmcnt(1)
	v_readfirstlane_b32 s14, v10
	v_readfirstlane_b32 s15, v11
	s_and_b64 s[14:15], s[10:11], s[14:15]
	s_mul_i32 s16, s15, 24
	s_mul_hi_u32 s17, s14, 24
	s_mul_i32 s18, s14, 24
	s_add_i32 s16, s17, s16
	v_mov_b32_e32 v9, s16
	s_waitcnt vmcnt(0)
	v_add_co_u32_e32 v8, vcc, s18, v4
	v_addc_co_u32_e32 v9, vcc, v5, v9, vcc
	s_and_saveexec_b64 s[16:17], s[4:5]
	s_cbranch_execz .LBB0_95
; %bb.94:
	v_pk_mov_b32 v[10:11], s[12:13], s[12:13] op_sel:[0,1]
	v_mov_b32_e32 v12, 2
	v_mov_b32_e32 v13, 1
	global_store_dwordx4 v[8:9], v[10:13], off offset:8
.LBB0_95:
	s_or_b64 exec, exec, s[16:17]
	s_lshl_b64 s[12:13], s[14:15], 12
	v_mov_b32_e32 v10, s13
	v_add_co_u32_e32 v6, vcc, s12, v6
	s_movk_i32 s12, 0xff1f
	v_addc_co_u32_e32 v7, vcc, v7, v10, vcc
	v_and_or_b32 v0, v0, s12, 32
	s_mov_b32 s12, 0
	v_lshlrev_b32_e32 v10, 6, v3
	v_mov_b32_e32 v3, v2
	v_readfirstlane_b32 s16, v6
	v_readfirstlane_b32 s17, v7
	s_mov_b32 s13, s12
	s_mov_b32 s14, s12
	;; [unrolled: 1-line block ×3, first 2 shown]
	s_nop 1
	global_store_dwordx4 v10, v[0:3], s[16:17]
	s_nop 0
	v_pk_mov_b32 v[0:1], s[12:13], s[12:13] op_sel:[0,1]
	v_pk_mov_b32 v[2:3], s[14:15], s[14:15] op_sel:[0,1]
	global_store_dwordx4 v10, v[0:3], s[16:17] offset:16
	global_store_dwordx4 v10, v[0:3], s[16:17] offset:32
	;; [unrolled: 1-line block ×3, first 2 shown]
	s_and_saveexec_b64 s[12:13], s[4:5]
	s_cbranch_execz .LBB0_103
; %bb.96:
	v_mov_b32_e32 v6, 0
	global_load_dwordx2 v[12:13], v6, s[8:9] offset:32 glc
	global_load_dwordx2 v[0:1], v6, s[8:9] offset:40
	v_mov_b32_e32 v10, s10
	v_mov_b32_e32 v11, s11
	s_waitcnt vmcnt(0)
	v_and_b32_e32 v0, s10, v0
	v_and_b32_e32 v1, s11, v1
	v_mul_lo_u32 v1, v1, 24
	v_mul_hi_u32 v2, v0, 24
	v_mul_lo_u32 v0, v0, 24
	v_add_u32_e32 v1, v2, v1
	v_add_co_u32_e32 v4, vcc, v4, v0
	v_addc_co_u32_e32 v5, vcc, v5, v1, vcc
	global_store_dwordx2 v[4:5], v[12:13], off
	buffer_wbl2
	s_waitcnt vmcnt(0)
	global_atomic_cmpswap_x2 v[2:3], v6, v[10:13], s[8:9] offset:32 glc
	s_waitcnt vmcnt(0)
	v_cmp_ne_u64_e32 vcc, v[2:3], v[12:13]
	s_and_saveexec_b64 s[14:15], vcc
	s_cbranch_execz .LBB0_99
; %bb.97:
	s_mov_b64 s[16:17], 0
.LBB0_98:                               ; =>This Inner Loop Header: Depth=1
	s_sleep 1
	global_store_dwordx2 v[4:5], v[2:3], off
	v_mov_b32_e32 v0, s10
	v_mov_b32_e32 v1, s11
	buffer_wbl2
	s_waitcnt vmcnt(0)
	global_atomic_cmpswap_x2 v[0:1], v6, v[0:3], s[8:9] offset:32 glc
	s_waitcnt vmcnt(0)
	v_cmp_eq_u64_e32 vcc, v[0:1], v[2:3]
	s_or_b64 s[16:17], vcc, s[16:17]
	v_pk_mov_b32 v[2:3], v[0:1], v[0:1] op_sel:[0,1]
	s_andn2_b64 exec, exec, s[16:17]
	s_cbranch_execnz .LBB0_98
.LBB0_99:
	s_or_b64 exec, exec, s[14:15]
	v_mov_b32_e32 v3, 0
	global_load_dwordx2 v[0:1], v3, s[8:9] offset:16
	s_mov_b64 s[14:15], exec
	v_mbcnt_lo_u32_b32 v2, s14, 0
	v_mbcnt_hi_u32_b32 v2, s15, v2
	v_cmp_eq_u32_e32 vcc, 0, v2
	s_and_saveexec_b64 s[16:17], vcc
	s_cbranch_execz .LBB0_101
; %bb.100:
	s_bcnt1_i32_b64 s14, s[14:15]
	v_mov_b32_e32 v2, s14
	buffer_wbl2
	s_waitcnt vmcnt(0)
	global_atomic_add_x2 v[0:1], v[2:3], off offset:8
.LBB0_101:
	s_or_b64 exec, exec, s[16:17]
	s_waitcnt vmcnt(0)
	global_load_dwordx2 v[2:3], v[0:1], off offset:16
	s_waitcnt vmcnt(0)
	v_cmp_eq_u64_e32 vcc, 0, v[2:3]
	s_cbranch_vccnz .LBB0_103
; %bb.102:
	global_load_dword v0, v[0:1], off offset:24
	v_mov_b32_e32 v1, 0
	buffer_wbl2
	s_waitcnt vmcnt(0)
	global_store_dwordx2 v[2:3], v[0:1], off
	v_and_b32_e32 v0, 0xffffff, v0
	v_readfirstlane_b32 m0, v0
	s_sendmsg sendmsg(MSG_INTERRUPT)
.LBB0_103:
	s_or_b64 exec, exec, s[12:13]
	s_branch .LBB0_107
.LBB0_104:                              ;   in Loop: Header=BB0_107 Depth=1
	s_or_b64 exec, exec, s[12:13]
	v_readfirstlane_b32 s12, v0
	s_cmp_eq_u32 s12, 0
	s_cbranch_scc1 .LBB0_106
; %bb.105:                              ;   in Loop: Header=BB0_107 Depth=1
	s_sleep 1
	s_cbranch_execnz .LBB0_107
	s_branch .LBB0_110
.LBB0_106:
	s_branch .LBB0_110
.LBB0_107:                              ; =>This Inner Loop Header: Depth=1
	v_mov_b32_e32 v0, 1
	s_and_saveexec_b64 s[12:13], s[4:5]
	s_cbranch_execz .LBB0_104
; %bb.108:                              ;   in Loop: Header=BB0_107 Depth=1
	global_load_dword v0, v[8:9], off offset:20 glc
	s_waitcnt vmcnt(0)
	buffer_invl2
	buffer_wbinvl1_vol
	v_and_b32_e32 v0, 1, v0
	s_branch .LBB0_104
.LBB0_109:
	s_or_b64 exec, exec, s[6:7]
	s_waitcnt vmcnt(0) lgkmcnt(0)
	s_setpc_b64 s[30:31]
.LBB0_110:
	s_and_saveexec_b64 s[12:13], s[4:5]
	s_cbranch_execz .LBB0_113
; %bb.111:
	v_mov_b32_e32 v6, 0
	global_load_dwordx2 v[4:5], v6, s[8:9] offset:40
	global_load_dwordx2 v[8:9], v6, s[8:9] offset:24 glc
	global_load_dwordx2 v[10:11], v6, s[8:9]
	v_mov_b32_e32 v1, s11
	s_mov_b64 s[4:5], 0
	s_waitcnt vmcnt(2)
	v_add_co_u32_e32 v3, vcc, 1, v4
	v_addc_co_u32_e32 v7, vcc, 0, v5, vcc
	v_add_co_u32_e32 v0, vcc, s10, v3
	v_addc_co_u32_e32 v1, vcc, v7, v1, vcc
	v_cmp_eq_u64_e32 vcc, 0, v[0:1]
	v_cndmask_b32_e32 v1, v1, v7, vcc
	v_cndmask_b32_e32 v0, v0, v3, vcc
	v_and_b32_e32 v3, v1, v5
	v_and_b32_e32 v4, v0, v4
	v_mul_lo_u32 v3, v3, 24
	v_mul_hi_u32 v5, v4, 24
	v_mul_lo_u32 v4, v4, 24
	v_add_u32_e32 v3, v5, v3
	s_waitcnt vmcnt(0)
	v_add_co_u32_e32 v4, vcc, v10, v4
	v_addc_co_u32_e32 v5, vcc, v11, v3, vcc
	v_mov_b32_e32 v2, v8
	global_store_dwordx2 v[4:5], v[8:9], off
	v_mov_b32_e32 v3, v9
	buffer_wbl2
	s_waitcnt vmcnt(0)
	global_atomic_cmpswap_x2 v[2:3], v6, v[0:3], s[8:9] offset:24 glc
	s_waitcnt vmcnt(0)
	v_cmp_ne_u64_e32 vcc, v[2:3], v[8:9]
	s_and_b64 exec, exec, vcc
	s_cbranch_execz .LBB0_113
.LBB0_112:                              ; =>This Inner Loop Header: Depth=1
	s_sleep 1
	global_store_dwordx2 v[4:5], v[2:3], off
	buffer_wbl2
	s_waitcnt vmcnt(0)
	global_atomic_cmpswap_x2 v[8:9], v6, v[0:3], s[8:9] offset:24 glc
	s_waitcnt vmcnt(0)
	v_cmp_eq_u64_e32 vcc, v[8:9], v[2:3]
	s_or_b64 s[4:5], vcc, s[4:5]
	v_pk_mov_b32 v[2:3], v[8:9], v[8:9] op_sel:[0,1]
	s_andn2_b64 exec, exec, s[4:5]
	s_cbranch_execnz .LBB0_112
.LBB0_113:
	s_or_b64 exec, exec, s[12:13]
	s_or_b64 exec, exec, s[6:7]
	s_waitcnt vmcnt(0) lgkmcnt(0)
	s_setpc_b64 s[30:31]
.Lfunc_end0:
	.size	__ockl_fprintf_append_string_n, .Lfunc_end0-__ockl_fprintf_append_string_n
                                        ; -- End function
	.section	.AMDGPU.csdata,"",@progbits
; Function info:
; codeLenInByte = 4372
; NumSgprs: 36
; NumVgprs: 38
; NumAgprs: 0
; TotalNumVgprs: 38
; ScratchSize: 0
; MemoryBound: 0
	.text
	.p2align	2                               ; -- Begin function __assert_fail
	.type	__assert_fail,@function
__assert_fail:                          ; @__assert_fail
; %bb.0:
	s_waitcnt vmcnt(0) expcnt(0) lgkmcnt(0)
	s_mov_b32 s25, s33
	s_mov_b32 s33, s32
	s_or_saveexec_b64 s[4:5], -1
	buffer_store_dword v40, off, s[0:3], s33 offset:48 ; 4-byte Folded Spill
	s_mov_b64 exec, s[4:5]
	v_writelane_b32 v40, s30, 0
	s_addk_i32 s32, 0x1000
	v_writelane_b32 v40, s31, 1
	s_getpc_b64 s[4:5]
	s_add_u32 s4, s4, __const.__assert_fail.fmt@rel32@lo+4
	s_addc_u32 s5, s5, __const.__assert_fail.fmt@rel32@hi+12
	s_load_dwordx4 s[4:7], s[4:5], 0x0
	v_mov_b32_e32 v4, v0
	v_mov_b32_e32 v0, 0xa2e
	buffer_store_short v0, off, s[0:3], s33 offset:44
	v_mov_b32_e32 v0, 0x64656c69
	buffer_store_dword v0, off, s[0:3], s33 offset:40
	v_mov_b32_e32 v0, 0x61662027
	s_getpc_b64 s[10:11]
	s_add_u32 s10, s10, __const.__assert_fail.fmt@rel32@lo+20
	s_addc_u32 s11, s11, __const.__assert_fail.fmt@rel32@hi+28
	buffer_store_dword v0, off, s[0:3], s33 offset:36
	v_mov_b32_e32 v0, 0x73256020
	s_load_dwordx4 s[12:15], s[10:11], 0x0
	buffer_store_dword v0, off, s[0:3], s33 offset:32
	s_waitcnt lgkmcnt(0)
	v_mov_b32_e32 v0, s7
	buffer_store_dword v0, off, s[0:3], s33 offset:12
	v_mov_b32_e32 v0, s6
	buffer_store_dword v0, off, s[0:3], s33 offset:8
	v_mov_b32_e32 v0, s5
	buffer_store_dword v0, off, s[0:3], s33 offset:4
	v_mov_b32_e32 v0, s4
	buffer_store_dword v0, off, s[0:3], s33
	v_mov_b32_e32 v0, s15
	buffer_store_dword v0, off, s[0:3], s33 offset:28
	v_mov_b32_e32 v0, s14
	buffer_store_dword v0, off, s[0:3], s33 offset:24
	;; [unrolled: 2-line block ×3, first 2 shown]
	v_mov_b32_e32 v0, s12
	s_load_dwordx2 s[10:11], s[8:9], 0x50
	buffer_store_dword v0, off, s[0:3], s33 offset:16
	v_mbcnt_lo_u32_b32 v0, -1, 0
	v_mbcnt_hi_u32_b32 v37, -1, v0
	v_readfirstlane_b32 s4, v37
	v_mov_b32_e32 v5, v1
	v_mov_b32_e32 v8, 0
	v_cmp_eq_u32_e64 s[4:5], s4, v37
	v_pk_mov_b32 v[6:7], 0, 0
	buffer_store_byte v8, off, s[0:3], s33 offset:46
	s_and_saveexec_b64 s[6:7], s[4:5]
	s_cbranch_execz .LBB1_6
; %bb.1:
	s_waitcnt lgkmcnt(0)
	global_load_dwordx2 v[2:3], v8, s[10:11] offset:24 glc
	s_waitcnt vmcnt(0)
	buffer_invl2
	buffer_wbinvl1_vol
	global_load_dwordx2 v[0:1], v8, s[10:11] offset:40
	global_load_dwordx2 v[6:7], v8, s[10:11]
	s_waitcnt vmcnt(1)
	v_and_b32_e32 v0, v0, v2
	v_and_b32_e32 v1, v1, v3
	v_mul_lo_u32 v1, v1, 24
	v_mul_hi_u32 v9, v0, 24
	v_mul_lo_u32 v0, v0, 24
	v_add_u32_e32 v1, v9, v1
	s_waitcnt vmcnt(0)
	v_add_co_u32_e32 v0, vcc, v6, v0
	v_addc_co_u32_e32 v1, vcc, v7, v1, vcc
	global_load_dwordx2 v[0:1], v[0:1], off glc
	s_waitcnt vmcnt(0)
	global_atomic_cmpswap_x2 v[6:7], v8, v[0:3], s[10:11] offset:24 glc
	s_waitcnt vmcnt(0)
	buffer_invl2
	buffer_wbinvl1_vol
	v_cmp_ne_u64_e32 vcc, v[6:7], v[2:3]
	s_and_saveexec_b64 s[12:13], vcc
	s_cbranch_execz .LBB1_5
; %bb.2:
	s_mov_b64 s[14:15], 0
.LBB1_3:                                ; =>This Inner Loop Header: Depth=1
	s_sleep 1
	global_load_dwordx2 v[0:1], v8, s[10:11] offset:40
	global_load_dwordx2 v[10:11], v8, s[10:11]
	v_pk_mov_b32 v[2:3], v[6:7], v[6:7] op_sel:[0,1]
	s_waitcnt vmcnt(1)
	v_and_b32_e32 v0, v0, v2
	v_and_b32_e32 v7, v1, v3
	s_waitcnt vmcnt(0)
	v_mad_u64_u32 v[0:1], s[16:17], v0, 24, v[10:11]
	v_mov_b32_e32 v6, v1
	v_mad_u64_u32 v[6:7], s[16:17], v7, 24, v[6:7]
	v_mov_b32_e32 v1, v6
	global_load_dwordx2 v[0:1], v[0:1], off glc
	s_waitcnt vmcnt(0)
	global_atomic_cmpswap_x2 v[6:7], v8, v[0:3], s[10:11] offset:24 glc
	s_waitcnt vmcnt(0)
	buffer_invl2
	buffer_wbinvl1_vol
	v_cmp_eq_u64_e32 vcc, v[6:7], v[2:3]
	s_or_b64 s[14:15], vcc, s[14:15]
	s_andn2_b64 exec, exec, s[14:15]
	s_cbranch_execnz .LBB1_3
; %bb.4:
	s_or_b64 exec, exec, s[14:15]
.LBB1_5:
	s_or_b64 exec, exec, s[12:13]
.LBB1_6:
	s_or_b64 exec, exec, s[6:7]
	s_waitcnt lgkmcnt(0)
	global_load_dwordx2 v[10:11], v8, s[10:11] offset:40
	global_load_dwordx4 v[0:3], v8, s[10:11]
	v_readfirstlane_b32 s6, v6
	v_readfirstlane_b32 s7, v7
	s_mov_b64 s[12:13], exec
	s_waitcnt vmcnt(1)
	v_readfirstlane_b32 s14, v10
	v_readfirstlane_b32 s15, v11
	s_and_b64 s[14:15], s[6:7], s[14:15]
	s_mul_i32 s16, s15, 24
	s_mul_hi_u32 s17, s14, 24
	s_mul_i32 s18, s14, 24
	s_add_i32 s16, s17, s16
	v_mov_b32_e32 v6, s16
	s_waitcnt vmcnt(0)
	v_add_co_u32_e32 v10, vcc, s18, v0
	v_addc_co_u32_e32 v11, vcc, v1, v6, vcc
	s_and_saveexec_b64 s[16:17], s[4:5]
	s_cbranch_execz .LBB1_8
; %bb.7:
	v_pk_mov_b32 v[6:7], s[12:13], s[12:13] op_sel:[0,1]
	v_mov_b32_e32 v8, 2
	v_mov_b32_e32 v9, 1
	global_store_dwordx4 v[10:11], v[6:9], off offset:8
.LBB1_8:
	s_or_b64 exec, exec, s[16:17]
	s_lshl_b64 s[12:13], s[14:15], 12
	v_mov_b32_e32 v6, s13
	v_add_co_u32_e32 v2, vcc, s12, v2
	s_mov_b32 s12, 0
	v_addc_co_u32_e32 v3, vcc, v3, v6, vcc
	v_lshlrev_b32_e32 v36, 6, v37
	s_mov_b32 s14, s12
	s_mov_b32 s15, s12
	v_mov_b32_e32 v7, 0
	v_add_co_u32_e32 v12, vcc, v2, v36
	s_mov_b32 s13, s12
	v_pk_mov_b32 v[16:17], s[14:15], s[14:15] op_sel:[0,1]
	v_addc_co_u32_e32 v13, vcc, 0, v3, vcc
	v_mov_b32_e32 v6, 33
	v_mov_b32_e32 v8, 1
	;; [unrolled: 1-line block ×3, first 2 shown]
	v_readfirstlane_b32 s16, v2
	v_readfirstlane_b32 s17, v3
	v_pk_mov_b32 v[14:15], s[12:13], s[12:13] op_sel:[0,1]
	s_nop 3
	global_store_dwordx4 v36, v[6:9], s[16:17]
	global_store_dwordx4 v36, v[14:17], s[16:17] offset:16
	global_store_dwordx4 v36, v[14:17], s[16:17] offset:32
	global_store_dwordx4 v36, v[14:17], s[16:17] offset:48
	s_and_saveexec_b64 s[12:13], s[4:5]
	s_cbranch_execz .LBB1_16
; %bb.9:
	global_load_dwordx2 v[16:17], v7, s[10:11] offset:32 glc
	global_load_dwordx2 v[2:3], v7, s[10:11] offset:40
	v_mov_b32_e32 v14, s6
	v_mov_b32_e32 v15, s7
	s_waitcnt vmcnt(0)
	v_and_b32_e32 v2, s6, v2
	v_and_b32_e32 v3, s7, v3
	v_mul_lo_u32 v3, v3, 24
	v_mul_hi_u32 v6, v2, 24
	v_mul_lo_u32 v2, v2, 24
	v_add_u32_e32 v3, v6, v3
	v_add_co_u32_e32 v8, vcc, v0, v2
	v_addc_co_u32_e32 v9, vcc, v1, v3, vcc
	global_store_dwordx2 v[8:9], v[16:17], off
	buffer_wbl2
	s_waitcnt vmcnt(0)
	global_atomic_cmpswap_x2 v[2:3], v7, v[14:17], s[10:11] offset:32 glc
	s_waitcnt vmcnt(0)
	v_cmp_ne_u64_e32 vcc, v[2:3], v[16:17]
	s_and_saveexec_b64 s[14:15], vcc
	s_cbranch_execz .LBB1_12
; %bb.10:
	s_mov_b64 s[16:17], 0
.LBB1_11:                               ; =>This Inner Loop Header: Depth=1
	s_sleep 1
	global_store_dwordx2 v[8:9], v[2:3], off
	v_mov_b32_e32 v0, s6
	v_mov_b32_e32 v1, s7
	buffer_wbl2
	s_waitcnt vmcnt(0)
	global_atomic_cmpswap_x2 v[0:1], v7, v[0:3], s[10:11] offset:32 glc
	s_waitcnt vmcnt(0)
	v_cmp_eq_u64_e32 vcc, v[0:1], v[2:3]
	s_or_b64 s[16:17], vcc, s[16:17]
	v_pk_mov_b32 v[2:3], v[0:1], v[0:1] op_sel:[0,1]
	s_andn2_b64 exec, exec, s[16:17]
	s_cbranch_execnz .LBB1_11
.LBB1_12:
	s_or_b64 exec, exec, s[14:15]
	v_mov_b32_e32 v3, 0
	global_load_dwordx2 v[0:1], v3, s[10:11] offset:16
	s_mov_b64 s[14:15], exec
	v_mbcnt_lo_u32_b32 v2, s14, 0
	v_mbcnt_hi_u32_b32 v2, s15, v2
	v_cmp_eq_u32_e32 vcc, 0, v2
	s_and_saveexec_b64 s[16:17], vcc
	s_cbranch_execz .LBB1_14
; %bb.13:
	s_bcnt1_i32_b64 s14, s[14:15]
	v_mov_b32_e32 v2, s14
	buffer_wbl2
	s_waitcnt vmcnt(0)
	global_atomic_add_x2 v[0:1], v[2:3], off offset:8
.LBB1_14:
	s_or_b64 exec, exec, s[16:17]
	s_waitcnt vmcnt(0)
	global_load_dwordx2 v[2:3], v[0:1], off offset:16
	s_waitcnt vmcnt(0)
	v_cmp_eq_u64_e32 vcc, 0, v[2:3]
	s_cbranch_vccnz .LBB1_16
; %bb.15:
	global_load_dword v0, v[0:1], off offset:24
	v_mov_b32_e32 v1, 0
	buffer_wbl2
	s_waitcnt vmcnt(0)
	global_store_dwordx2 v[2:3], v[0:1], off
	v_and_b32_e32 v0, 0xffffff, v0
	v_readfirstlane_b32 m0, v0
	s_sendmsg sendmsg(MSG_INTERRUPT)
.LBB1_16:
	s_or_b64 exec, exec, s[12:13]
	s_branch .LBB1_20
.LBB1_17:                               ;   in Loop: Header=BB1_20 Depth=1
	s_or_b64 exec, exec, s[12:13]
	v_readfirstlane_b32 s12, v0
	s_cmp_eq_u32 s12, 0
	s_cbranch_scc1 .LBB1_19
; %bb.18:                               ;   in Loop: Header=BB1_20 Depth=1
	s_sleep 1
	s_cbranch_execnz .LBB1_20
	s_branch .LBB1_22
.LBB1_19:
	s_branch .LBB1_22
.LBB1_20:                               ; =>This Inner Loop Header: Depth=1
	v_mov_b32_e32 v0, 1
	s_and_saveexec_b64 s[12:13], s[4:5]
	s_cbranch_execz .LBB1_17
; %bb.21:                               ;   in Loop: Header=BB1_20 Depth=1
	global_load_dword v0, v[10:11], off offset:20 glc
	s_waitcnt vmcnt(0)
	buffer_invl2
	buffer_wbinvl1_vol
	v_and_b32_e32 v0, 1, v0
	s_branch .LBB1_17
.LBB1_22:
	global_load_dwordx2 v[6:7], v[12:13], off
	s_and_saveexec_b64 s[12:13], s[4:5]
	s_cbranch_execz .LBB1_25
; %bb.23:
	v_mov_b32_e32 v10, 0
	global_load_dwordx2 v[8:9], v10, s[10:11] offset:40
	global_load_dwordx2 v[12:13], v10, s[10:11] offset:24 glc
	global_load_dwordx2 v[14:15], v10, s[10:11]
	v_mov_b32_e32 v1, s7
	s_mov_b64 s[4:5], 0
	s_waitcnt vmcnt(2)
	v_add_co_u32_e32 v3, vcc, 1, v8
	v_addc_co_u32_e32 v11, vcc, 0, v9, vcc
	v_add_co_u32_e32 v0, vcc, s6, v3
	v_addc_co_u32_e32 v1, vcc, v11, v1, vcc
	v_cmp_eq_u64_e32 vcc, 0, v[0:1]
	v_cndmask_b32_e32 v1, v1, v11, vcc
	v_cndmask_b32_e32 v0, v0, v3, vcc
	v_and_b32_e32 v3, v1, v9
	v_and_b32_e32 v8, v0, v8
	v_mul_lo_u32 v3, v3, 24
	v_mul_hi_u32 v9, v8, 24
	v_mul_lo_u32 v8, v8, 24
	v_add_u32_e32 v3, v9, v3
	s_waitcnt vmcnt(0)
	v_add_co_u32_e32 v8, vcc, v14, v8
	v_addc_co_u32_e32 v9, vcc, v15, v3, vcc
	v_mov_b32_e32 v2, v12
	global_store_dwordx2 v[8:9], v[12:13], off
	v_mov_b32_e32 v3, v13
	buffer_wbl2
	s_waitcnt vmcnt(0)
	global_atomic_cmpswap_x2 v[2:3], v10, v[0:3], s[10:11] offset:24 glc
	s_waitcnt vmcnt(0)
	v_cmp_ne_u64_e32 vcc, v[2:3], v[12:13]
	s_and_b64 exec, exec, vcc
	s_cbranch_execz .LBB1_25
.LBB1_24:                               ; =>This Inner Loop Header: Depth=1
	s_sleep 1
	global_store_dwordx2 v[8:9], v[2:3], off
	buffer_wbl2
	s_waitcnt vmcnt(0)
	global_atomic_cmpswap_x2 v[12:13], v10, v[0:3], s[10:11] offset:24 glc
	s_waitcnt vmcnt(0)
	v_cmp_eq_u64_e32 vcc, v[12:13], v[2:3]
	s_or_b64 s[4:5], vcc, s[4:5]
	v_pk_mov_b32 v[2:3], v[12:13], v[12:13] op_sel:[0,1]
	s_andn2_b64 exec, exec, s[4:5]
	s_cbranch_execnz .LBB1_24
.LBB1_25:
	s_or_b64 exec, exec, s[12:13]
	v_lshrrev_b32_e64 v1, 6, s33
	s_mov_b64 s[4:5], 0
.LBB1_26:                               ; =>This Inner Loop Header: Depth=1
	buffer_load_ubyte v2, v1, s[0:3], 0 offen
	v_add_u32_e32 v0, 1, v1
	v_mov_b32_e32 v1, v0
	s_waitcnt vmcnt(0)
	v_cmp_eq_u16_e32 vcc, 0, v2
	s_or_b64 s[4:5], vcc, s[4:5]
	s_andn2_b64 exec, exec, s[4:5]
	s_cbranch_execnz .LBB1_26
; %bb.27:
	s_or_b64 exec, exec, s[4:5]
	v_lshrrev_b32_e64 v31, 6, s33
	v_cmp_ne_u32_e32 vcc, -1, v31
	s_cbranch_vccz .LBB1_112
; %bb.28:
	v_lshrrev_b32_e64 v1, 6, s33
	v_subrev_u32_e32 v28, v1, v0
	v_ashrrev_i32_e32 v29, 31, v28
	v_and_b32_e32 v30, 2, v6
	v_mov_b32_e32 v33, 0
	v_and_b32_e32 v0, -3, v6
	v_mov_b32_e32 v1, v7
	s_mov_b64 s[12:13], 0
	s_mov_b32 s20, 0
	s_movk_i32 s21, 0xff1f
	v_mov_b32_e32 v10, 2
	v_mov_b32_e32 v11, 1
	s_branch .LBB1_30
.LBB1_29:                               ;   in Loop: Header=BB1_30 Depth=1
	s_or_b64 exec, exec, s[6:7]
	v_sub_co_u32_e32 v28, vcc, v28, v38
	v_subb_co_u32_e32 v29, vcc, v29, v39, vcc
	v_cmp_eq_u64_e32 vcc, 0, v[28:29]
	s_or_b64 s[12:13], vcc, s[12:13]
	v_add_u32_e32 v31, v31, v38
	s_andn2_b64 exec, exec, s[12:13]
	s_cbranch_execz .LBB1_113
.LBB1_30:                               ; =>This Loop Header: Depth=1
                                        ;     Child Loop BB1_33 Depth 2
                                        ;     Child Loop BB1_41 Depth 2
	;; [unrolled: 1-line block ×11, first 2 shown]
	v_cmp_gt_u64_e32 vcc, 56, v[28:29]
	v_cndmask_b32_e32 v38, 56, v28, vcc
	v_cmp_gt_u64_e64 s[4:5], 8, v[28:29]
                                        ; implicit-def: $vgpr2_vgpr3
                                        ; implicit-def: $sgpr14
	s_and_saveexec_b64 s[6:7], s[4:5]
	s_xor_b64 s[6:7], exec, s[6:7]
	s_cbranch_execz .LBB1_36
; %bb.31:                               ;   in Loop: Header=BB1_30 Depth=1
	s_mov_b64 s[16:17], 0
	v_cmp_ne_u64_e64 s[4:5], 0, v[28:29]
	s_waitcnt vmcnt(0)
	v_pk_mov_b32 v[2:3], 0, 0
	s_and_saveexec_b64 s[14:15], s[4:5]
	s_cbranch_execz .LBB1_35
; %bb.32:                               ;   in Loop: Header=BB1_30 Depth=1
	s_mov_b32 s22, 0
	v_pk_mov_b32 v[2:3], 0, 0
	s_mov_b64 s[18:19], 0
.LBB1_33:                               ;   Parent Loop BB1_30 Depth=1
                                        ; =>  This Inner Loop Header: Depth=2
	v_add_u32_e32 v8, s22, v31
	buffer_load_ubyte v8, v8, s[0:3], 0 offen
	v_mov_b32_e32 v9, s20
	s_add_i32 s22, s22, 1
	v_cmp_eq_u32_e64 s[4:5], s22, v38
	s_waitcnt vmcnt(0)
	v_and_b32_e32 v8, 0xffff, v8
	v_lshlrev_b64 v[8:9], s18, v[8:9]
	s_add_u32 s18, s18, 8
	s_addc_u32 s19, s19, 0
	v_or_b32_e32 v3, v9, v3
	s_or_b64 s[16:17], s[4:5], s[16:17]
	v_or_b32_e32 v2, v8, v2
	s_andn2_b64 exec, exec, s[16:17]
	s_cbranch_execnz .LBB1_33
; %bb.34:                               ;   in Loop: Header=BB1_30 Depth=1
	s_or_b64 exec, exec, s[16:17]
.LBB1_35:                               ;   in Loop: Header=BB1_30 Depth=1
	s_or_b64 exec, exec, s[14:15]
	s_mov_b32 s14, 0
.LBB1_36:                               ;   in Loop: Header=BB1_30 Depth=1
	s_or_saveexec_b64 s[4:5], s[6:7]
	v_mov_b32_e32 v9, s14
	v_mov_b32_e32 v8, v31
	s_xor_b64 exec, exec, s[4:5]
	s_cbranch_execz .LBB1_38
; %bb.37:                               ;   in Loop: Header=BB1_30 Depth=1
	buffer_load_dword v2, v31, s[0:3], 0 offen offset:4
	buffer_load_dword v3, v31, s[0:3], 0 offen
	v_add_u32_e32 v9, -8, v38
	s_waitcnt vmcnt(1)
	v_and_b32_e32 v8, 0xff, v2
	v_and_b32_e32 v12, 0xff00, v2
	s_waitcnt vmcnt(0)
	v_or3_b32 v3, v3, 0, 0
	v_and_b32_e32 v13, 0xff0000, v2
	v_and_b32_e32 v14, 0xff000000, v2
	v_or3_b32 v8, 0, v8, v12
	v_or3_b32 v2, v3, 0, 0
	;; [unrolled: 1-line block ×3, first 2 shown]
	v_add_u32_e32 v8, 8, v31
.LBB1_38:                               ;   in Loop: Header=BB1_30 Depth=1
	s_or_b64 exec, exec, s[4:5]
	v_cmp_gt_u32_e64 s[4:5], 8, v9
                                        ; implicit-def: $vgpr12_vgpr13
                                        ; implicit-def: $sgpr14
	s_and_saveexec_b64 s[6:7], s[4:5]
	s_xor_b64 s[6:7], exec, s[6:7]
	s_cbranch_execz .LBB1_44
; %bb.39:                               ;   in Loop: Header=BB1_30 Depth=1
	v_cmp_ne_u32_e64 s[4:5], 0, v9
	v_pk_mov_b32 v[12:13], 0, 0
	s_and_saveexec_b64 s[14:15], s[4:5]
	s_cbranch_execz .LBB1_43
; %bb.40:                               ;   in Loop: Header=BB1_30 Depth=1
	s_mov_b32 s22, 0
	s_mov_b64 s[16:17], 0
	v_pk_mov_b32 v[12:13], 0, 0
	s_mov_b64 s[18:19], 0
.LBB1_41:                               ;   Parent Loop BB1_30 Depth=1
                                        ; =>  This Inner Loop Header: Depth=2
	v_add_u32_e32 v14, s22, v8
	buffer_load_ubyte v14, v14, s[0:3], 0 offen
	v_mov_b32_e32 v15, s20
	s_add_i32 s22, s22, 1
	v_cmp_eq_u32_e64 s[4:5], s22, v9
	s_waitcnt vmcnt(0)
	v_and_b32_e32 v14, 0xffff, v14
	v_lshlrev_b64 v[14:15], s18, v[14:15]
	s_add_u32 s18, s18, 8
	s_addc_u32 s19, s19, 0
	v_or_b32_e32 v13, v15, v13
	s_or_b64 s[16:17], s[4:5], s[16:17]
	v_or_b32_e32 v12, v14, v12
	s_andn2_b64 exec, exec, s[16:17]
	s_cbranch_execnz .LBB1_41
; %bb.42:                               ;   in Loop: Header=BB1_30 Depth=1
	s_or_b64 exec, exec, s[16:17]
.LBB1_43:                               ;   in Loop: Header=BB1_30 Depth=1
	s_or_b64 exec, exec, s[14:15]
	s_mov_b32 s14, 0
                                        ; implicit-def: $vgpr9
.LBB1_44:                               ;   in Loop: Header=BB1_30 Depth=1
	s_or_saveexec_b64 s[4:5], s[6:7]
	v_mov_b32_e32 v16, s14
	s_xor_b64 exec, exec, s[4:5]
	s_cbranch_execz .LBB1_46
; %bb.45:                               ;   in Loop: Header=BB1_30 Depth=1
	buffer_load_dword v12, v8, s[0:3], 0 offen offset:4
	buffer_load_dword v13, v8, s[0:3], 0 offen
	v_add_u32_e32 v16, -8, v9
	v_add_u32_e32 v8, 8, v8
	s_waitcnt vmcnt(1)
	v_and_b32_e32 v9, 0xff, v12
	v_and_b32_e32 v14, 0xff00, v12
	s_waitcnt vmcnt(0)
	v_or3_b32 v13, v13, 0, 0
	v_and_b32_e32 v15, 0xff0000, v12
	v_and_b32_e32 v17, 0xff000000, v12
	v_or3_b32 v9, 0, v9, v14
	v_or3_b32 v12, v13, 0, 0
	;; [unrolled: 1-line block ×3, first 2 shown]
.LBB1_46:                               ;   in Loop: Header=BB1_30 Depth=1
	s_or_b64 exec, exec, s[4:5]
	v_cmp_gt_u32_e64 s[4:5], 8, v16
                                        ; implicit-def: $sgpr14
	s_and_saveexec_b64 s[6:7], s[4:5]
	s_xor_b64 s[6:7], exec, s[6:7]
	s_cbranch_execz .LBB1_52
; %bb.47:                               ;   in Loop: Header=BB1_30 Depth=1
	v_cmp_ne_u32_e64 s[4:5], 0, v16
	v_pk_mov_b32 v[14:15], 0, 0
	s_and_saveexec_b64 s[14:15], s[4:5]
	s_cbranch_execz .LBB1_51
; %bb.48:                               ;   in Loop: Header=BB1_30 Depth=1
	s_mov_b32 s22, 0
	s_mov_b64 s[16:17], 0
	v_pk_mov_b32 v[14:15], 0, 0
	s_mov_b64 s[18:19], 0
.LBB1_49:                               ;   Parent Loop BB1_30 Depth=1
                                        ; =>  This Inner Loop Header: Depth=2
	v_add_u32_e32 v9, s22, v8
	buffer_load_ubyte v9, v9, s[0:3], 0 offen
	v_mov_b32_e32 v19, s20
	s_add_i32 s22, s22, 1
	v_cmp_eq_u32_e64 s[4:5], s22, v16
	s_waitcnt vmcnt(0)
	v_and_b32_e32 v18, 0xffff, v9
	v_lshlrev_b64 v[18:19], s18, v[18:19]
	s_add_u32 s18, s18, 8
	s_addc_u32 s19, s19, 0
	v_or_b32_e32 v15, v19, v15
	s_or_b64 s[16:17], s[4:5], s[16:17]
	v_or_b32_e32 v14, v18, v14
	s_andn2_b64 exec, exec, s[16:17]
	s_cbranch_execnz .LBB1_49
; %bb.50:                               ;   in Loop: Header=BB1_30 Depth=1
	s_or_b64 exec, exec, s[16:17]
.LBB1_51:                               ;   in Loop: Header=BB1_30 Depth=1
	s_or_b64 exec, exec, s[14:15]
	s_mov_b32 s14, 0
                                        ; implicit-def: $vgpr16
.LBB1_52:                               ;   in Loop: Header=BB1_30 Depth=1
	s_or_saveexec_b64 s[4:5], s[6:7]
	v_mov_b32_e32 v9, s14
	s_xor_b64 exec, exec, s[4:5]
	s_cbranch_execz .LBB1_54
; %bb.53:                               ;   in Loop: Header=BB1_30 Depth=1
	buffer_load_dword v14, v8, s[0:3], 0 offen offset:4
	buffer_load_dword v15, v8, s[0:3], 0 offen
	v_add_u32_e32 v9, -8, v16
	v_add_u32_e32 v8, 8, v8
	s_waitcnt vmcnt(1)
	v_and_b32_e32 v16, 0xff, v14
	v_and_b32_e32 v17, 0xff00, v14
	s_waitcnt vmcnt(0)
	v_or3_b32 v15, v15, 0, 0
	v_and_b32_e32 v18, 0xff0000, v14
	v_and_b32_e32 v19, 0xff000000, v14
	v_or3_b32 v16, 0, v16, v17
	v_or3_b32 v14, v15, 0, 0
	;; [unrolled: 1-line block ×3, first 2 shown]
.LBB1_54:                               ;   in Loop: Header=BB1_30 Depth=1
	s_or_b64 exec, exec, s[4:5]
	v_cmp_gt_u32_e64 s[4:5], 8, v9
                                        ; implicit-def: $vgpr16_vgpr17
                                        ; implicit-def: $sgpr14
	s_and_saveexec_b64 s[6:7], s[4:5]
	s_xor_b64 s[6:7], exec, s[6:7]
	s_cbranch_execz .LBB1_60
; %bb.55:                               ;   in Loop: Header=BB1_30 Depth=1
	v_cmp_ne_u32_e64 s[4:5], 0, v9
	v_pk_mov_b32 v[16:17], 0, 0
	s_and_saveexec_b64 s[14:15], s[4:5]
	s_cbranch_execz .LBB1_59
; %bb.56:                               ;   in Loop: Header=BB1_30 Depth=1
	s_mov_b32 s22, 0
	s_mov_b64 s[16:17], 0
	v_pk_mov_b32 v[16:17], 0, 0
	s_mov_b64 s[18:19], 0
.LBB1_57:                               ;   Parent Loop BB1_30 Depth=1
                                        ; =>  This Inner Loop Header: Depth=2
	v_add_u32_e32 v18, s22, v8
	buffer_load_ubyte v18, v18, s[0:3], 0 offen
	v_mov_b32_e32 v19, s20
	s_add_i32 s22, s22, 1
	v_cmp_eq_u32_e64 s[4:5], s22, v9
	s_waitcnt vmcnt(0)
	v_and_b32_e32 v18, 0xffff, v18
	v_lshlrev_b64 v[18:19], s18, v[18:19]
	s_add_u32 s18, s18, 8
	s_addc_u32 s19, s19, 0
	v_or_b32_e32 v17, v19, v17
	s_or_b64 s[16:17], s[4:5], s[16:17]
	v_or_b32_e32 v16, v18, v16
	s_andn2_b64 exec, exec, s[16:17]
	s_cbranch_execnz .LBB1_57
; %bb.58:                               ;   in Loop: Header=BB1_30 Depth=1
	s_or_b64 exec, exec, s[16:17]
.LBB1_59:                               ;   in Loop: Header=BB1_30 Depth=1
	s_or_b64 exec, exec, s[14:15]
	s_mov_b32 s14, 0
                                        ; implicit-def: $vgpr9
.LBB1_60:                               ;   in Loop: Header=BB1_30 Depth=1
	s_or_saveexec_b64 s[4:5], s[6:7]
	v_mov_b32_e32 v20, s14
	s_xor_b64 exec, exec, s[4:5]
	s_cbranch_execz .LBB1_62
; %bb.61:                               ;   in Loop: Header=BB1_30 Depth=1
	buffer_load_dword v16, v8, s[0:3], 0 offen offset:4
	buffer_load_dword v17, v8, s[0:3], 0 offen
	v_add_u32_e32 v20, -8, v9
	v_add_u32_e32 v8, 8, v8
	s_waitcnt vmcnt(1)
	v_and_b32_e32 v9, 0xff, v16
	v_and_b32_e32 v18, 0xff00, v16
	s_waitcnt vmcnt(0)
	v_or3_b32 v17, v17, 0, 0
	v_and_b32_e32 v19, 0xff0000, v16
	v_and_b32_e32 v21, 0xff000000, v16
	v_or3_b32 v9, 0, v9, v18
	v_or3_b32 v16, v17, 0, 0
	v_or3_b32 v17, v9, v19, v21
.LBB1_62:                               ;   in Loop: Header=BB1_30 Depth=1
	s_or_b64 exec, exec, s[4:5]
	v_cmp_gt_u32_e64 s[4:5], 8, v20
                                        ; implicit-def: $sgpr14
	s_and_saveexec_b64 s[6:7], s[4:5]
	s_xor_b64 s[6:7], exec, s[6:7]
	s_cbranch_execz .LBB1_68
; %bb.63:                               ;   in Loop: Header=BB1_30 Depth=1
	v_cmp_ne_u32_e64 s[4:5], 0, v20
	v_pk_mov_b32 v[18:19], 0, 0
	s_and_saveexec_b64 s[14:15], s[4:5]
	s_cbranch_execz .LBB1_67
; %bb.64:                               ;   in Loop: Header=BB1_30 Depth=1
	s_mov_b32 s22, 0
	s_mov_b64 s[16:17], 0
	v_pk_mov_b32 v[18:19], 0, 0
	s_mov_b64 s[18:19], 0
.LBB1_65:                               ;   Parent Loop BB1_30 Depth=1
                                        ; =>  This Inner Loop Header: Depth=2
	v_add_u32_e32 v9, s22, v8
	buffer_load_ubyte v9, v9, s[0:3], 0 offen
	v_mov_b32_e32 v23, s20
	s_add_i32 s22, s22, 1
	v_cmp_eq_u32_e64 s[4:5], s22, v20
	s_waitcnt vmcnt(0)
	v_and_b32_e32 v22, 0xffff, v9
	v_lshlrev_b64 v[22:23], s18, v[22:23]
	s_add_u32 s18, s18, 8
	s_addc_u32 s19, s19, 0
	v_or_b32_e32 v19, v23, v19
	s_or_b64 s[16:17], s[4:5], s[16:17]
	v_or_b32_e32 v18, v22, v18
	s_andn2_b64 exec, exec, s[16:17]
	s_cbranch_execnz .LBB1_65
; %bb.66:                               ;   in Loop: Header=BB1_30 Depth=1
	s_or_b64 exec, exec, s[16:17]
.LBB1_67:                               ;   in Loop: Header=BB1_30 Depth=1
	s_or_b64 exec, exec, s[14:15]
	s_mov_b32 s14, 0
                                        ; implicit-def: $vgpr20
.LBB1_68:                               ;   in Loop: Header=BB1_30 Depth=1
	s_or_saveexec_b64 s[4:5], s[6:7]
	v_mov_b32_e32 v9, s14
	s_xor_b64 exec, exec, s[4:5]
	s_cbranch_execz .LBB1_70
; %bb.69:                               ;   in Loop: Header=BB1_30 Depth=1
	buffer_load_dword v18, v8, s[0:3], 0 offen offset:4
	buffer_load_dword v19, v8, s[0:3], 0 offen
	v_add_u32_e32 v9, -8, v20
	v_add_u32_e32 v8, 8, v8
	s_waitcnt vmcnt(1)
	v_and_b32_e32 v20, 0xff, v18
	v_and_b32_e32 v21, 0xff00, v18
	s_waitcnt vmcnt(0)
	v_or3_b32 v19, v19, 0, 0
	v_and_b32_e32 v22, 0xff0000, v18
	v_and_b32_e32 v23, 0xff000000, v18
	v_or3_b32 v20, 0, v20, v21
	v_or3_b32 v18, v19, 0, 0
	v_or3_b32 v19, v20, v22, v23
.LBB1_70:                               ;   in Loop: Header=BB1_30 Depth=1
	s_or_b64 exec, exec, s[4:5]
	v_cmp_gt_u32_e64 s[4:5], 8, v9
                                        ; implicit-def: $vgpr20_vgpr21
                                        ; implicit-def: $sgpr14
	s_and_saveexec_b64 s[6:7], s[4:5]
	s_xor_b64 s[6:7], exec, s[6:7]
	s_cbranch_execz .LBB1_76
; %bb.71:                               ;   in Loop: Header=BB1_30 Depth=1
	v_cmp_ne_u32_e64 s[4:5], 0, v9
	v_pk_mov_b32 v[20:21], 0, 0
	s_and_saveexec_b64 s[14:15], s[4:5]
	s_cbranch_execz .LBB1_75
; %bb.72:                               ;   in Loop: Header=BB1_30 Depth=1
	s_mov_b32 s22, 0
	s_mov_b64 s[16:17], 0
	v_pk_mov_b32 v[20:21], 0, 0
	s_mov_b64 s[18:19], 0
.LBB1_73:                               ;   Parent Loop BB1_30 Depth=1
                                        ; =>  This Inner Loop Header: Depth=2
	v_add_u32_e32 v22, s22, v8
	buffer_load_ubyte v22, v22, s[0:3], 0 offen
	v_mov_b32_e32 v23, s20
	s_add_i32 s22, s22, 1
	v_cmp_eq_u32_e64 s[4:5], s22, v9
	s_waitcnt vmcnt(0)
	v_and_b32_e32 v22, 0xffff, v22
	v_lshlrev_b64 v[22:23], s18, v[22:23]
	s_add_u32 s18, s18, 8
	s_addc_u32 s19, s19, 0
	v_or_b32_e32 v21, v23, v21
	s_or_b64 s[16:17], s[4:5], s[16:17]
	v_or_b32_e32 v20, v22, v20
	s_andn2_b64 exec, exec, s[16:17]
	s_cbranch_execnz .LBB1_73
; %bb.74:                               ;   in Loop: Header=BB1_30 Depth=1
	s_or_b64 exec, exec, s[16:17]
.LBB1_75:                               ;   in Loop: Header=BB1_30 Depth=1
	s_or_b64 exec, exec, s[14:15]
	s_mov_b32 s14, 0
                                        ; implicit-def: $vgpr9
.LBB1_76:                               ;   in Loop: Header=BB1_30 Depth=1
	s_or_saveexec_b64 s[4:5], s[6:7]
	v_mov_b32_e32 v24, s14
	s_xor_b64 exec, exec, s[4:5]
	s_cbranch_execz .LBB1_78
; %bb.77:                               ;   in Loop: Header=BB1_30 Depth=1
	buffer_load_dword v20, v8, s[0:3], 0 offen offset:4
	buffer_load_dword v21, v8, s[0:3], 0 offen
	v_add_u32_e32 v24, -8, v9
	v_add_u32_e32 v8, 8, v8
	s_waitcnt vmcnt(1)
	v_and_b32_e32 v9, 0xff, v20
	v_and_b32_e32 v22, 0xff00, v20
	s_waitcnt vmcnt(0)
	v_or3_b32 v21, v21, 0, 0
	v_and_b32_e32 v23, 0xff0000, v20
	v_and_b32_e32 v25, 0xff000000, v20
	v_or3_b32 v9, 0, v9, v22
	v_or3_b32 v20, v21, 0, 0
	;; [unrolled: 1-line block ×3, first 2 shown]
.LBB1_78:                               ;   in Loop: Header=BB1_30 Depth=1
	s_or_b64 exec, exec, s[4:5]
	v_cmp_gt_u32_e64 s[4:5], 8, v24
	s_and_saveexec_b64 s[6:7], s[4:5]
	s_xor_b64 s[6:7], exec, s[6:7]
	s_cbranch_execz .LBB1_84
; %bb.79:                               ;   in Loop: Header=BB1_30 Depth=1
	v_cmp_ne_u32_e64 s[4:5], 0, v24
	v_pk_mov_b32 v[22:23], 0, 0
	s_and_saveexec_b64 s[14:15], s[4:5]
	s_cbranch_execz .LBB1_83
; %bb.80:                               ;   in Loop: Header=BB1_30 Depth=1
	s_mov_b64 s[16:17], 0
	v_pk_mov_b32 v[22:23], 0, 0
	s_mov_b64 s[18:19], 0
.LBB1_81:                               ;   Parent Loop BB1_30 Depth=1
                                        ; =>  This Inner Loop Header: Depth=2
	buffer_load_ubyte v9, v8, s[0:3], 0 offen
	v_mov_b32_e32 v27, s20
	v_add_u32_e32 v24, -1, v24
	v_cmp_eq_u32_e64 s[4:5], 0, v24
	v_add_u32_e32 v8, 1, v8
	s_waitcnt vmcnt(0)
	v_and_b32_e32 v26, 0xffff, v9
	v_lshlrev_b64 v[26:27], s18, v[26:27]
	s_add_u32 s18, s18, 8
	s_addc_u32 s19, s19, 0
	v_or_b32_e32 v23, v27, v23
	s_or_b64 s[16:17], s[4:5], s[16:17]
	v_or_b32_e32 v22, v26, v22
	s_andn2_b64 exec, exec, s[16:17]
	s_cbranch_execnz .LBB1_81
; %bb.82:                               ;   in Loop: Header=BB1_30 Depth=1
	s_or_b64 exec, exec, s[16:17]
.LBB1_83:                               ;   in Loop: Header=BB1_30 Depth=1
	s_or_b64 exec, exec, s[14:15]
                                        ; implicit-def: $vgpr8
.LBB1_84:                               ;   in Loop: Header=BB1_30 Depth=1
	s_andn2_saveexec_b64 s[4:5], s[6:7]
	s_cbranch_execz .LBB1_86
; %bb.85:                               ;   in Loop: Header=BB1_30 Depth=1
	buffer_load_dword v9, v8, s[0:3], 0 offen offset:4
	buffer_load_dword v22, v8, s[0:3], 0 offen
	s_waitcnt vmcnt(1)
	v_and_b32_e32 v8, 0xff, v9
	v_and_b32_e32 v23, 0xff00, v9
	s_waitcnt vmcnt(0)
	v_or3_b32 v22, v22, 0, 0
	v_and_b32_e32 v24, 0xff0000, v9
	v_and_b32_e32 v9, 0xff000000, v9
	v_or3_b32 v8, 0, v8, v23
	v_or3_b32 v23, v8, v24, v9
	;; [unrolled: 1-line block ×3, first 2 shown]
.LBB1_86:                               ;   in Loop: Header=BB1_30 Depth=1
	s_or_b64 exec, exec, s[4:5]
	v_readfirstlane_b32 s4, v37
	v_cmp_eq_u32_e64 s[4:5], s4, v37
	v_pk_mov_b32 v[8:9], 0, 0
	s_and_saveexec_b64 s[14:15], s[4:5]
	s_cbranch_execz .LBB1_92
; %bb.87:                               ;   in Loop: Header=BB1_30 Depth=1
	global_load_dwordx2 v[26:27], v33, s[10:11] offset:24 glc
	s_waitcnt vmcnt(0)
	buffer_invl2
	buffer_wbinvl1_vol
	global_load_dwordx2 v[8:9], v33, s[10:11] offset:40
	global_load_dwordx2 v[24:25], v33, s[10:11]
	s_waitcnt vmcnt(1)
	v_and_b32_e32 v8, v8, v26
	v_and_b32_e32 v9, v9, v27
	v_mul_lo_u32 v9, v9, 24
	v_mul_hi_u32 v32, v8, 24
	v_mul_lo_u32 v8, v8, 24
	v_add_u32_e32 v9, v32, v9
	s_waitcnt vmcnt(0)
	v_add_co_u32_e64 v8, s[6:7], v24, v8
	v_addc_co_u32_e64 v9, s[6:7], v25, v9, s[6:7]
	global_load_dwordx2 v[24:25], v[8:9], off glc
	s_waitcnt vmcnt(0)
	global_atomic_cmpswap_x2 v[8:9], v33, v[24:27], s[10:11] offset:24 glc
	s_waitcnt vmcnt(0)
	buffer_invl2
	buffer_wbinvl1_vol
	v_cmp_ne_u64_e64 s[6:7], v[8:9], v[26:27]
	s_and_saveexec_b64 s[16:17], s[6:7]
	s_cbranch_execz .LBB1_91
; %bb.88:                               ;   in Loop: Header=BB1_30 Depth=1
	s_mov_b64 s[18:19], 0
.LBB1_89:                               ;   Parent Loop BB1_30 Depth=1
                                        ; =>  This Inner Loop Header: Depth=2
	s_sleep 1
	global_load_dwordx2 v[24:25], v33, s[10:11] offset:40
	global_load_dwordx2 v[34:35], v33, s[10:11]
	v_pk_mov_b32 v[26:27], v[8:9], v[8:9] op_sel:[0,1]
	s_waitcnt vmcnt(1)
	v_and_b32_e32 v8, v24, v26
	s_waitcnt vmcnt(0)
	v_mad_u64_u32 v[8:9], s[6:7], v8, 24, v[34:35]
	v_and_b32_e32 v25, v25, v27
	v_mov_b32_e32 v24, v9
	v_mad_u64_u32 v[24:25], s[6:7], v25, 24, v[24:25]
	v_mov_b32_e32 v9, v24
	global_load_dwordx2 v[24:25], v[8:9], off glc
	s_waitcnt vmcnt(0)
	global_atomic_cmpswap_x2 v[8:9], v33, v[24:27], s[10:11] offset:24 glc
	s_waitcnt vmcnt(0)
	buffer_invl2
	buffer_wbinvl1_vol
	v_cmp_eq_u64_e64 s[6:7], v[8:9], v[26:27]
	s_or_b64 s[18:19], s[6:7], s[18:19]
	s_andn2_b64 exec, exec, s[18:19]
	s_cbranch_execnz .LBB1_89
; %bb.90:                               ;   in Loop: Header=BB1_30 Depth=1
	s_or_b64 exec, exec, s[18:19]
.LBB1_91:                               ;   in Loop: Header=BB1_30 Depth=1
	s_or_b64 exec, exec, s[16:17]
.LBB1_92:                               ;   in Loop: Header=BB1_30 Depth=1
	s_or_b64 exec, exec, s[14:15]
	global_load_dwordx2 v[34:35], v33, s[10:11] offset:40
	global_load_dwordx4 v[24:27], v33, s[10:11]
	v_readfirstlane_b32 s14, v8
	v_readfirstlane_b32 s15, v9
	s_mov_b64 s[16:17], exec
	s_waitcnt vmcnt(1)
	v_readfirstlane_b32 s6, v34
	v_readfirstlane_b32 s7, v35
	s_and_b64 s[18:19], s[14:15], s[6:7]
	s_mul_i32 s6, s19, 24
	s_mul_hi_u32 s7, s18, 24
	s_mul_i32 s22, s18, 24
	s_add_i32 s6, s7, s6
	v_mov_b32_e32 v8, s6
	s_waitcnt vmcnt(0)
	v_add_co_u32_e64 v34, s[6:7], s22, v24
	v_addc_co_u32_e64 v35, s[6:7], v25, v8, s[6:7]
	s_and_saveexec_b64 s[6:7], s[4:5]
	s_cbranch_execz .LBB1_94
; %bb.93:                               ;   in Loop: Header=BB1_30 Depth=1
	v_pk_mov_b32 v[8:9], s[16:17], s[16:17] op_sel:[0,1]
	global_store_dwordx4 v[34:35], v[8:11], off offset:8
.LBB1_94:                               ;   in Loop: Header=BB1_30 Depth=1
	s_or_b64 exec, exec, s[6:7]
	s_lshl_b64 s[6:7], s[18:19], 12
	v_cndmask_b32_e32 v39, 0, v29, vcc
	v_mov_b32_e32 v9, s7
	v_add_co_u32_e32 v8, vcc, s6, v26
	v_addc_co_u32_e32 v9, vcc, v27, v9, vcc
	v_or_b32_e32 v26, 0, v1
	v_cmp_lt_u64_e32 vcc, 56, v[28:29]
	v_or_b32_e32 v27, v0, v30
	v_cndmask_b32_e32 v1, v26, v1, vcc
	v_lshl_add_u32 v26, v38, 2, 28
	v_cndmask_b32_e32 v0, v27, v0, vcc
	v_and_b32_e32 v26, 0x1e0, v26
	v_and_or_b32 v0, v0, s21, v26
	v_readfirstlane_b32 s6, v8
	v_readfirstlane_b32 s7, v9
	s_nop 4
	global_store_dwordx4 v36, v[0:3], s[6:7]
	global_store_dwordx4 v36, v[12:15], s[6:7] offset:16
	global_store_dwordx4 v36, v[16:19], s[6:7] offset:32
	;; [unrolled: 1-line block ×3, first 2 shown]
	s_and_saveexec_b64 s[6:7], s[4:5]
	s_cbranch_execz .LBB1_102
; %bb.95:                               ;   in Loop: Header=BB1_30 Depth=1
	global_load_dwordx2 v[16:17], v33, s[10:11] offset:32 glc
	global_load_dwordx2 v[0:1], v33, s[10:11] offset:40
	v_mov_b32_e32 v14, s14
	v_mov_b32_e32 v15, s15
	s_waitcnt vmcnt(0)
	v_readfirstlane_b32 s16, v0
	v_readfirstlane_b32 s17, v1
	s_and_b64 s[16:17], s[16:17], s[14:15]
	s_mul_i32 s17, s17, 24
	s_mul_hi_u32 s18, s16, 24
	s_mul_i32 s16, s16, 24
	s_add_i32 s17, s18, s17
	v_mov_b32_e32 v0, s17
	v_add_co_u32_e32 v12, vcc, s16, v24
	v_addc_co_u32_e32 v13, vcc, v25, v0, vcc
	global_store_dwordx2 v[12:13], v[16:17], off
	buffer_wbl2
	s_waitcnt vmcnt(0)
	global_atomic_cmpswap_x2 v[2:3], v33, v[14:17], s[10:11] offset:32 glc
	s_waitcnt vmcnt(0)
	v_cmp_ne_u64_e32 vcc, v[2:3], v[16:17]
	s_and_saveexec_b64 s[16:17], vcc
	s_cbranch_execz .LBB1_98
; %bb.96:                               ;   in Loop: Header=BB1_30 Depth=1
	s_mov_b64 s[18:19], 0
.LBB1_97:                               ;   Parent Loop BB1_30 Depth=1
                                        ; =>  This Inner Loop Header: Depth=2
	s_sleep 1
	global_store_dwordx2 v[12:13], v[2:3], off
	v_mov_b32_e32 v0, s14
	v_mov_b32_e32 v1, s15
	buffer_wbl2
	s_waitcnt vmcnt(0)
	global_atomic_cmpswap_x2 v[0:1], v33, v[0:3], s[10:11] offset:32 glc
	s_waitcnt vmcnt(0)
	v_cmp_eq_u64_e32 vcc, v[0:1], v[2:3]
	s_or_b64 s[18:19], vcc, s[18:19]
	v_pk_mov_b32 v[2:3], v[0:1], v[0:1] op_sel:[0,1]
	s_andn2_b64 exec, exec, s[18:19]
	s_cbranch_execnz .LBB1_97
.LBB1_98:                               ;   in Loop: Header=BB1_30 Depth=1
	s_or_b64 exec, exec, s[16:17]
	global_load_dwordx2 v[0:1], v33, s[10:11] offset:16
	s_mov_b64 s[18:19], exec
	v_mbcnt_lo_u32_b32 v2, s18, 0
	v_mbcnt_hi_u32_b32 v2, s19, v2
	v_cmp_eq_u32_e32 vcc, 0, v2
	s_and_saveexec_b64 s[16:17], vcc
	s_cbranch_execz .LBB1_100
; %bb.99:                               ;   in Loop: Header=BB1_30 Depth=1
	s_bcnt1_i32_b64 s18, s[18:19]
	v_mov_b32_e32 v32, s18
	buffer_wbl2
	s_waitcnt vmcnt(0)
	global_atomic_add_x2 v[0:1], v[32:33], off offset:8
.LBB1_100:                              ;   in Loop: Header=BB1_30 Depth=1
	s_or_b64 exec, exec, s[16:17]
	s_waitcnt vmcnt(0)
	global_load_dwordx2 v[2:3], v[0:1], off offset:16
	s_waitcnt vmcnt(0)
	v_cmp_eq_u64_e32 vcc, 0, v[2:3]
	s_cbranch_vccnz .LBB1_102
; %bb.101:                              ;   in Loop: Header=BB1_30 Depth=1
	global_load_dword v32, v[0:1], off offset:24
	s_waitcnt vmcnt(0)
	v_and_b32_e32 v0, 0xffffff, v32
	v_readfirstlane_b32 m0, v0
	buffer_wbl2
	global_store_dwordx2 v[2:3], v[32:33], off
	s_sendmsg sendmsg(MSG_INTERRUPT)
.LBB1_102:                              ;   in Loop: Header=BB1_30 Depth=1
	s_or_b64 exec, exec, s[6:7]
	v_add_co_u32_e32 v0, vcc, v8, v36
	v_addc_co_u32_e32 v1, vcc, 0, v9, vcc
	s_branch .LBB1_106
.LBB1_103:                              ;   in Loop: Header=BB1_106 Depth=2
	s_or_b64 exec, exec, s[6:7]
	v_readfirstlane_b32 s6, v2
	s_cmp_eq_u32 s6, 0
	s_cbranch_scc1 .LBB1_105
; %bb.104:                              ;   in Loop: Header=BB1_106 Depth=2
	s_sleep 1
	s_cbranch_execnz .LBB1_106
	s_branch .LBB1_108
.LBB1_105:                              ;   in Loop: Header=BB1_30 Depth=1
	s_branch .LBB1_108
.LBB1_106:                              ;   Parent Loop BB1_30 Depth=1
                                        ; =>  This Inner Loop Header: Depth=2
	v_mov_b32_e32 v2, 1
	s_and_saveexec_b64 s[6:7], s[4:5]
	s_cbranch_execz .LBB1_103
; %bb.107:                              ;   in Loop: Header=BB1_106 Depth=2
	global_load_dword v2, v[34:35], off offset:20 glc
	s_waitcnt vmcnt(0)
	buffer_invl2
	buffer_wbinvl1_vol
	v_and_b32_e32 v2, 1, v2
	s_branch .LBB1_103
.LBB1_108:                              ;   in Loop: Header=BB1_30 Depth=1
	global_load_dwordx4 v[0:3], v[0:1], off
	s_and_saveexec_b64 s[6:7], s[4:5]
	s_cbranch_execz .LBB1_29
; %bb.109:                              ;   in Loop: Header=BB1_30 Depth=1
	global_load_dwordx2 v[2:3], v33, s[10:11] offset:40
	global_load_dwordx2 v[8:9], v33, s[10:11] offset:24 glc
	global_load_dwordx2 v[16:17], v33, s[10:11]
	v_mov_b32_e32 v13, s15
	s_waitcnt vmcnt(2)
	v_add_co_u32_e32 v15, vcc, 1, v2
	v_addc_co_u32_e32 v18, vcc, 0, v3, vcc
	v_add_co_u32_e32 v12, vcc, s14, v15
	v_addc_co_u32_e32 v13, vcc, v18, v13, vcc
	v_cmp_eq_u64_e32 vcc, 0, v[12:13]
	v_cndmask_b32_e32 v13, v13, v18, vcc
	v_cndmask_b32_e32 v12, v12, v15, vcc
	v_and_b32_e32 v3, v13, v3
	v_and_b32_e32 v2, v12, v2
	v_mul_lo_u32 v3, v3, 24
	v_mul_hi_u32 v15, v2, 24
	v_mul_lo_u32 v2, v2, 24
	v_add_u32_e32 v3, v15, v3
	s_waitcnt vmcnt(0)
	v_add_co_u32_e32 v2, vcc, v16, v2
	v_addc_co_u32_e32 v3, vcc, v17, v3, vcc
	v_mov_b32_e32 v14, v8
	global_store_dwordx2 v[2:3], v[8:9], off
	v_mov_b32_e32 v15, v9
	buffer_wbl2
	s_waitcnt vmcnt(0)
	global_atomic_cmpswap_x2 v[14:15], v33, v[12:15], s[10:11] offset:24 glc
	s_waitcnt vmcnt(0)
	v_cmp_ne_u64_e32 vcc, v[14:15], v[8:9]
	s_and_b64 exec, exec, vcc
	s_cbranch_execz .LBB1_29
; %bb.110:                              ;   in Loop: Header=BB1_30 Depth=1
	s_mov_b64 s[4:5], 0
.LBB1_111:                              ;   Parent Loop BB1_30 Depth=1
                                        ; =>  This Inner Loop Header: Depth=2
	s_sleep 1
	global_store_dwordx2 v[2:3], v[14:15], off
	buffer_wbl2
	s_waitcnt vmcnt(0)
	global_atomic_cmpswap_x2 v[8:9], v33, v[12:15], s[10:11] offset:24 glc
	s_waitcnt vmcnt(0)
	v_cmp_eq_u64_e32 vcc, v[8:9], v[14:15]
	s_or_b64 s[4:5], vcc, s[4:5]
	v_pk_mov_b32 v[14:15], v[8:9], v[8:9] op_sel:[0,1]
	s_andn2_b64 exec, exec, s[4:5]
	s_cbranch_execnz .LBB1_111
	s_branch .LBB1_29
.LBB1_112:
                                        ; implicit-def: $vgpr0_vgpr1
	s_cbranch_execnz .LBB1_114
	s_branch .LBB1_140
.LBB1_113:
	s_or_b64 exec, exec, s[12:13]
	s_branch .LBB1_140
.LBB1_114:
	v_readfirstlane_b32 s4, v37
	v_cmp_eq_u32_e64 s[4:5], s4, v37
	v_pk_mov_b32 v[10:11], 0, 0
	s_and_saveexec_b64 s[6:7], s[4:5]
	s_cbranch_execz .LBB1_120
; %bb.115:
	s_waitcnt vmcnt(0)
	v_mov_b32_e32 v0, 0
	global_load_dwordx2 v[12:13], v0, s[10:11] offset:24 glc
	s_waitcnt vmcnt(0)
	buffer_invl2
	buffer_wbinvl1_vol
	global_load_dwordx2 v[2:3], v0, s[10:11] offset:40
	global_load_dwordx2 v[8:9], v0, s[10:11]
	s_waitcnt vmcnt(1)
	v_and_b32_e32 v1, v2, v12
	v_and_b32_e32 v2, v3, v13
	v_mul_lo_u32 v2, v2, 24
	v_mul_hi_u32 v3, v1, 24
	v_mul_lo_u32 v1, v1, 24
	v_add_u32_e32 v3, v3, v2
	s_waitcnt vmcnt(0)
	v_add_co_u32_e32 v2, vcc, v8, v1
	v_addc_co_u32_e32 v3, vcc, v9, v3, vcc
	global_load_dwordx2 v[10:11], v[2:3], off glc
	s_waitcnt vmcnt(0)
	global_atomic_cmpswap_x2 v[10:11], v0, v[10:13], s[10:11] offset:24 glc
	s_waitcnt vmcnt(0)
	buffer_invl2
	buffer_wbinvl1_vol
	v_cmp_ne_u64_e32 vcc, v[10:11], v[12:13]
	s_and_saveexec_b64 s[12:13], vcc
	s_cbranch_execz .LBB1_119
; %bb.116:
	s_mov_b64 s[14:15], 0
.LBB1_117:                              ; =>This Inner Loop Header: Depth=1
	s_sleep 1
	global_load_dwordx2 v[2:3], v0, s[10:11] offset:40
	global_load_dwordx2 v[8:9], v0, s[10:11]
	v_pk_mov_b32 v[12:13], v[10:11], v[10:11] op_sel:[0,1]
	s_waitcnt vmcnt(1)
	v_and_b32_e32 v2, v2, v12
	v_and_b32_e32 v1, v3, v13
	s_waitcnt vmcnt(0)
	v_mad_u64_u32 v[2:3], s[16:17], v2, 24, v[8:9]
	v_mov_b32_e32 v8, v3
	v_mad_u64_u32 v[8:9], s[16:17], v1, 24, v[8:9]
	v_mov_b32_e32 v3, v8
	global_load_dwordx2 v[10:11], v[2:3], off glc
	s_waitcnt vmcnt(0)
	global_atomic_cmpswap_x2 v[10:11], v0, v[10:13], s[10:11] offset:24 glc
	s_waitcnt vmcnt(0)
	buffer_invl2
	buffer_wbinvl1_vol
	v_cmp_eq_u64_e32 vcc, v[10:11], v[12:13]
	s_or_b64 s[14:15], vcc, s[14:15]
	s_andn2_b64 exec, exec, s[14:15]
	s_cbranch_execnz .LBB1_117
; %bb.118:
	s_or_b64 exec, exec, s[14:15]
.LBB1_119:
	s_or_b64 exec, exec, s[12:13]
.LBB1_120:
	s_or_b64 exec, exec, s[6:7]
	v_mov_b32_e32 v8, 0
	global_load_dwordx2 v[12:13], v8, s[10:11] offset:40
	global_load_dwordx4 v[0:3], v8, s[10:11]
	v_readfirstlane_b32 s6, v10
	v_readfirstlane_b32 s7, v11
	s_mov_b64 s[12:13], exec
	s_waitcnt vmcnt(1)
	v_readfirstlane_b32 s14, v12
	v_readfirstlane_b32 s15, v13
	s_and_b64 s[14:15], s[6:7], s[14:15]
	s_mul_i32 s16, s15, 24
	s_mul_hi_u32 s17, s14, 24
	s_mul_i32 s18, s14, 24
	s_add_i32 s16, s17, s16
	v_mov_b32_e32 v9, s16
	s_waitcnt vmcnt(0)
	v_add_co_u32_e32 v10, vcc, s18, v0
	v_addc_co_u32_e32 v11, vcc, v1, v9, vcc
	s_and_saveexec_b64 s[16:17], s[4:5]
	s_cbranch_execz .LBB1_122
; %bb.121:
	v_pk_mov_b32 v[12:13], s[12:13], s[12:13] op_sel:[0,1]
	v_mov_b32_e32 v14, 2
	v_mov_b32_e32 v15, 1
	global_store_dwordx4 v[10:11], v[12:15], off offset:8
.LBB1_122:
	s_or_b64 exec, exec, s[16:17]
	s_lshl_b64 s[12:13], s[14:15], 12
	v_mov_b32_e32 v9, s13
	v_add_co_u32_e32 v2, vcc, s12, v2
	s_movk_i32 s12, 0xff1f
	v_addc_co_u32_e32 v3, vcc, v3, v9, vcc
	v_and_or_b32 v6, v6, s12, 32
	s_mov_b32 s12, 0
	v_mov_b32_e32 v9, v8
	v_readfirstlane_b32 s16, v2
	v_readfirstlane_b32 s17, v3
	s_mov_b32 s13, s12
	v_add_co_u32_e32 v12, vcc, v2, v36
	s_mov_b32 s14, s12
	s_mov_b32 s15, s12
	s_nop 0
	global_store_dwordx4 v36, v[6:9], s[16:17]
	v_addc_co_u32_e32 v13, vcc, 0, v3, vcc
	v_pk_mov_b32 v[6:7], s[12:13], s[12:13] op_sel:[0,1]
	v_pk_mov_b32 v[8:9], s[14:15], s[14:15] op_sel:[0,1]
	global_store_dwordx4 v36, v[6:9], s[16:17] offset:16
	global_store_dwordx4 v36, v[6:9], s[16:17] offset:32
	;; [unrolled: 1-line block ×3, first 2 shown]
	s_and_saveexec_b64 s[12:13], s[4:5]
	s_cbranch_execz .LBB1_130
; %bb.123:
	v_mov_b32_e32 v8, 0
	global_load_dwordx2 v[16:17], v8, s[10:11] offset:32 glc
	global_load_dwordx2 v[2:3], v8, s[10:11] offset:40
	v_mov_b32_e32 v14, s6
	v_mov_b32_e32 v15, s7
	s_waitcnt vmcnt(0)
	v_readfirstlane_b32 s14, v2
	v_readfirstlane_b32 s15, v3
	s_and_b64 s[14:15], s[14:15], s[6:7]
	s_mul_i32 s15, s15, 24
	s_mul_hi_u32 s16, s14, 24
	s_mul_i32 s14, s14, 24
	s_add_i32 s15, s16, s15
	v_mov_b32_e32 v2, s15
	v_add_co_u32_e32 v6, vcc, s14, v0
	v_addc_co_u32_e32 v7, vcc, v1, v2, vcc
	global_store_dwordx2 v[6:7], v[16:17], off
	buffer_wbl2
	s_waitcnt vmcnt(0)
	global_atomic_cmpswap_x2 v[2:3], v8, v[14:17], s[10:11] offset:32 glc
	s_waitcnt vmcnt(0)
	v_cmp_ne_u64_e32 vcc, v[2:3], v[16:17]
	s_and_saveexec_b64 s[14:15], vcc
	s_cbranch_execz .LBB1_126
; %bb.124:
	s_mov_b64 s[16:17], 0
.LBB1_125:                              ; =>This Inner Loop Header: Depth=1
	s_sleep 1
	global_store_dwordx2 v[6:7], v[2:3], off
	v_mov_b32_e32 v0, s6
	v_mov_b32_e32 v1, s7
	buffer_wbl2
	s_waitcnt vmcnt(0)
	global_atomic_cmpswap_x2 v[0:1], v8, v[0:3], s[10:11] offset:32 glc
	s_waitcnt vmcnt(0)
	v_cmp_eq_u64_e32 vcc, v[0:1], v[2:3]
	s_or_b64 s[16:17], vcc, s[16:17]
	v_pk_mov_b32 v[2:3], v[0:1], v[0:1] op_sel:[0,1]
	s_andn2_b64 exec, exec, s[16:17]
	s_cbranch_execnz .LBB1_125
.LBB1_126:
	s_or_b64 exec, exec, s[14:15]
	v_mov_b32_e32 v3, 0
	global_load_dwordx2 v[0:1], v3, s[10:11] offset:16
	s_mov_b64 s[14:15], exec
	v_mbcnt_lo_u32_b32 v2, s14, 0
	v_mbcnt_hi_u32_b32 v2, s15, v2
	v_cmp_eq_u32_e32 vcc, 0, v2
	s_and_saveexec_b64 s[16:17], vcc
	s_cbranch_execz .LBB1_128
; %bb.127:
	s_bcnt1_i32_b64 s14, s[14:15]
	v_mov_b32_e32 v2, s14
	buffer_wbl2
	s_waitcnt vmcnt(0)
	global_atomic_add_x2 v[0:1], v[2:3], off offset:8
.LBB1_128:
	s_or_b64 exec, exec, s[16:17]
	s_waitcnt vmcnt(0)
	global_load_dwordx2 v[2:3], v[0:1], off offset:16
	s_waitcnt vmcnt(0)
	v_cmp_eq_u64_e32 vcc, 0, v[2:3]
	s_cbranch_vccnz .LBB1_130
; %bb.129:
	global_load_dword v0, v[0:1], off offset:24
	v_mov_b32_e32 v1, 0
	buffer_wbl2
	s_waitcnt vmcnt(0)
	global_store_dwordx2 v[2:3], v[0:1], off
	v_and_b32_e32 v0, 0xffffff, v0
	v_readfirstlane_b32 m0, v0
	s_sendmsg sendmsg(MSG_INTERRUPT)
.LBB1_130:
	s_or_b64 exec, exec, s[12:13]
	s_branch .LBB1_134
.LBB1_131:                              ;   in Loop: Header=BB1_134 Depth=1
	s_or_b64 exec, exec, s[12:13]
	v_readfirstlane_b32 s12, v0
	s_cmp_eq_u32 s12, 0
	s_cbranch_scc1 .LBB1_133
; %bb.132:                              ;   in Loop: Header=BB1_134 Depth=1
	s_sleep 1
	s_cbranch_execnz .LBB1_134
	s_branch .LBB1_136
.LBB1_133:
	s_branch .LBB1_136
.LBB1_134:                              ; =>This Inner Loop Header: Depth=1
	v_mov_b32_e32 v0, 1
	s_and_saveexec_b64 s[12:13], s[4:5]
	s_cbranch_execz .LBB1_131
; %bb.135:                              ;   in Loop: Header=BB1_134 Depth=1
	global_load_dword v0, v[10:11], off offset:20 glc
	s_waitcnt vmcnt(0)
	buffer_invl2
	buffer_wbinvl1_vol
	v_and_b32_e32 v0, 1, v0
	s_branch .LBB1_131
.LBB1_136:
	global_load_dwordx2 v[0:1], v[12:13], off
	s_and_saveexec_b64 s[12:13], s[4:5]
	s_cbranch_execz .LBB1_139
; %bb.137:
	v_mov_b32_e32 v10, 0
	global_load_dwordx2 v[2:3], v10, s[10:11] offset:40
	global_load_dwordx2 v[12:13], v10, s[10:11] offset:24 glc
	global_load_dwordx2 v[14:15], v10, s[10:11]
	v_mov_b32_e32 v7, s7
	s_mov_b64 s[4:5], 0
	s_waitcnt vmcnt(2)
	v_add_co_u32_e32 v9, vcc, 1, v2
	v_addc_co_u32_e32 v11, vcc, 0, v3, vcc
	v_add_co_u32_e32 v6, vcc, s6, v9
	v_addc_co_u32_e32 v7, vcc, v11, v7, vcc
	v_cmp_eq_u64_e32 vcc, 0, v[6:7]
	v_cndmask_b32_e32 v7, v7, v11, vcc
	v_cndmask_b32_e32 v6, v6, v9, vcc
	v_and_b32_e32 v3, v7, v3
	v_and_b32_e32 v2, v6, v2
	v_mul_lo_u32 v3, v3, 24
	v_mul_hi_u32 v9, v2, 24
	v_mul_lo_u32 v2, v2, 24
	v_add_u32_e32 v3, v9, v3
	s_waitcnt vmcnt(0)
	v_add_co_u32_e32 v2, vcc, v14, v2
	v_addc_co_u32_e32 v3, vcc, v15, v3, vcc
	v_mov_b32_e32 v8, v12
	global_store_dwordx2 v[2:3], v[12:13], off
	v_mov_b32_e32 v9, v13
	buffer_wbl2
	s_waitcnt vmcnt(0)
	global_atomic_cmpswap_x2 v[8:9], v10, v[6:9], s[10:11] offset:24 glc
	s_waitcnt vmcnt(0)
	v_cmp_ne_u64_e32 vcc, v[8:9], v[12:13]
	s_and_b64 exec, exec, vcc
	s_cbranch_execz .LBB1_139
.LBB1_138:                              ; =>This Inner Loop Header: Depth=1
	s_sleep 1
	global_store_dwordx2 v[2:3], v[8:9], off
	buffer_wbl2
	s_waitcnt vmcnt(0)
	global_atomic_cmpswap_x2 v[12:13], v10, v[6:9], s[10:11] offset:24 glc
	s_waitcnt vmcnt(0)
	v_cmp_eq_u64_e32 vcc, v[12:13], v[8:9]
	s_or_b64 s[4:5], vcc, s[4:5]
	v_pk_mov_b32 v[8:9], v[12:13], v[12:13] op_sel:[0,1]
	s_andn2_b64 exec, exec, s[4:5]
	s_cbranch_execnz .LBB1_138
.LBB1_139:
	s_or_b64 exec, exec, s[12:13]
.LBB1_140:
	s_getpc_b64 s[6:7]
	s_add_u32 s6, s6, .str.2@rel32@lo+4
	s_addc_u32 s7, s7, .str.2@rel32@hi+12
	s_cmp_lg_u64 s[6:7], 0
	s_cbranch_scc0 .LBB1_224
; %bb.141:
	s_getpc_b64 s[4:5]
	s_add_u32 s4, s4, .str.2@rel32@lo+80
	s_addc_u32 s5, s5, .str.2@rel32@hi+88
	s_sub_i32 s12, s4, s6
	s_ashr_i32 s13, s12, 31
	s_waitcnt vmcnt(0)
	v_and_b32_e32 v2, 2, v0
	v_mov_b32_e32 v33, 0
	v_and_b32_e32 v6, -3, v0
	v_mov_b32_e32 v7, v1
	v_mov_b32_e32 v10, 2
	;; [unrolled: 1-line block ×3, first 2 shown]
	s_branch .LBB1_143
.LBB1_142:                              ;   in Loop: Header=BB1_143 Depth=1
	s_or_b64 exec, exec, s[18:19]
	s_sub_u32 s12, s12, s14
	s_subb_u32 s13, s13, s15
	s_add_u32 s6, s6, s14
	s_addc_u32 s7, s7, s15
	s_cmp_lg_u64 s[12:13], 0
	s_cbranch_scc0 .LBB1_225
.LBB1_143:                              ; =>This Loop Header: Depth=1
                                        ;     Child Loop BB1_146 Depth 2
                                        ;     Child Loop BB1_153 Depth 2
	;; [unrolled: 1-line block ×11, first 2 shown]
	v_cmp_lt_u64_e64 s[4:5], s[12:13], 56
	s_and_b64 s[4:5], s[4:5], exec
	v_cmp_gt_u64_e64 s[4:5], s[12:13], 7
	s_cselect_b32 s15, s13, 0
	s_cselect_b32 s14, s12, 56
	s_and_b64 vcc, exec, s[4:5]
	s_cbranch_vccnz .LBB1_148
; %bb.144:                              ;   in Loop: Header=BB1_143 Depth=1
	s_mov_b64 s[4:5], 0
	s_cmp_eq_u64 s[12:13], 0
	v_pk_mov_b32 v[14:15], 0, 0
	s_cbranch_scc1 .LBB1_147
; %bb.145:                              ;   in Loop: Header=BB1_143 Depth=1
	s_lshl_b64 s[16:17], s[14:15], 3
	s_mov_b64 s[18:19], 0
	v_pk_mov_b32 v[14:15], 0, 0
	s_mov_b64 s[20:21], s[6:7]
.LBB1_146:                              ;   Parent Loop BB1_143 Depth=1
                                        ; =>  This Inner Loop Header: Depth=2
	global_load_ubyte v3, v33, s[20:21]
	s_waitcnt vmcnt(0)
	v_and_b32_e32 v32, 0xffff, v3
	v_lshlrev_b64 v[8:9], s18, v[32:33]
	s_add_u32 s18, s18, 8
	s_addc_u32 s19, s19, 0
	s_add_u32 s20, s20, 1
	s_addc_u32 s21, s21, 0
	v_or_b32_e32 v14, v8, v14
	s_cmp_lg_u32 s16, s18
	v_or_b32_e32 v15, v9, v15
	s_cbranch_scc1 .LBB1_146
.LBB1_147:                              ;   in Loop: Header=BB1_143 Depth=1
	s_mov_b32 s20, 0
	s_andn2_b64 vcc, exec, s[4:5]
	s_mov_b64 s[4:5], s[6:7]
	s_cbranch_vccz .LBB1_149
	s_branch .LBB1_150
.LBB1_148:                              ;   in Loop: Header=BB1_143 Depth=1
                                        ; implicit-def: $vgpr14_vgpr15
                                        ; implicit-def: $sgpr20
	s_mov_b64 s[4:5], s[6:7]
.LBB1_149:                              ;   in Loop: Header=BB1_143 Depth=1
	global_load_dwordx2 v[14:15], v33, s[6:7]
	s_add_i32 s20, s14, -8
	s_add_u32 s4, s6, 8
	s_addc_u32 s5, s7, 0
.LBB1_150:                              ;   in Loop: Header=BB1_143 Depth=1
	s_cmp_gt_u32 s20, 7
	s_cbranch_scc1 .LBB1_154
; %bb.151:                              ;   in Loop: Header=BB1_143 Depth=1
	s_cmp_eq_u32 s20, 0
	s_cbranch_scc1 .LBB1_155
; %bb.152:                              ;   in Loop: Header=BB1_143 Depth=1
	s_mov_b64 s[16:17], 0
	v_pk_mov_b32 v[16:17], 0, 0
	s_mov_b64 s[18:19], 0
.LBB1_153:                              ;   Parent Loop BB1_143 Depth=1
                                        ; =>  This Inner Loop Header: Depth=2
	s_add_u32 s22, s4, s18
	s_addc_u32 s23, s5, s19
	global_load_ubyte v3, v33, s[22:23]
	s_add_u32 s18, s18, 1
	s_addc_u32 s19, s19, 0
	s_waitcnt vmcnt(0)
	v_and_b32_e32 v32, 0xffff, v3
	v_lshlrev_b64 v[8:9], s16, v[32:33]
	s_add_u32 s16, s16, 8
	s_addc_u32 s17, s17, 0
	v_or_b32_e32 v16, v8, v16
	s_cmp_lg_u32 s20, s18
	v_or_b32_e32 v17, v9, v17
	s_cbranch_scc1 .LBB1_153
	s_branch .LBB1_156
.LBB1_154:                              ;   in Loop: Header=BB1_143 Depth=1
                                        ; implicit-def: $vgpr16_vgpr17
                                        ; implicit-def: $sgpr21
	s_branch .LBB1_157
.LBB1_155:                              ;   in Loop: Header=BB1_143 Depth=1
	v_pk_mov_b32 v[16:17], 0, 0
.LBB1_156:                              ;   in Loop: Header=BB1_143 Depth=1
	s_mov_b32 s21, 0
	s_cbranch_execnz .LBB1_158
.LBB1_157:                              ;   in Loop: Header=BB1_143 Depth=1
	global_load_dwordx2 v[16:17], v33, s[4:5]
	s_add_i32 s21, s20, -8
	s_add_u32 s4, s4, 8
	s_addc_u32 s5, s5, 0
.LBB1_158:                              ;   in Loop: Header=BB1_143 Depth=1
	s_cmp_gt_u32 s21, 7
	s_cbranch_scc1 .LBB1_162
; %bb.159:                              ;   in Loop: Header=BB1_143 Depth=1
	s_cmp_eq_u32 s21, 0
	s_cbranch_scc1 .LBB1_163
; %bb.160:                              ;   in Loop: Header=BB1_143 Depth=1
	s_mov_b64 s[16:17], 0
	v_pk_mov_b32 v[18:19], 0, 0
	s_mov_b64 s[18:19], 0
.LBB1_161:                              ;   Parent Loop BB1_143 Depth=1
                                        ; =>  This Inner Loop Header: Depth=2
	s_add_u32 s22, s4, s18
	s_addc_u32 s23, s5, s19
	global_load_ubyte v3, v33, s[22:23]
	s_add_u32 s18, s18, 1
	s_addc_u32 s19, s19, 0
	s_waitcnt vmcnt(0)
	v_and_b32_e32 v32, 0xffff, v3
	v_lshlrev_b64 v[8:9], s16, v[32:33]
	s_add_u32 s16, s16, 8
	s_addc_u32 s17, s17, 0
	v_or_b32_e32 v18, v8, v18
	s_cmp_lg_u32 s21, s18
	v_or_b32_e32 v19, v9, v19
	s_cbranch_scc1 .LBB1_161
	s_branch .LBB1_164
.LBB1_162:                              ;   in Loop: Header=BB1_143 Depth=1
                                        ; implicit-def: $sgpr20
	s_branch .LBB1_165
.LBB1_163:                              ;   in Loop: Header=BB1_143 Depth=1
	v_pk_mov_b32 v[18:19], 0, 0
.LBB1_164:                              ;   in Loop: Header=BB1_143 Depth=1
	s_mov_b32 s20, 0
	s_cbranch_execnz .LBB1_166
.LBB1_165:                              ;   in Loop: Header=BB1_143 Depth=1
	global_load_dwordx2 v[18:19], v33, s[4:5]
	s_add_i32 s20, s21, -8
	s_add_u32 s4, s4, 8
	s_addc_u32 s5, s5, 0
.LBB1_166:                              ;   in Loop: Header=BB1_143 Depth=1
	s_cmp_gt_u32 s20, 7
	s_cbranch_scc1 .LBB1_170
; %bb.167:                              ;   in Loop: Header=BB1_143 Depth=1
	s_cmp_eq_u32 s20, 0
	s_cbranch_scc1 .LBB1_171
; %bb.168:                              ;   in Loop: Header=BB1_143 Depth=1
	s_mov_b64 s[16:17], 0
	v_pk_mov_b32 v[20:21], 0, 0
	s_mov_b64 s[18:19], 0
.LBB1_169:                              ;   Parent Loop BB1_143 Depth=1
                                        ; =>  This Inner Loop Header: Depth=2
	s_add_u32 s22, s4, s18
	s_addc_u32 s23, s5, s19
	global_load_ubyte v3, v33, s[22:23]
	s_add_u32 s18, s18, 1
	s_addc_u32 s19, s19, 0
	s_waitcnt vmcnt(0)
	v_and_b32_e32 v32, 0xffff, v3
	v_lshlrev_b64 v[8:9], s16, v[32:33]
	s_add_u32 s16, s16, 8
	s_addc_u32 s17, s17, 0
	v_or_b32_e32 v20, v8, v20
	s_cmp_lg_u32 s20, s18
	v_or_b32_e32 v21, v9, v21
	s_cbranch_scc1 .LBB1_169
	s_branch .LBB1_172
.LBB1_170:                              ;   in Loop: Header=BB1_143 Depth=1
                                        ; implicit-def: $vgpr20_vgpr21
                                        ; implicit-def: $sgpr21
	s_branch .LBB1_173
.LBB1_171:                              ;   in Loop: Header=BB1_143 Depth=1
	v_pk_mov_b32 v[20:21], 0, 0
.LBB1_172:                              ;   in Loop: Header=BB1_143 Depth=1
	s_mov_b32 s21, 0
	s_cbranch_execnz .LBB1_174
.LBB1_173:                              ;   in Loop: Header=BB1_143 Depth=1
	global_load_dwordx2 v[20:21], v33, s[4:5]
	s_add_i32 s21, s20, -8
	s_add_u32 s4, s4, 8
	s_addc_u32 s5, s5, 0
.LBB1_174:                              ;   in Loop: Header=BB1_143 Depth=1
	s_cmp_gt_u32 s21, 7
	s_cbranch_scc1 .LBB1_178
; %bb.175:                              ;   in Loop: Header=BB1_143 Depth=1
	s_cmp_eq_u32 s21, 0
	s_cbranch_scc1 .LBB1_179
; %bb.176:                              ;   in Loop: Header=BB1_143 Depth=1
	s_mov_b64 s[16:17], 0
	v_pk_mov_b32 v[22:23], 0, 0
	s_mov_b64 s[18:19], 0
.LBB1_177:                              ;   Parent Loop BB1_143 Depth=1
                                        ; =>  This Inner Loop Header: Depth=2
	s_add_u32 s22, s4, s18
	s_addc_u32 s23, s5, s19
	global_load_ubyte v3, v33, s[22:23]
	s_add_u32 s18, s18, 1
	s_addc_u32 s19, s19, 0
	s_waitcnt vmcnt(0)
	v_and_b32_e32 v32, 0xffff, v3
	v_lshlrev_b64 v[8:9], s16, v[32:33]
	s_add_u32 s16, s16, 8
	s_addc_u32 s17, s17, 0
	v_or_b32_e32 v22, v8, v22
	s_cmp_lg_u32 s21, s18
	v_or_b32_e32 v23, v9, v23
	s_cbranch_scc1 .LBB1_177
	s_branch .LBB1_180
.LBB1_178:                              ;   in Loop: Header=BB1_143 Depth=1
                                        ; implicit-def: $sgpr20
	s_branch .LBB1_181
.LBB1_179:                              ;   in Loop: Header=BB1_143 Depth=1
	v_pk_mov_b32 v[22:23], 0, 0
.LBB1_180:                              ;   in Loop: Header=BB1_143 Depth=1
	s_mov_b32 s20, 0
	s_cbranch_execnz .LBB1_182
.LBB1_181:                              ;   in Loop: Header=BB1_143 Depth=1
	global_load_dwordx2 v[22:23], v33, s[4:5]
	s_add_i32 s20, s21, -8
	s_add_u32 s4, s4, 8
	s_addc_u32 s5, s5, 0
.LBB1_182:                              ;   in Loop: Header=BB1_143 Depth=1
	s_cmp_gt_u32 s20, 7
	s_cbranch_scc1 .LBB1_186
; %bb.183:                              ;   in Loop: Header=BB1_143 Depth=1
	s_cmp_eq_u32 s20, 0
	s_cbranch_scc1 .LBB1_187
; %bb.184:                              ;   in Loop: Header=BB1_143 Depth=1
	s_mov_b64 s[16:17], 0
	v_pk_mov_b32 v[24:25], 0, 0
	s_mov_b64 s[18:19], 0
.LBB1_185:                              ;   Parent Loop BB1_143 Depth=1
                                        ; =>  This Inner Loop Header: Depth=2
	s_add_u32 s22, s4, s18
	s_addc_u32 s23, s5, s19
	global_load_ubyte v3, v33, s[22:23]
	s_add_u32 s18, s18, 1
	s_addc_u32 s19, s19, 0
	s_waitcnt vmcnt(0)
	v_and_b32_e32 v32, 0xffff, v3
	v_lshlrev_b64 v[8:9], s16, v[32:33]
	s_add_u32 s16, s16, 8
	s_addc_u32 s17, s17, 0
	v_or_b32_e32 v24, v8, v24
	s_cmp_lg_u32 s20, s18
	v_or_b32_e32 v25, v9, v25
	s_cbranch_scc1 .LBB1_185
	s_branch .LBB1_188
.LBB1_186:                              ;   in Loop: Header=BB1_143 Depth=1
                                        ; implicit-def: $vgpr24_vgpr25
                                        ; implicit-def: $sgpr21
	s_branch .LBB1_189
.LBB1_187:                              ;   in Loop: Header=BB1_143 Depth=1
	v_pk_mov_b32 v[24:25], 0, 0
.LBB1_188:                              ;   in Loop: Header=BB1_143 Depth=1
	s_mov_b32 s21, 0
	s_cbranch_execnz .LBB1_190
.LBB1_189:                              ;   in Loop: Header=BB1_143 Depth=1
	global_load_dwordx2 v[24:25], v33, s[4:5]
	s_add_i32 s21, s20, -8
	s_add_u32 s4, s4, 8
	s_addc_u32 s5, s5, 0
.LBB1_190:                              ;   in Loop: Header=BB1_143 Depth=1
	s_cmp_gt_u32 s21, 7
	s_cbranch_scc1 .LBB1_194
; %bb.191:                              ;   in Loop: Header=BB1_143 Depth=1
	s_cmp_eq_u32 s21, 0
	s_cbranch_scc1 .LBB1_195
; %bb.192:                              ;   in Loop: Header=BB1_143 Depth=1
	s_mov_b64 s[16:17], 0
	v_pk_mov_b32 v[26:27], 0, 0
	s_mov_b64 s[18:19], s[4:5]
.LBB1_193:                              ;   Parent Loop BB1_143 Depth=1
                                        ; =>  This Inner Loop Header: Depth=2
	global_load_ubyte v3, v33, s[18:19]
	s_add_i32 s21, s21, -1
	s_waitcnt vmcnt(0)
	v_and_b32_e32 v32, 0xffff, v3
	v_lshlrev_b64 v[8:9], s16, v[32:33]
	s_add_u32 s16, s16, 8
	s_addc_u32 s17, s17, 0
	s_add_u32 s18, s18, 1
	s_addc_u32 s19, s19, 0
	v_or_b32_e32 v26, v8, v26
	s_cmp_lg_u32 s21, 0
	v_or_b32_e32 v27, v9, v27
	s_cbranch_scc1 .LBB1_193
	s_branch .LBB1_196
.LBB1_194:                              ;   in Loop: Header=BB1_143 Depth=1
	s_branch .LBB1_197
.LBB1_195:                              ;   in Loop: Header=BB1_143 Depth=1
	v_pk_mov_b32 v[26:27], 0, 0
.LBB1_196:                              ;   in Loop: Header=BB1_143 Depth=1
	s_cbranch_execnz .LBB1_198
.LBB1_197:                              ;   in Loop: Header=BB1_143 Depth=1
	global_load_dwordx2 v[26:27], v33, s[4:5]
.LBB1_198:                              ;   in Loop: Header=BB1_143 Depth=1
	v_readfirstlane_b32 s4, v37
	v_cmp_eq_u32_e64 s[4:5], s4, v37
	s_waitcnt vmcnt(0)
	v_pk_mov_b32 v[8:9], 0, 0
	s_and_saveexec_b64 s[16:17], s[4:5]
	s_cbranch_execz .LBB1_204
; %bb.199:                              ;   in Loop: Header=BB1_143 Depth=1
	global_load_dwordx2 v[30:31], v33, s[10:11] offset:24 glc
	s_waitcnt vmcnt(0)
	buffer_invl2
	buffer_wbinvl1_vol
	global_load_dwordx2 v[8:9], v33, s[10:11] offset:40
	global_load_dwordx2 v[12:13], v33, s[10:11]
	s_waitcnt vmcnt(1)
	v_and_b32_e32 v3, v8, v30
	v_and_b32_e32 v8, v9, v31
	v_mul_lo_u32 v8, v8, 24
	v_mul_hi_u32 v9, v3, 24
	v_mul_lo_u32 v3, v3, 24
	v_add_u32_e32 v9, v9, v8
	s_waitcnt vmcnt(0)
	v_add_co_u32_e32 v8, vcc, v12, v3
	v_addc_co_u32_e32 v9, vcc, v13, v9, vcc
	global_load_dwordx2 v[28:29], v[8:9], off glc
	s_waitcnt vmcnt(0)
	global_atomic_cmpswap_x2 v[8:9], v33, v[28:31], s[10:11] offset:24 glc
	s_waitcnt vmcnt(0)
	buffer_invl2
	buffer_wbinvl1_vol
	v_cmp_ne_u64_e32 vcc, v[8:9], v[30:31]
	s_and_saveexec_b64 s[18:19], vcc
	s_cbranch_execz .LBB1_203
; %bb.200:                              ;   in Loop: Header=BB1_143 Depth=1
	s_mov_b64 s[20:21], 0
.LBB1_201:                              ;   Parent Loop BB1_143 Depth=1
                                        ; =>  This Inner Loop Header: Depth=2
	s_sleep 1
	global_load_dwordx2 v[12:13], v33, s[10:11] offset:40
	global_load_dwordx2 v[28:29], v33, s[10:11]
	v_pk_mov_b32 v[30:31], v[8:9], v[8:9] op_sel:[0,1]
	s_waitcnt vmcnt(1)
	v_and_b32_e32 v8, v12, v30
	s_waitcnt vmcnt(0)
	v_mad_u64_u32 v[8:9], s[22:23], v8, 24, v[28:29]
	v_and_b32_e32 v3, v13, v31
	v_mov_b32_e32 v12, v9
	v_mad_u64_u32 v[12:13], s[22:23], v3, 24, v[12:13]
	v_mov_b32_e32 v9, v12
	global_load_dwordx2 v[28:29], v[8:9], off glc
	s_waitcnt vmcnt(0)
	global_atomic_cmpswap_x2 v[8:9], v33, v[28:31], s[10:11] offset:24 glc
	s_waitcnt vmcnt(0)
	buffer_invl2
	buffer_wbinvl1_vol
	v_cmp_eq_u64_e32 vcc, v[8:9], v[30:31]
	s_or_b64 s[20:21], vcc, s[20:21]
	s_andn2_b64 exec, exec, s[20:21]
	s_cbranch_execnz .LBB1_201
; %bb.202:                              ;   in Loop: Header=BB1_143 Depth=1
	s_or_b64 exec, exec, s[20:21]
.LBB1_203:                              ;   in Loop: Header=BB1_143 Depth=1
	s_or_b64 exec, exec, s[18:19]
.LBB1_204:                              ;   in Loop: Header=BB1_143 Depth=1
	s_or_b64 exec, exec, s[16:17]
	global_load_dwordx2 v[12:13], v33, s[10:11] offset:40
	global_load_dwordx4 v[28:31], v33, s[10:11]
	v_readfirstlane_b32 s16, v8
	v_readfirstlane_b32 s17, v9
	s_mov_b64 s[18:19], exec
	s_waitcnt vmcnt(1)
	v_readfirstlane_b32 s20, v12
	v_readfirstlane_b32 s21, v13
	s_and_b64 s[20:21], s[16:17], s[20:21]
	s_mul_i32 s22, s21, 24
	s_mul_hi_u32 s23, s20, 24
	s_mul_i32 s24, s20, 24
	s_add_i32 s22, s23, s22
	v_mov_b32_e32 v3, s22
	s_waitcnt vmcnt(0)
	v_add_co_u32_e32 v34, vcc, s24, v28
	v_addc_co_u32_e32 v35, vcc, v29, v3, vcc
	s_and_saveexec_b64 s[22:23], s[4:5]
	s_cbranch_execz .LBB1_206
; %bb.205:                              ;   in Loop: Header=BB1_143 Depth=1
	v_pk_mov_b32 v[8:9], s[18:19], s[18:19] op_sel:[0,1]
	global_store_dwordx4 v[34:35], v[8:11], off offset:8
.LBB1_206:                              ;   in Loop: Header=BB1_143 Depth=1
	s_or_b64 exec, exec, s[22:23]
	s_lshl_b64 s[18:19], s[20:21], 12
	v_mov_b32_e32 v3, s19
	v_add_co_u32_e32 v30, vcc, s18, v30
	v_addc_co_u32_e32 v3, vcc, v31, v3, vcc
	v_or_b32_e32 v9, v6, v2
	v_cmp_gt_u64_e64 vcc, s[12:13], 56
	s_lshl_b32 s18, s14, 2
	v_cndmask_b32_e32 v6, v9, v6, vcc
	s_add_i32 s18, s18, 28
	v_or_b32_e32 v8, 0, v7
	s_and_b32 s18, s18, 0x1e0
	v_and_b32_e32 v6, 0xffffff1f, v6
	v_cndmask_b32_e32 v13, v8, v7, vcc
	v_or_b32_e32 v12, s18, v6
	v_readfirstlane_b32 s18, v30
	v_readfirstlane_b32 s19, v3
	s_nop 4
	global_store_dwordx4 v36, v[12:15], s[18:19]
	global_store_dwordx4 v36, v[16:19], s[18:19] offset:16
	global_store_dwordx4 v36, v[20:23], s[18:19] offset:32
	global_store_dwordx4 v36, v[24:27], s[18:19] offset:48
	s_and_saveexec_b64 s[18:19], s[4:5]
	s_cbranch_execz .LBB1_214
; %bb.207:                              ;   in Loop: Header=BB1_143 Depth=1
	global_load_dwordx2 v[16:17], v33, s[10:11] offset:32 glc
	global_load_dwordx2 v[6:7], v33, s[10:11] offset:40
	v_mov_b32_e32 v14, s16
	v_mov_b32_e32 v15, s17
	s_waitcnt vmcnt(0)
	v_readfirstlane_b32 s20, v6
	v_readfirstlane_b32 s21, v7
	s_and_b64 s[20:21], s[20:21], s[16:17]
	s_mul_i32 s21, s21, 24
	s_mul_hi_u32 s22, s20, 24
	s_mul_i32 s20, s20, 24
	s_add_i32 s21, s22, s21
	v_mov_b32_e32 v6, s21
	v_add_co_u32_e32 v12, vcc, s20, v28
	v_addc_co_u32_e32 v13, vcc, v29, v6, vcc
	global_store_dwordx2 v[12:13], v[16:17], off
	buffer_wbl2
	s_waitcnt vmcnt(0)
	global_atomic_cmpswap_x2 v[8:9], v33, v[14:17], s[10:11] offset:32 glc
	s_waitcnt vmcnt(0)
	v_cmp_ne_u64_e32 vcc, v[8:9], v[16:17]
	s_and_saveexec_b64 s[20:21], vcc
	s_cbranch_execz .LBB1_210
; %bb.208:                              ;   in Loop: Header=BB1_143 Depth=1
	s_mov_b64 s[22:23], 0
.LBB1_209:                              ;   Parent Loop BB1_143 Depth=1
                                        ; =>  This Inner Loop Header: Depth=2
	s_sleep 1
	global_store_dwordx2 v[12:13], v[8:9], off
	v_mov_b32_e32 v6, s16
	v_mov_b32_e32 v7, s17
	buffer_wbl2
	s_waitcnt vmcnt(0)
	global_atomic_cmpswap_x2 v[6:7], v33, v[6:9], s[10:11] offset:32 glc
	s_waitcnt vmcnt(0)
	v_cmp_eq_u64_e32 vcc, v[6:7], v[8:9]
	s_or_b64 s[22:23], vcc, s[22:23]
	v_pk_mov_b32 v[8:9], v[6:7], v[6:7] op_sel:[0,1]
	s_andn2_b64 exec, exec, s[22:23]
	s_cbranch_execnz .LBB1_209
.LBB1_210:                              ;   in Loop: Header=BB1_143 Depth=1
	s_or_b64 exec, exec, s[20:21]
	global_load_dwordx2 v[6:7], v33, s[10:11] offset:16
	s_mov_b64 s[22:23], exec
	v_mbcnt_lo_u32_b32 v8, s22, 0
	v_mbcnt_hi_u32_b32 v8, s23, v8
	v_cmp_eq_u32_e32 vcc, 0, v8
	s_and_saveexec_b64 s[20:21], vcc
	s_cbranch_execz .LBB1_212
; %bb.211:                              ;   in Loop: Header=BB1_143 Depth=1
	s_bcnt1_i32_b64 s22, s[22:23]
	v_mov_b32_e32 v32, s22
	buffer_wbl2
	s_waitcnt vmcnt(0)
	global_atomic_add_x2 v[6:7], v[32:33], off offset:8
.LBB1_212:                              ;   in Loop: Header=BB1_143 Depth=1
	s_or_b64 exec, exec, s[20:21]
	s_waitcnt vmcnt(0)
	global_load_dwordx2 v[8:9], v[6:7], off offset:16
	s_waitcnt vmcnt(0)
	v_cmp_eq_u64_e32 vcc, 0, v[8:9]
	s_cbranch_vccnz .LBB1_214
; %bb.213:                              ;   in Loop: Header=BB1_143 Depth=1
	global_load_dword v32, v[6:7], off offset:24
	s_waitcnt vmcnt(0)
	v_and_b32_e32 v6, 0xffffff, v32
	v_readfirstlane_b32 m0, v6
	buffer_wbl2
	global_store_dwordx2 v[8:9], v[32:33], off
	s_sendmsg sendmsg(MSG_INTERRUPT)
.LBB1_214:                              ;   in Loop: Header=BB1_143 Depth=1
	s_or_b64 exec, exec, s[18:19]
	v_add_co_u32_e32 v6, vcc, v30, v36
	v_addc_co_u32_e32 v7, vcc, 0, v3, vcc
	s_branch .LBB1_218
.LBB1_215:                              ;   in Loop: Header=BB1_218 Depth=2
	s_or_b64 exec, exec, s[18:19]
	v_readfirstlane_b32 s18, v3
	s_cmp_eq_u32 s18, 0
	s_cbranch_scc1 .LBB1_217
; %bb.216:                              ;   in Loop: Header=BB1_218 Depth=2
	s_sleep 1
	s_cbranch_execnz .LBB1_218
	s_branch .LBB1_220
.LBB1_217:                              ;   in Loop: Header=BB1_143 Depth=1
	s_branch .LBB1_220
.LBB1_218:                              ;   Parent Loop BB1_143 Depth=1
                                        ; =>  This Inner Loop Header: Depth=2
	v_mov_b32_e32 v3, 1
	s_and_saveexec_b64 s[18:19], s[4:5]
	s_cbranch_execz .LBB1_215
; %bb.219:                              ;   in Loop: Header=BB1_218 Depth=2
	global_load_dword v3, v[34:35], off offset:20 glc
	s_waitcnt vmcnt(0)
	buffer_invl2
	buffer_wbinvl1_vol
	v_and_b32_e32 v3, 1, v3
	s_branch .LBB1_215
.LBB1_220:                              ;   in Loop: Header=BB1_143 Depth=1
	global_load_dwordx4 v[6:9], v[6:7], off
	s_and_saveexec_b64 s[18:19], s[4:5]
	s_cbranch_execz .LBB1_142
; %bb.221:                              ;   in Loop: Header=BB1_143 Depth=1
	global_load_dwordx2 v[8:9], v33, s[10:11] offset:40
	global_load_dwordx2 v[16:17], v33, s[10:11] offset:24 glc
	global_load_dwordx2 v[18:19], v33, s[10:11]
	v_mov_b32_e32 v3, s17
	s_waitcnt vmcnt(2)
	v_add_co_u32_e32 v15, vcc, 1, v8
	v_addc_co_u32_e32 v20, vcc, 0, v9, vcc
	v_add_co_u32_e32 v12, vcc, s16, v15
	v_addc_co_u32_e32 v13, vcc, v20, v3, vcc
	v_cmp_eq_u64_e32 vcc, 0, v[12:13]
	v_cndmask_b32_e32 v13, v13, v20, vcc
	v_cndmask_b32_e32 v12, v12, v15, vcc
	v_and_b32_e32 v3, v13, v9
	v_and_b32_e32 v8, v12, v8
	v_mul_lo_u32 v3, v3, 24
	v_mul_hi_u32 v9, v8, 24
	v_mul_lo_u32 v8, v8, 24
	v_add_u32_e32 v3, v9, v3
	s_waitcnt vmcnt(0)
	v_add_co_u32_e32 v8, vcc, v18, v8
	v_addc_co_u32_e32 v9, vcc, v19, v3, vcc
	v_mov_b32_e32 v14, v16
	global_store_dwordx2 v[8:9], v[16:17], off
	v_mov_b32_e32 v15, v17
	buffer_wbl2
	s_waitcnt vmcnt(0)
	global_atomic_cmpswap_x2 v[14:15], v33, v[12:15], s[10:11] offset:24 glc
	s_waitcnt vmcnt(0)
	v_cmp_ne_u64_e32 vcc, v[14:15], v[16:17]
	s_and_b64 exec, exec, vcc
	s_cbranch_execz .LBB1_142
; %bb.222:                              ;   in Loop: Header=BB1_143 Depth=1
	s_mov_b64 s[4:5], 0
.LBB1_223:                              ;   Parent Loop BB1_143 Depth=1
                                        ; =>  This Inner Loop Header: Depth=2
	s_sleep 1
	global_store_dwordx2 v[8:9], v[14:15], off
	buffer_wbl2
	s_waitcnt vmcnt(0)
	global_atomic_cmpswap_x2 v[16:17], v33, v[12:15], s[10:11] offset:24 glc
	s_waitcnt vmcnt(0)
	v_cmp_eq_u64_e32 vcc, v[16:17], v[14:15]
	s_or_b64 s[4:5], vcc, s[4:5]
	v_pk_mov_b32 v[14:15], v[16:17], v[16:17] op_sel:[0,1]
	s_andn2_b64 exec, exec, s[4:5]
	s_cbranch_execnz .LBB1_223
	s_branch .LBB1_142
.LBB1_224:
                                        ; implicit-def: $vgpr6_vgpr7
	s_cbranch_execnz .LBB1_226
	s_branch .LBB1_252
.LBB1_225:
	s_branch .LBB1_252
.LBB1_226:
	v_readfirstlane_b32 s4, v37
	v_cmp_eq_u32_e64 s[4:5], s4, v37
	v_pk_mov_b32 v[10:11], 0, 0
	s_and_saveexec_b64 s[6:7], s[4:5]
	s_cbranch_execz .LBB1_232
; %bb.227:
	s_waitcnt vmcnt(0)
	v_mov_b32_e32 v2, 0
	global_load_dwordx2 v[8:9], v2, s[10:11] offset:24 glc
	s_waitcnt vmcnt(0)
	buffer_invl2
	buffer_wbinvl1_vol
	global_load_dwordx2 v[6:7], v2, s[10:11] offset:40
	global_load_dwordx2 v[10:11], v2, s[10:11]
	s_waitcnt vmcnt(1)
	v_and_b32_e32 v3, v6, v8
	v_and_b32_e32 v6, v7, v9
	v_mul_lo_u32 v6, v6, 24
	v_mul_hi_u32 v7, v3, 24
	v_mul_lo_u32 v3, v3, 24
	v_add_u32_e32 v7, v7, v6
	s_waitcnt vmcnt(0)
	v_add_co_u32_e32 v6, vcc, v10, v3
	v_addc_co_u32_e32 v7, vcc, v11, v7, vcc
	global_load_dwordx2 v[6:7], v[6:7], off glc
	s_waitcnt vmcnt(0)
	global_atomic_cmpswap_x2 v[10:11], v2, v[6:9], s[10:11] offset:24 glc
	s_waitcnt vmcnt(0)
	buffer_invl2
	buffer_wbinvl1_vol
	v_cmp_ne_u64_e32 vcc, v[10:11], v[8:9]
	s_and_saveexec_b64 s[12:13], vcc
	s_cbranch_execz .LBB1_231
; %bb.228:
	s_mov_b64 s[14:15], 0
.LBB1_229:                              ; =>This Inner Loop Header: Depth=1
	s_sleep 1
	global_load_dwordx2 v[6:7], v2, s[10:11] offset:40
	global_load_dwordx2 v[12:13], v2, s[10:11]
	v_pk_mov_b32 v[8:9], v[10:11], v[10:11] op_sel:[0,1]
	s_waitcnt vmcnt(1)
	v_and_b32_e32 v6, v6, v8
	v_and_b32_e32 v3, v7, v9
	s_waitcnt vmcnt(0)
	v_mad_u64_u32 v[6:7], s[16:17], v6, 24, v[12:13]
	v_mov_b32_e32 v10, v7
	v_mad_u64_u32 v[10:11], s[16:17], v3, 24, v[10:11]
	v_mov_b32_e32 v7, v10
	global_load_dwordx2 v[6:7], v[6:7], off glc
	s_waitcnt vmcnt(0)
	global_atomic_cmpswap_x2 v[10:11], v2, v[6:9], s[10:11] offset:24 glc
	s_waitcnt vmcnt(0)
	buffer_invl2
	buffer_wbinvl1_vol
	v_cmp_eq_u64_e32 vcc, v[10:11], v[8:9]
	s_or_b64 s[14:15], vcc, s[14:15]
	s_andn2_b64 exec, exec, s[14:15]
	s_cbranch_execnz .LBB1_229
; %bb.230:
	s_or_b64 exec, exec, s[14:15]
.LBB1_231:
	s_or_b64 exec, exec, s[12:13]
.LBB1_232:
	s_or_b64 exec, exec, s[6:7]
	s_waitcnt vmcnt(0)
	v_mov_b32_e32 v2, 0
	global_load_dwordx2 v[12:13], v2, s[10:11] offset:40
	global_load_dwordx4 v[6:9], v2, s[10:11]
	v_readfirstlane_b32 s6, v10
	v_readfirstlane_b32 s7, v11
	s_mov_b64 s[12:13], exec
	s_waitcnt vmcnt(1)
	v_readfirstlane_b32 s14, v12
	v_readfirstlane_b32 s15, v13
	s_and_b64 s[14:15], s[6:7], s[14:15]
	s_mul_i32 s16, s15, 24
	s_mul_hi_u32 s17, s14, 24
	s_mul_i32 s18, s14, 24
	s_add_i32 s16, s17, s16
	v_mov_b32_e32 v3, s16
	s_waitcnt vmcnt(0)
	v_add_co_u32_e32 v10, vcc, s18, v6
	v_addc_co_u32_e32 v11, vcc, v7, v3, vcc
	s_and_saveexec_b64 s[16:17], s[4:5]
	s_cbranch_execz .LBB1_234
; %bb.233:
	v_pk_mov_b32 v[12:13], s[12:13], s[12:13] op_sel:[0,1]
	v_mov_b32_e32 v14, 2
	v_mov_b32_e32 v15, 1
	global_store_dwordx4 v[10:11], v[12:15], off offset:8
.LBB1_234:
	s_or_b64 exec, exec, s[16:17]
	s_lshl_b64 s[12:13], s[14:15], 12
	v_mov_b32_e32 v3, s13
	v_add_co_u32_e32 v12, vcc, s12, v8
	s_movk_i32 s12, 0xff1f
	v_addc_co_u32_e32 v13, vcc, v9, v3, vcc
	v_and_or_b32 v0, v0, s12, 32
	s_mov_b32 s12, 0
	v_mov_b32_e32 v3, v2
	v_readfirstlane_b32 s16, v12
	v_readfirstlane_b32 s17, v13
	s_mov_b32 s13, s12
	v_add_co_u32_e32 v8, vcc, v12, v36
	s_mov_b32 s14, s12
	s_mov_b32 s15, s12
	s_nop 0
	global_store_dwordx4 v36, v[0:3], s[16:17]
	v_addc_co_u32_e32 v9, vcc, 0, v13, vcc
	v_pk_mov_b32 v[0:1], s[12:13], s[12:13] op_sel:[0,1]
	v_pk_mov_b32 v[2:3], s[14:15], s[14:15] op_sel:[0,1]
	global_store_dwordx4 v36, v[0:3], s[16:17] offset:16
	global_store_dwordx4 v36, v[0:3], s[16:17] offset:32
	;; [unrolled: 1-line block ×3, first 2 shown]
	s_and_saveexec_b64 s[12:13], s[4:5]
	s_cbranch_execz .LBB1_242
; %bb.235:
	v_mov_b32_e32 v12, 0
	global_load_dwordx2 v[16:17], v12, s[10:11] offset:32 glc
	global_load_dwordx2 v[0:1], v12, s[10:11] offset:40
	v_mov_b32_e32 v14, s6
	v_mov_b32_e32 v15, s7
	s_waitcnt vmcnt(0)
	v_readfirstlane_b32 s14, v0
	v_readfirstlane_b32 s15, v1
	s_and_b64 s[14:15], s[14:15], s[6:7]
	s_mul_i32 s15, s15, 24
	s_mul_hi_u32 s16, s14, 24
	s_mul_i32 s14, s14, 24
	s_add_i32 s15, s16, s15
	v_mov_b32_e32 v0, s15
	v_add_co_u32_e32 v6, vcc, s14, v6
	v_addc_co_u32_e32 v7, vcc, v7, v0, vcc
	global_store_dwordx2 v[6:7], v[16:17], off
	buffer_wbl2
	s_waitcnt vmcnt(0)
	global_atomic_cmpswap_x2 v[2:3], v12, v[14:17], s[10:11] offset:32 glc
	s_waitcnt vmcnt(0)
	v_cmp_ne_u64_e32 vcc, v[2:3], v[16:17]
	s_and_saveexec_b64 s[14:15], vcc
	s_cbranch_execz .LBB1_238
; %bb.236:
	s_mov_b64 s[16:17], 0
.LBB1_237:                              ; =>This Inner Loop Header: Depth=1
	s_sleep 1
	global_store_dwordx2 v[6:7], v[2:3], off
	v_mov_b32_e32 v0, s6
	v_mov_b32_e32 v1, s7
	buffer_wbl2
	s_waitcnt vmcnt(0)
	global_atomic_cmpswap_x2 v[0:1], v12, v[0:3], s[10:11] offset:32 glc
	s_waitcnt vmcnt(0)
	v_cmp_eq_u64_e32 vcc, v[0:1], v[2:3]
	s_or_b64 s[16:17], vcc, s[16:17]
	v_pk_mov_b32 v[2:3], v[0:1], v[0:1] op_sel:[0,1]
	s_andn2_b64 exec, exec, s[16:17]
	s_cbranch_execnz .LBB1_237
.LBB1_238:
	s_or_b64 exec, exec, s[14:15]
	v_mov_b32_e32 v3, 0
	global_load_dwordx2 v[0:1], v3, s[10:11] offset:16
	s_mov_b64 s[14:15], exec
	v_mbcnt_lo_u32_b32 v2, s14, 0
	v_mbcnt_hi_u32_b32 v2, s15, v2
	v_cmp_eq_u32_e32 vcc, 0, v2
	s_and_saveexec_b64 s[16:17], vcc
	s_cbranch_execz .LBB1_240
; %bb.239:
	s_bcnt1_i32_b64 s14, s[14:15]
	v_mov_b32_e32 v2, s14
	buffer_wbl2
	s_waitcnt vmcnt(0)
	global_atomic_add_x2 v[0:1], v[2:3], off offset:8
.LBB1_240:
	s_or_b64 exec, exec, s[16:17]
	s_waitcnt vmcnt(0)
	global_load_dwordx2 v[2:3], v[0:1], off offset:16
	s_waitcnt vmcnt(0)
	v_cmp_eq_u64_e32 vcc, 0, v[2:3]
	s_cbranch_vccnz .LBB1_242
; %bb.241:
	global_load_dword v0, v[0:1], off offset:24
	v_mov_b32_e32 v1, 0
	buffer_wbl2
	s_waitcnt vmcnt(0)
	global_store_dwordx2 v[2:3], v[0:1], off
	v_and_b32_e32 v0, 0xffffff, v0
	v_readfirstlane_b32 m0, v0
	s_sendmsg sendmsg(MSG_INTERRUPT)
.LBB1_242:
	s_or_b64 exec, exec, s[12:13]
	s_branch .LBB1_246
.LBB1_243:                              ;   in Loop: Header=BB1_246 Depth=1
	s_or_b64 exec, exec, s[12:13]
	v_readfirstlane_b32 s12, v0
	s_cmp_eq_u32 s12, 0
	s_cbranch_scc1 .LBB1_245
; %bb.244:                              ;   in Loop: Header=BB1_246 Depth=1
	s_sleep 1
	s_cbranch_execnz .LBB1_246
	s_branch .LBB1_248
.LBB1_245:
	s_branch .LBB1_248
.LBB1_246:                              ; =>This Inner Loop Header: Depth=1
	v_mov_b32_e32 v0, 1
	s_and_saveexec_b64 s[12:13], s[4:5]
	s_cbranch_execz .LBB1_243
; %bb.247:                              ;   in Loop: Header=BB1_246 Depth=1
	global_load_dword v0, v[10:11], off offset:20 glc
	s_waitcnt vmcnt(0)
	buffer_invl2
	buffer_wbinvl1_vol
	v_and_b32_e32 v0, 1, v0
	s_branch .LBB1_243
.LBB1_248:
	global_load_dwordx2 v[6:7], v[8:9], off
	s_and_saveexec_b64 s[12:13], s[4:5]
	s_cbranch_execz .LBB1_251
; %bb.249:
	v_mov_b32_e32 v10, 0
	global_load_dwordx2 v[8:9], v10, s[10:11] offset:40
	global_load_dwordx2 v[12:13], v10, s[10:11] offset:24 glc
	global_load_dwordx2 v[14:15], v10, s[10:11]
	v_mov_b32_e32 v1, s7
	s_mov_b64 s[4:5], 0
	s_waitcnt vmcnt(2)
	v_add_co_u32_e32 v3, vcc, 1, v8
	v_addc_co_u32_e32 v11, vcc, 0, v9, vcc
	v_add_co_u32_e32 v0, vcc, s6, v3
	v_addc_co_u32_e32 v1, vcc, v11, v1, vcc
	v_cmp_eq_u64_e32 vcc, 0, v[0:1]
	v_cndmask_b32_e32 v1, v1, v11, vcc
	v_cndmask_b32_e32 v0, v0, v3, vcc
	v_and_b32_e32 v3, v1, v9
	v_and_b32_e32 v8, v0, v8
	v_mul_lo_u32 v3, v3, 24
	v_mul_hi_u32 v9, v8, 24
	v_mul_lo_u32 v8, v8, 24
	v_add_u32_e32 v3, v9, v3
	s_waitcnt vmcnt(0)
	v_add_co_u32_e32 v8, vcc, v14, v8
	v_addc_co_u32_e32 v9, vcc, v15, v3, vcc
	v_mov_b32_e32 v2, v12
	global_store_dwordx2 v[8:9], v[12:13], off
	v_mov_b32_e32 v3, v13
	buffer_wbl2
	s_waitcnt vmcnt(0)
	global_atomic_cmpswap_x2 v[2:3], v10, v[0:3], s[10:11] offset:24 glc
	s_waitcnt vmcnt(0)
	v_cmp_ne_u64_e32 vcc, v[2:3], v[12:13]
	s_and_b64 exec, exec, vcc
	s_cbranch_execz .LBB1_251
.LBB1_250:                              ; =>This Inner Loop Header: Depth=1
	s_sleep 1
	global_store_dwordx2 v[8:9], v[2:3], off
	buffer_wbl2
	s_waitcnt vmcnt(0)
	global_atomic_cmpswap_x2 v[12:13], v10, v[0:3], s[10:11] offset:24 glc
	s_waitcnt vmcnt(0)
	v_cmp_eq_u64_e32 vcc, v[12:13], v[2:3]
	s_or_b64 s[4:5], vcc, s[4:5]
	v_pk_mov_b32 v[2:3], v[12:13], v[12:13] op_sel:[0,1]
	s_andn2_b64 exec, exec, s[4:5]
	s_cbranch_execnz .LBB1_250
.LBB1_251:
	s_or_b64 exec, exec, s[12:13]
.LBB1_252:
	v_readfirstlane_b32 s4, v37
	v_cmp_eq_u32_e64 s[4:5], s4, v37
	v_pk_mov_b32 v[10:11], 0, 0
	s_and_saveexec_b64 s[6:7], s[4:5]
	s_cbranch_execz .LBB1_258
; %bb.253:
	s_waitcnt vmcnt(0)
	v_mov_b32_e32 v0, 0
	global_load_dwordx2 v[12:13], v0, s[10:11] offset:24 glc
	s_waitcnt vmcnt(0)
	buffer_invl2
	buffer_wbinvl1_vol
	global_load_dwordx2 v[2:3], v0, s[10:11] offset:40
	global_load_dwordx2 v[8:9], v0, s[10:11]
	s_waitcnt vmcnt(1)
	v_and_b32_e32 v1, v2, v12
	v_and_b32_e32 v2, v3, v13
	v_mul_lo_u32 v2, v2, 24
	v_mul_hi_u32 v3, v1, 24
	v_mul_lo_u32 v1, v1, 24
	v_add_u32_e32 v3, v3, v2
	s_waitcnt vmcnt(0)
	v_add_co_u32_e32 v2, vcc, v8, v1
	v_addc_co_u32_e32 v3, vcc, v9, v3, vcc
	global_load_dwordx2 v[10:11], v[2:3], off glc
	s_waitcnt vmcnt(0)
	global_atomic_cmpswap_x2 v[10:11], v0, v[10:13], s[10:11] offset:24 glc
	s_waitcnt vmcnt(0)
	buffer_invl2
	buffer_wbinvl1_vol
	v_cmp_ne_u64_e32 vcc, v[10:11], v[12:13]
	s_and_saveexec_b64 s[12:13], vcc
	s_cbranch_execz .LBB1_257
; %bb.254:
	s_mov_b64 s[14:15], 0
.LBB1_255:                              ; =>This Inner Loop Header: Depth=1
	s_sleep 1
	global_load_dwordx2 v[2:3], v0, s[10:11] offset:40
	global_load_dwordx2 v[8:9], v0, s[10:11]
	v_pk_mov_b32 v[12:13], v[10:11], v[10:11] op_sel:[0,1]
	s_waitcnt vmcnt(1)
	v_and_b32_e32 v2, v2, v12
	v_and_b32_e32 v1, v3, v13
	s_waitcnt vmcnt(0)
	v_mad_u64_u32 v[2:3], s[16:17], v2, 24, v[8:9]
	v_mov_b32_e32 v8, v3
	v_mad_u64_u32 v[8:9], s[16:17], v1, 24, v[8:9]
	v_mov_b32_e32 v3, v8
	global_load_dwordx2 v[10:11], v[2:3], off glc
	s_waitcnt vmcnt(0)
	global_atomic_cmpswap_x2 v[10:11], v0, v[10:13], s[10:11] offset:24 glc
	s_waitcnt vmcnt(0)
	buffer_invl2
	buffer_wbinvl1_vol
	v_cmp_eq_u64_e32 vcc, v[10:11], v[12:13]
	s_or_b64 s[14:15], vcc, s[14:15]
	s_andn2_b64 exec, exec, s[14:15]
	s_cbranch_execnz .LBB1_255
; %bb.256:
	s_or_b64 exec, exec, s[14:15]
.LBB1_257:
	s_or_b64 exec, exec, s[12:13]
.LBB1_258:
	s_or_b64 exec, exec, s[6:7]
	s_waitcnt vmcnt(0)
	v_mov_b32_e32 v9, 0
	global_load_dwordx2 v[12:13], v9, s[10:11] offset:40
	global_load_dwordx4 v[0:3], v9, s[10:11]
	v_readfirstlane_b32 s6, v10
	v_readfirstlane_b32 s7, v11
	s_mov_b64 s[12:13], exec
	s_waitcnt vmcnt(1)
	v_readfirstlane_b32 s14, v12
	v_readfirstlane_b32 s15, v13
	s_and_b64 s[14:15], s[6:7], s[14:15]
	s_mul_i32 s16, s15, 24
	s_mul_hi_u32 s17, s14, 24
	s_mul_i32 s18, s14, 24
	s_add_i32 s16, s17, s16
	v_mov_b32_e32 v8, s16
	s_waitcnt vmcnt(0)
	v_add_co_u32_e32 v10, vcc, s18, v0
	v_addc_co_u32_e32 v11, vcc, v1, v8, vcc
	s_and_saveexec_b64 s[16:17], s[4:5]
	s_cbranch_execz .LBB1_260
; %bb.259:
	v_pk_mov_b32 v[12:13], s[12:13], s[12:13] op_sel:[0,1]
	v_mov_b32_e32 v14, 2
	v_mov_b32_e32 v15, 1
	global_store_dwordx4 v[10:11], v[12:15], off offset:8
.LBB1_260:
	s_or_b64 exec, exec, s[16:17]
	s_lshl_b64 s[12:13], s[14:15], 12
	v_mov_b32_e32 v8, s13
	v_add_co_u32_e32 v2, vcc, s12, v2
	s_movk_i32 s12, 0xff1f
	v_addc_co_u32_e32 v3, vcc, v3, v8, vcc
	v_and_or_b32 v6, v6, s12, 32
	s_mov_b32 s12, 0
	v_mov_b32_e32 v8, 0x331
	v_readfirstlane_b32 s16, v2
	v_readfirstlane_b32 s17, v3
	s_mov_b32 s13, s12
	v_add_co_u32_e32 v12, vcc, v2, v36
	s_mov_b32 s14, s12
	s_mov_b32 s15, s12
	s_nop 0
	global_store_dwordx4 v36, v[6:9], s[16:17]
	v_addc_co_u32_e32 v13, vcc, 0, v3, vcc
	v_pk_mov_b32 v[6:7], s[12:13], s[12:13] op_sel:[0,1]
	v_pk_mov_b32 v[8:9], s[14:15], s[14:15] op_sel:[0,1]
	global_store_dwordx4 v36, v[6:9], s[16:17] offset:16
	global_store_dwordx4 v36, v[6:9], s[16:17] offset:32
	;; [unrolled: 1-line block ×3, first 2 shown]
	s_and_saveexec_b64 s[12:13], s[4:5]
	s_cbranch_execz .LBB1_268
; %bb.261:
	v_mov_b32_e32 v8, 0
	global_load_dwordx2 v[16:17], v8, s[10:11] offset:32 glc
	global_load_dwordx2 v[2:3], v8, s[10:11] offset:40
	v_mov_b32_e32 v14, s6
	v_mov_b32_e32 v15, s7
	s_waitcnt vmcnt(0)
	v_readfirstlane_b32 s14, v2
	v_readfirstlane_b32 s15, v3
	s_and_b64 s[14:15], s[14:15], s[6:7]
	s_mul_i32 s15, s15, 24
	s_mul_hi_u32 s16, s14, 24
	s_mul_i32 s14, s14, 24
	s_add_i32 s15, s16, s15
	v_mov_b32_e32 v2, s15
	v_add_co_u32_e32 v6, vcc, s14, v0
	v_addc_co_u32_e32 v7, vcc, v1, v2, vcc
	global_store_dwordx2 v[6:7], v[16:17], off
	buffer_wbl2
	s_waitcnt vmcnt(0)
	global_atomic_cmpswap_x2 v[2:3], v8, v[14:17], s[10:11] offset:32 glc
	s_waitcnt vmcnt(0)
	v_cmp_ne_u64_e32 vcc, v[2:3], v[16:17]
	s_and_saveexec_b64 s[14:15], vcc
	s_cbranch_execz .LBB1_264
; %bb.262:
	s_mov_b64 s[16:17], 0
.LBB1_263:                              ; =>This Inner Loop Header: Depth=1
	s_sleep 1
	global_store_dwordx2 v[6:7], v[2:3], off
	v_mov_b32_e32 v0, s6
	v_mov_b32_e32 v1, s7
	buffer_wbl2
	s_waitcnt vmcnt(0)
	global_atomic_cmpswap_x2 v[0:1], v8, v[0:3], s[10:11] offset:32 glc
	s_waitcnt vmcnt(0)
	v_cmp_eq_u64_e32 vcc, v[0:1], v[2:3]
	s_or_b64 s[16:17], vcc, s[16:17]
	v_pk_mov_b32 v[2:3], v[0:1], v[0:1] op_sel:[0,1]
	s_andn2_b64 exec, exec, s[16:17]
	s_cbranch_execnz .LBB1_263
.LBB1_264:
	s_or_b64 exec, exec, s[14:15]
	v_mov_b32_e32 v3, 0
	global_load_dwordx2 v[0:1], v3, s[10:11] offset:16
	s_mov_b64 s[14:15], exec
	v_mbcnt_lo_u32_b32 v2, s14, 0
	v_mbcnt_hi_u32_b32 v2, s15, v2
	v_cmp_eq_u32_e32 vcc, 0, v2
	s_and_saveexec_b64 s[16:17], vcc
	s_cbranch_execz .LBB1_266
; %bb.265:
	s_bcnt1_i32_b64 s14, s[14:15]
	v_mov_b32_e32 v2, s14
	buffer_wbl2
	s_waitcnt vmcnt(0)
	global_atomic_add_x2 v[0:1], v[2:3], off offset:8
.LBB1_266:
	s_or_b64 exec, exec, s[16:17]
	s_waitcnt vmcnt(0)
	global_load_dwordx2 v[2:3], v[0:1], off offset:16
	s_waitcnt vmcnt(0)
	v_cmp_eq_u64_e32 vcc, 0, v[2:3]
	s_cbranch_vccnz .LBB1_268
; %bb.267:
	global_load_dword v0, v[0:1], off offset:24
	v_mov_b32_e32 v1, 0
	buffer_wbl2
	s_waitcnt vmcnt(0)
	global_store_dwordx2 v[2:3], v[0:1], off
	v_and_b32_e32 v0, 0xffffff, v0
	v_readfirstlane_b32 m0, v0
	s_sendmsg sendmsg(MSG_INTERRUPT)
.LBB1_268:
	s_or_b64 exec, exec, s[12:13]
	s_branch .LBB1_272
.LBB1_269:                              ;   in Loop: Header=BB1_272 Depth=1
	s_or_b64 exec, exec, s[12:13]
	v_readfirstlane_b32 s12, v0
	s_cmp_eq_u32 s12, 0
	s_cbranch_scc1 .LBB1_271
; %bb.270:                              ;   in Loop: Header=BB1_272 Depth=1
	s_sleep 1
	s_cbranch_execnz .LBB1_272
	s_branch .LBB1_274
.LBB1_271:
	s_branch .LBB1_274
.LBB1_272:                              ; =>This Inner Loop Header: Depth=1
	v_mov_b32_e32 v0, 1
	s_and_saveexec_b64 s[12:13], s[4:5]
	s_cbranch_execz .LBB1_269
; %bb.273:                              ;   in Loop: Header=BB1_272 Depth=1
	global_load_dword v0, v[10:11], off offset:20 glc
	s_waitcnt vmcnt(0)
	buffer_invl2
	buffer_wbinvl1_vol
	v_and_b32_e32 v0, 1, v0
	s_branch .LBB1_269
.LBB1_274:
	global_load_dwordx2 v[0:1], v[12:13], off
	s_and_saveexec_b64 s[12:13], s[4:5]
	s_cbranch_execz .LBB1_277
; %bb.275:
	v_mov_b32_e32 v10, 0
	global_load_dwordx2 v[2:3], v10, s[10:11] offset:40
	global_load_dwordx2 v[12:13], v10, s[10:11] offset:24 glc
	global_load_dwordx2 v[14:15], v10, s[10:11]
	v_mov_b32_e32 v7, s7
	s_mov_b64 s[4:5], 0
	s_waitcnt vmcnt(2)
	v_add_co_u32_e32 v9, vcc, 1, v2
	v_addc_co_u32_e32 v11, vcc, 0, v3, vcc
	v_add_co_u32_e32 v6, vcc, s6, v9
	v_addc_co_u32_e32 v7, vcc, v11, v7, vcc
	v_cmp_eq_u64_e32 vcc, 0, v[6:7]
	v_cndmask_b32_e32 v7, v7, v11, vcc
	v_cndmask_b32_e32 v6, v6, v9, vcc
	v_and_b32_e32 v3, v7, v3
	v_and_b32_e32 v2, v6, v2
	v_mul_lo_u32 v3, v3, 24
	v_mul_hi_u32 v9, v2, 24
	v_mul_lo_u32 v2, v2, 24
	v_add_u32_e32 v3, v9, v3
	s_waitcnt vmcnt(0)
	v_add_co_u32_e32 v2, vcc, v14, v2
	v_addc_co_u32_e32 v3, vcc, v15, v3, vcc
	v_mov_b32_e32 v8, v12
	global_store_dwordx2 v[2:3], v[12:13], off
	v_mov_b32_e32 v9, v13
	buffer_wbl2
	s_waitcnt vmcnt(0)
	global_atomic_cmpswap_x2 v[8:9], v10, v[6:9], s[10:11] offset:24 glc
	s_waitcnt vmcnt(0)
	v_cmp_ne_u64_e32 vcc, v[8:9], v[12:13]
	s_and_b64 exec, exec, vcc
	s_cbranch_execz .LBB1_277
.LBB1_276:                              ; =>This Inner Loop Header: Depth=1
	s_sleep 1
	global_store_dwordx2 v[2:3], v[8:9], off
	buffer_wbl2
	s_waitcnt vmcnt(0)
	global_atomic_cmpswap_x2 v[12:13], v10, v[6:9], s[10:11] offset:24 glc
	s_waitcnt vmcnt(0)
	v_cmp_eq_u64_e32 vcc, v[12:13], v[8:9]
	s_or_b64 s[4:5], vcc, s[4:5]
	v_pk_mov_b32 v[8:9], v[12:13], v[12:13] op_sel:[0,1]
	s_andn2_b64 exec, exec, s[4:5]
	s_cbranch_execnz .LBB1_276
.LBB1_277:
	s_or_b64 exec, exec, s[12:13]
	s_mov_b64 s[4:5], 0
	v_pk_mov_b32 v[6:7], v[4:5], v[4:5] op_sel:[0,1]
.LBB1_278:                              ; =>This Inner Loop Header: Depth=1
	flat_load_ubyte v8, v[6:7]
	v_add_co_u32_e32 v2, vcc, 1, v6
	v_addc_co_u32_e32 v3, vcc, 0, v7, vcc
	v_pk_mov_b32 v[6:7], v[2:3], v[2:3] op_sel:[0,1]
	s_waitcnt vmcnt(0) lgkmcnt(0)
	v_cmp_eq_u16_e32 vcc, 0, v8
	s_or_b64 s[4:5], vcc, s[4:5]
	s_andn2_b64 exec, exec, s[4:5]
	s_cbranch_execnz .LBB1_278
; %bb.279:
	s_or_b64 exec, exec, s[4:5]
	s_mov_b64 s[6:7], 0
	v_cmp_ne_u64_e32 vcc, 0, v[4:5]
	s_and_saveexec_b64 s[4:5], vcc
	s_xor_b64 s[12:13], exec, s[4:5]
	s_cbranch_execz .LBB1_365
; %bb.280:
	v_sub_u32_e32 v26, v2, v4
	v_ashrrev_i32_e32 v27, 31, v26
	v_and_b32_e32 v28, 2, v0
	v_mov_b32_e32 v31, 0
	v_and_b32_e32 v0, -3, v0
	s_mov_b32 s22, 0
	s_movk_i32 s23, 0xff1f
	v_mov_b32_e32 v8, 2
	v_mov_b32_e32 v9, 1
	s_branch .LBB1_282
.LBB1_281:                              ;   in Loop: Header=BB1_282 Depth=1
	s_or_b64 exec, exec, s[16:17]
	v_sub_co_u32_e32 v26, vcc, v26, v32
	v_subb_co_u32_e32 v27, vcc, v27, v33, vcc
	v_cmp_eq_u64_e32 vcc, 0, v[26:27]
	s_or_b64 s[6:7], vcc, s[6:7]
	v_add_co_u32_e32 v4, vcc, v4, v32
	v_addc_co_u32_e32 v5, vcc, v5, v33, vcc
	s_andn2_b64 exec, exec, s[6:7]
	s_cbranch_execz .LBB1_364
.LBB1_282:                              ; =>This Loop Header: Depth=1
                                        ;     Child Loop BB1_285 Depth 2
                                        ;     Child Loop BB1_293 Depth 2
                                        ;     Child Loop BB1_301 Depth 2
                                        ;     Child Loop BB1_309 Depth 2
                                        ;     Child Loop BB1_317 Depth 2
                                        ;     Child Loop BB1_325 Depth 2
                                        ;     Child Loop BB1_333 Depth 2
                                        ;     Child Loop BB1_341 Depth 2
                                        ;     Child Loop BB1_349 Depth 2
                                        ;     Child Loop BB1_358 Depth 2
                                        ;     Child Loop BB1_363 Depth 2
	v_cmp_gt_u64_e32 vcc, 56, v[26:27]
	v_cndmask_b32_e32 v33, 0, v27, vcc
	v_cndmask_b32_e32 v32, 56, v26, vcc
	v_cmp_gt_u64_e32 vcc, 8, v[26:27]
                                        ; implicit-def: $vgpr2_vgpr3
                                        ; implicit-def: $sgpr14
	s_and_saveexec_b64 s[4:5], vcc
	s_xor_b64 s[4:5], exec, s[4:5]
	s_cbranch_execz .LBB1_288
; %bb.283:                              ;   in Loop: Header=BB1_282 Depth=1
	s_mov_b64 s[16:17], 0
	v_cmp_ne_u64_e32 vcc, 0, v[26:27]
	s_waitcnt vmcnt(0)
	v_pk_mov_b32 v[2:3], 0, 0
	s_and_saveexec_b64 s[14:15], vcc
	s_cbranch_execz .LBB1_287
; %bb.284:                              ;   in Loop: Header=BB1_282 Depth=1
	v_lshlrev_b64 v[6:7], 3, v[32:33]
	v_pk_mov_b32 v[2:3], 0, 0
	v_pk_mov_b32 v[10:11], v[4:5], v[4:5] op_sel:[0,1]
	s_mov_b64 s[18:19], 0
.LBB1_285:                              ;   Parent Loop BB1_282 Depth=1
                                        ; =>  This Inner Loop Header: Depth=2
	flat_load_ubyte v7, v[10:11]
	v_mov_b32_e32 v13, s22
	v_add_co_u32_e32 v10, vcc, 1, v10
	v_addc_co_u32_e32 v11, vcc, 0, v11, vcc
	s_waitcnt vmcnt(0) lgkmcnt(0)
	v_and_b32_e32 v12, 0xffff, v7
	v_lshlrev_b64 v[12:13], s18, v[12:13]
	s_add_u32 s18, s18, 8
	s_addc_u32 s19, s19, 0
	v_cmp_eq_u32_e32 vcc, s18, v6
	v_or_b32_e32 v3, v13, v3
	s_or_b64 s[16:17], vcc, s[16:17]
	v_or_b32_e32 v2, v12, v2
	s_andn2_b64 exec, exec, s[16:17]
	s_cbranch_execnz .LBB1_285
; %bb.286:                              ;   in Loop: Header=BB1_282 Depth=1
	s_or_b64 exec, exec, s[16:17]
.LBB1_287:                              ;   in Loop: Header=BB1_282 Depth=1
	s_or_b64 exec, exec, s[14:15]
	s_mov_b32 s14, 0
.LBB1_288:                              ;   in Loop: Header=BB1_282 Depth=1
	s_or_saveexec_b64 s[4:5], s[4:5]
	v_mov_b32_e32 v12, s14
	v_pk_mov_b32 v[6:7], v[4:5], v[4:5] op_sel:[0,1]
	s_xor_b64 exec, exec, s[4:5]
	s_cbranch_execz .LBB1_290
; %bb.289:                              ;   in Loop: Header=BB1_282 Depth=1
	s_waitcnt vmcnt(0)
	flat_load_dwordx2 v[2:3], v[4:5]
	v_add_u32_e32 v12, -8, v32
	s_waitcnt vmcnt(0) lgkmcnt(0)
	v_and_b32_e32 v6, 0xff, v3
	v_and_b32_e32 v7, 0xff00, v3
	;; [unrolled: 1-line block ×4, first 2 shown]
	v_or_b32_e32 v6, v6, v7
	v_or3_b32 v3, v6, v10, v3
	v_add_co_u32_e32 v6, vcc, 8, v4
	v_or3_b32 v2, v2, 0, 0
	v_addc_co_u32_e32 v7, vcc, 0, v5, vcc
.LBB1_290:                              ;   in Loop: Header=BB1_282 Depth=1
	s_or_b64 exec, exec, s[4:5]
	v_cmp_gt_u32_e32 vcc, 8, v12
                                        ; implicit-def: $vgpr10_vgpr11
                                        ; implicit-def: $sgpr14
	s_and_saveexec_b64 s[4:5], vcc
	s_xor_b64 s[4:5], exec, s[4:5]
	s_cbranch_execz .LBB1_296
; %bb.291:                              ;   in Loop: Header=BB1_282 Depth=1
	v_cmp_ne_u32_e32 vcc, 0, v12
	v_pk_mov_b32 v[10:11], 0, 0
	s_and_saveexec_b64 s[14:15], vcc
	s_cbranch_execz .LBB1_295
; %bb.292:                              ;   in Loop: Header=BB1_282 Depth=1
	s_mov_b64 s[16:17], 0
	v_pk_mov_b32 v[10:11], 0, 0
	s_mov_b64 s[18:19], 0
	s_mov_b64 s[20:21], 0
.LBB1_293:                              ;   Parent Loop BB1_282 Depth=1
                                        ; =>  This Inner Loop Header: Depth=2
	v_mov_b32_e32 v13, s21
	v_add_co_u32_e32 v14, vcc, s20, v6
	v_addc_co_u32_e32 v15, vcc, v7, v13, vcc
	flat_load_ubyte v13, v[14:15]
	s_add_u32 s20, s20, 1
	v_mov_b32_e32 v15, s22
	s_addc_u32 s21, s21, 0
	v_cmp_eq_u32_e32 vcc, s20, v12
	s_waitcnt vmcnt(0) lgkmcnt(0)
	v_and_b32_e32 v14, 0xffff, v13
	v_lshlrev_b64 v[14:15], s18, v[14:15]
	s_add_u32 s18, s18, 8
	s_addc_u32 s19, s19, 0
	v_or_b32_e32 v11, v15, v11
	s_or_b64 s[16:17], vcc, s[16:17]
	v_or_b32_e32 v10, v14, v10
	s_andn2_b64 exec, exec, s[16:17]
	s_cbranch_execnz .LBB1_293
; %bb.294:                              ;   in Loop: Header=BB1_282 Depth=1
	s_or_b64 exec, exec, s[16:17]
.LBB1_295:                              ;   in Loop: Header=BB1_282 Depth=1
	s_or_b64 exec, exec, s[14:15]
	s_mov_b32 s14, 0
                                        ; implicit-def: $vgpr12
.LBB1_296:                              ;   in Loop: Header=BB1_282 Depth=1
	s_or_saveexec_b64 s[4:5], s[4:5]
	v_mov_b32_e32 v14, s14
	s_xor_b64 exec, exec, s[4:5]
	s_cbranch_execz .LBB1_298
; %bb.297:                              ;   in Loop: Header=BB1_282 Depth=1
	flat_load_dwordx2 v[10:11], v[6:7]
	v_add_u32_e32 v14, -8, v12
	v_add_co_u32_e32 v6, vcc, 8, v6
	v_addc_co_u32_e32 v7, vcc, 0, v7, vcc
	s_waitcnt vmcnt(0) lgkmcnt(0)
	v_and_b32_e32 v12, 0xff, v11
	v_and_b32_e32 v13, 0xff00, v11
	;; [unrolled: 1-line block ×4, first 2 shown]
	v_or_b32_e32 v12, v12, v13
	v_or3_b32 v10, v10, 0, 0
	v_or3_b32 v11, v12, v15, v11
.LBB1_298:                              ;   in Loop: Header=BB1_282 Depth=1
	s_or_b64 exec, exec, s[4:5]
	v_cmp_gt_u32_e32 vcc, 8, v14
                                        ; implicit-def: $sgpr14
	s_and_saveexec_b64 s[4:5], vcc
	s_xor_b64 s[4:5], exec, s[4:5]
	s_cbranch_execz .LBB1_304
; %bb.299:                              ;   in Loop: Header=BB1_282 Depth=1
	v_cmp_ne_u32_e32 vcc, 0, v14
	v_pk_mov_b32 v[12:13], 0, 0
	s_and_saveexec_b64 s[14:15], vcc
	s_cbranch_execz .LBB1_303
; %bb.300:                              ;   in Loop: Header=BB1_282 Depth=1
	s_mov_b64 s[16:17], 0
	v_pk_mov_b32 v[12:13], 0, 0
	s_mov_b64 s[18:19], 0
	s_mov_b64 s[20:21], 0
.LBB1_301:                              ;   Parent Loop BB1_282 Depth=1
                                        ; =>  This Inner Loop Header: Depth=2
	v_mov_b32_e32 v15, s21
	v_add_co_u32_e32 v16, vcc, s20, v6
	v_addc_co_u32_e32 v17, vcc, v7, v15, vcc
	flat_load_ubyte v15, v[16:17]
	s_add_u32 s20, s20, 1
	v_mov_b32_e32 v17, s22
	s_addc_u32 s21, s21, 0
	v_cmp_eq_u32_e32 vcc, s20, v14
	s_waitcnt vmcnt(0) lgkmcnt(0)
	v_and_b32_e32 v16, 0xffff, v15
	v_lshlrev_b64 v[16:17], s18, v[16:17]
	s_add_u32 s18, s18, 8
	s_addc_u32 s19, s19, 0
	v_or_b32_e32 v13, v17, v13
	s_or_b64 s[16:17], vcc, s[16:17]
	v_or_b32_e32 v12, v16, v12
	s_andn2_b64 exec, exec, s[16:17]
	s_cbranch_execnz .LBB1_301
; %bb.302:                              ;   in Loop: Header=BB1_282 Depth=1
	s_or_b64 exec, exec, s[16:17]
.LBB1_303:                              ;   in Loop: Header=BB1_282 Depth=1
	s_or_b64 exec, exec, s[14:15]
	s_mov_b32 s14, 0
                                        ; implicit-def: $vgpr14
.LBB1_304:                              ;   in Loop: Header=BB1_282 Depth=1
	s_or_saveexec_b64 s[4:5], s[4:5]
	v_mov_b32_e32 v16, s14
	s_xor_b64 exec, exec, s[4:5]
	s_cbranch_execz .LBB1_306
; %bb.305:                              ;   in Loop: Header=BB1_282 Depth=1
	flat_load_dwordx2 v[12:13], v[6:7]
	v_add_u32_e32 v16, -8, v14
	v_add_co_u32_e32 v6, vcc, 8, v6
	v_addc_co_u32_e32 v7, vcc, 0, v7, vcc
	s_waitcnt vmcnt(0) lgkmcnt(0)
	v_and_b32_e32 v14, 0xff, v13
	v_and_b32_e32 v15, 0xff00, v13
	;; [unrolled: 1-line block ×4, first 2 shown]
	v_or_b32_e32 v14, v14, v15
	v_or3_b32 v12, v12, 0, 0
	v_or3_b32 v13, v14, v17, v13
.LBB1_306:                              ;   in Loop: Header=BB1_282 Depth=1
	s_or_b64 exec, exec, s[4:5]
	v_cmp_gt_u32_e32 vcc, 8, v16
                                        ; implicit-def: $vgpr14_vgpr15
                                        ; implicit-def: $sgpr14
	s_and_saveexec_b64 s[4:5], vcc
	s_xor_b64 s[4:5], exec, s[4:5]
	s_cbranch_execz .LBB1_312
; %bb.307:                              ;   in Loop: Header=BB1_282 Depth=1
	v_cmp_ne_u32_e32 vcc, 0, v16
	v_pk_mov_b32 v[14:15], 0, 0
	s_and_saveexec_b64 s[14:15], vcc
	s_cbranch_execz .LBB1_311
; %bb.308:                              ;   in Loop: Header=BB1_282 Depth=1
	s_mov_b64 s[16:17], 0
	v_pk_mov_b32 v[14:15], 0, 0
	s_mov_b64 s[18:19], 0
	s_mov_b64 s[20:21], 0
.LBB1_309:                              ;   Parent Loop BB1_282 Depth=1
                                        ; =>  This Inner Loop Header: Depth=2
	v_mov_b32_e32 v17, s21
	v_add_co_u32_e32 v18, vcc, s20, v6
	v_addc_co_u32_e32 v19, vcc, v7, v17, vcc
	flat_load_ubyte v17, v[18:19]
	s_add_u32 s20, s20, 1
	v_mov_b32_e32 v19, s22
	s_addc_u32 s21, s21, 0
	v_cmp_eq_u32_e32 vcc, s20, v16
	s_waitcnt vmcnt(0) lgkmcnt(0)
	v_and_b32_e32 v18, 0xffff, v17
	v_lshlrev_b64 v[18:19], s18, v[18:19]
	s_add_u32 s18, s18, 8
	s_addc_u32 s19, s19, 0
	v_or_b32_e32 v15, v19, v15
	s_or_b64 s[16:17], vcc, s[16:17]
	v_or_b32_e32 v14, v18, v14
	s_andn2_b64 exec, exec, s[16:17]
	s_cbranch_execnz .LBB1_309
; %bb.310:                              ;   in Loop: Header=BB1_282 Depth=1
	s_or_b64 exec, exec, s[16:17]
.LBB1_311:                              ;   in Loop: Header=BB1_282 Depth=1
	s_or_b64 exec, exec, s[14:15]
	s_mov_b32 s14, 0
                                        ; implicit-def: $vgpr16
.LBB1_312:                              ;   in Loop: Header=BB1_282 Depth=1
	s_or_saveexec_b64 s[4:5], s[4:5]
	v_mov_b32_e32 v18, s14
	s_xor_b64 exec, exec, s[4:5]
	s_cbranch_execz .LBB1_314
; %bb.313:                              ;   in Loop: Header=BB1_282 Depth=1
	flat_load_dwordx2 v[14:15], v[6:7]
	v_add_u32_e32 v18, -8, v16
	v_add_co_u32_e32 v6, vcc, 8, v6
	v_addc_co_u32_e32 v7, vcc, 0, v7, vcc
	s_waitcnt vmcnt(0) lgkmcnt(0)
	v_and_b32_e32 v16, 0xff, v15
	v_and_b32_e32 v17, 0xff00, v15
	;; [unrolled: 1-line block ×4, first 2 shown]
	v_or_b32_e32 v16, v16, v17
	v_or3_b32 v14, v14, 0, 0
	v_or3_b32 v15, v16, v19, v15
.LBB1_314:                              ;   in Loop: Header=BB1_282 Depth=1
	s_or_b64 exec, exec, s[4:5]
	v_cmp_gt_u32_e32 vcc, 8, v18
                                        ; implicit-def: $sgpr14
	s_and_saveexec_b64 s[4:5], vcc
	s_xor_b64 s[4:5], exec, s[4:5]
	s_cbranch_execz .LBB1_320
; %bb.315:                              ;   in Loop: Header=BB1_282 Depth=1
	v_cmp_ne_u32_e32 vcc, 0, v18
	v_pk_mov_b32 v[16:17], 0, 0
	s_and_saveexec_b64 s[14:15], vcc
	s_cbranch_execz .LBB1_319
; %bb.316:                              ;   in Loop: Header=BB1_282 Depth=1
	s_mov_b64 s[16:17], 0
	v_pk_mov_b32 v[16:17], 0, 0
	s_mov_b64 s[18:19], 0
	s_mov_b64 s[20:21], 0
.LBB1_317:                              ;   Parent Loop BB1_282 Depth=1
                                        ; =>  This Inner Loop Header: Depth=2
	v_mov_b32_e32 v19, s21
	v_add_co_u32_e32 v20, vcc, s20, v6
	v_addc_co_u32_e32 v21, vcc, v7, v19, vcc
	flat_load_ubyte v19, v[20:21]
	s_add_u32 s20, s20, 1
	v_mov_b32_e32 v21, s22
	s_addc_u32 s21, s21, 0
	v_cmp_eq_u32_e32 vcc, s20, v18
	s_waitcnt vmcnt(0) lgkmcnt(0)
	v_and_b32_e32 v20, 0xffff, v19
	v_lshlrev_b64 v[20:21], s18, v[20:21]
	s_add_u32 s18, s18, 8
	s_addc_u32 s19, s19, 0
	v_or_b32_e32 v17, v21, v17
	s_or_b64 s[16:17], vcc, s[16:17]
	v_or_b32_e32 v16, v20, v16
	s_andn2_b64 exec, exec, s[16:17]
	s_cbranch_execnz .LBB1_317
; %bb.318:                              ;   in Loop: Header=BB1_282 Depth=1
	s_or_b64 exec, exec, s[16:17]
.LBB1_319:                              ;   in Loop: Header=BB1_282 Depth=1
	s_or_b64 exec, exec, s[14:15]
	s_mov_b32 s14, 0
                                        ; implicit-def: $vgpr18
.LBB1_320:                              ;   in Loop: Header=BB1_282 Depth=1
	s_or_saveexec_b64 s[4:5], s[4:5]
	v_mov_b32_e32 v20, s14
	s_xor_b64 exec, exec, s[4:5]
	s_cbranch_execz .LBB1_322
; %bb.321:                              ;   in Loop: Header=BB1_282 Depth=1
	flat_load_dwordx2 v[16:17], v[6:7]
	v_add_u32_e32 v20, -8, v18
	v_add_co_u32_e32 v6, vcc, 8, v6
	v_addc_co_u32_e32 v7, vcc, 0, v7, vcc
	s_waitcnt vmcnt(0) lgkmcnt(0)
	v_and_b32_e32 v18, 0xff, v17
	v_and_b32_e32 v19, 0xff00, v17
	;; [unrolled: 1-line block ×4, first 2 shown]
	v_or_b32_e32 v18, v18, v19
	v_or3_b32 v16, v16, 0, 0
	v_or3_b32 v17, v18, v21, v17
.LBB1_322:                              ;   in Loop: Header=BB1_282 Depth=1
	s_or_b64 exec, exec, s[4:5]
	v_cmp_gt_u32_e32 vcc, 8, v20
                                        ; implicit-def: $vgpr18_vgpr19
                                        ; implicit-def: $sgpr14
	s_and_saveexec_b64 s[4:5], vcc
	s_xor_b64 s[4:5], exec, s[4:5]
	s_cbranch_execz .LBB1_328
; %bb.323:                              ;   in Loop: Header=BB1_282 Depth=1
	v_cmp_ne_u32_e32 vcc, 0, v20
	v_pk_mov_b32 v[18:19], 0, 0
	s_and_saveexec_b64 s[14:15], vcc
	s_cbranch_execz .LBB1_327
; %bb.324:                              ;   in Loop: Header=BB1_282 Depth=1
	s_mov_b64 s[16:17], 0
	v_pk_mov_b32 v[18:19], 0, 0
	s_mov_b64 s[18:19], 0
	s_mov_b64 s[20:21], 0
.LBB1_325:                              ;   Parent Loop BB1_282 Depth=1
                                        ; =>  This Inner Loop Header: Depth=2
	v_mov_b32_e32 v21, s21
	v_add_co_u32_e32 v22, vcc, s20, v6
	v_addc_co_u32_e32 v23, vcc, v7, v21, vcc
	flat_load_ubyte v21, v[22:23]
	s_add_u32 s20, s20, 1
	v_mov_b32_e32 v23, s22
	s_addc_u32 s21, s21, 0
	v_cmp_eq_u32_e32 vcc, s20, v20
	s_waitcnt vmcnt(0) lgkmcnt(0)
	v_and_b32_e32 v22, 0xffff, v21
	v_lshlrev_b64 v[22:23], s18, v[22:23]
	s_add_u32 s18, s18, 8
	s_addc_u32 s19, s19, 0
	v_or_b32_e32 v19, v23, v19
	s_or_b64 s[16:17], vcc, s[16:17]
	v_or_b32_e32 v18, v22, v18
	s_andn2_b64 exec, exec, s[16:17]
	s_cbranch_execnz .LBB1_325
; %bb.326:                              ;   in Loop: Header=BB1_282 Depth=1
	s_or_b64 exec, exec, s[16:17]
.LBB1_327:                              ;   in Loop: Header=BB1_282 Depth=1
	s_or_b64 exec, exec, s[14:15]
	s_mov_b32 s14, 0
                                        ; implicit-def: $vgpr20
.LBB1_328:                              ;   in Loop: Header=BB1_282 Depth=1
	s_or_saveexec_b64 s[4:5], s[4:5]
	v_mov_b32_e32 v22, s14
	s_xor_b64 exec, exec, s[4:5]
	s_cbranch_execz .LBB1_330
; %bb.329:                              ;   in Loop: Header=BB1_282 Depth=1
	flat_load_dwordx2 v[18:19], v[6:7]
	v_add_u32_e32 v22, -8, v20
	v_add_co_u32_e32 v6, vcc, 8, v6
	v_addc_co_u32_e32 v7, vcc, 0, v7, vcc
	s_waitcnt vmcnt(0) lgkmcnt(0)
	v_and_b32_e32 v20, 0xff, v19
	v_and_b32_e32 v21, 0xff00, v19
	;; [unrolled: 1-line block ×4, first 2 shown]
	v_or_b32_e32 v20, v20, v21
	v_or3_b32 v18, v18, 0, 0
	v_or3_b32 v19, v20, v23, v19
.LBB1_330:                              ;   in Loop: Header=BB1_282 Depth=1
	s_or_b64 exec, exec, s[4:5]
	v_cmp_gt_u32_e32 vcc, 8, v22
	s_and_saveexec_b64 s[4:5], vcc
	s_xor_b64 s[4:5], exec, s[4:5]
	s_cbranch_execz .LBB1_336
; %bb.331:                              ;   in Loop: Header=BB1_282 Depth=1
	v_cmp_ne_u32_e32 vcc, 0, v22
	v_pk_mov_b32 v[20:21], 0, 0
	s_and_saveexec_b64 s[14:15], vcc
	s_cbranch_execz .LBB1_335
; %bb.332:                              ;   in Loop: Header=BB1_282 Depth=1
	s_mov_b64 s[16:17], 0
	v_pk_mov_b32 v[20:21], 0, 0
	s_mov_b64 s[18:19], 0
.LBB1_333:                              ;   Parent Loop BB1_282 Depth=1
                                        ; =>  This Inner Loop Header: Depth=2
	flat_load_ubyte v23, v[6:7]
	v_mov_b32_e32 v25, s22
	v_add_co_u32_e32 v6, vcc, 1, v6
	v_add_u32_e32 v22, -1, v22
	v_addc_co_u32_e32 v7, vcc, 0, v7, vcc
	v_cmp_eq_u32_e32 vcc, 0, v22
	s_waitcnt vmcnt(0) lgkmcnt(0)
	v_and_b32_e32 v24, 0xffff, v23
	v_lshlrev_b64 v[24:25], s18, v[24:25]
	s_add_u32 s18, s18, 8
	s_addc_u32 s19, s19, 0
	v_or_b32_e32 v21, v25, v21
	s_or_b64 s[16:17], vcc, s[16:17]
	v_or_b32_e32 v20, v24, v20
	s_andn2_b64 exec, exec, s[16:17]
	s_cbranch_execnz .LBB1_333
; %bb.334:                              ;   in Loop: Header=BB1_282 Depth=1
	s_or_b64 exec, exec, s[16:17]
.LBB1_335:                              ;   in Loop: Header=BB1_282 Depth=1
	s_or_b64 exec, exec, s[14:15]
                                        ; implicit-def: $vgpr6_vgpr7
.LBB1_336:                              ;   in Loop: Header=BB1_282 Depth=1
	s_andn2_saveexec_b64 s[4:5], s[4:5]
	s_cbranch_execz .LBB1_338
; %bb.337:                              ;   in Loop: Header=BB1_282 Depth=1
	flat_load_dwordx2 v[6:7], v[6:7]
	s_waitcnt vmcnt(0) lgkmcnt(0)
	v_and_b32_e32 v20, 0xff, v7
	v_and_b32_e32 v21, 0xff00, v7
	;; [unrolled: 1-line block ×4, first 2 shown]
	v_or_b32_e32 v20, v20, v21
	v_or3_b32 v21, v20, v22, v7
	v_or3_b32 v20, v6, 0, 0
.LBB1_338:                              ;   in Loop: Header=BB1_282 Depth=1
	s_or_b64 exec, exec, s[4:5]
	v_readfirstlane_b32 s4, v37
	v_cmp_eq_u32_e64 s[4:5], s4, v37
	v_pk_mov_b32 v[6:7], 0, 0
	s_and_saveexec_b64 s[14:15], s[4:5]
	s_cbranch_execz .LBB1_344
; %bb.339:                              ;   in Loop: Header=BB1_282 Depth=1
	global_load_dwordx2 v[24:25], v31, s[10:11] offset:24 glc
	s_waitcnt vmcnt(0)
	buffer_invl2
	buffer_wbinvl1_vol
	global_load_dwordx2 v[6:7], v31, s[10:11] offset:40
	global_load_dwordx2 v[22:23], v31, s[10:11]
	s_waitcnt vmcnt(1)
	v_and_b32_e32 v6, v6, v24
	v_and_b32_e32 v7, v7, v25
	v_mul_lo_u32 v7, v7, 24
	v_mul_hi_u32 v29, v6, 24
	v_mul_lo_u32 v6, v6, 24
	v_add_u32_e32 v7, v29, v7
	s_waitcnt vmcnt(0)
	v_add_co_u32_e32 v6, vcc, v22, v6
	v_addc_co_u32_e32 v7, vcc, v23, v7, vcc
	global_load_dwordx2 v[22:23], v[6:7], off glc
	s_waitcnt vmcnt(0)
	global_atomic_cmpswap_x2 v[6:7], v31, v[22:25], s[10:11] offset:24 glc
	s_waitcnt vmcnt(0)
	buffer_invl2
	buffer_wbinvl1_vol
	v_cmp_ne_u64_e32 vcc, v[6:7], v[24:25]
	s_and_saveexec_b64 s[16:17], vcc
	s_cbranch_execz .LBB1_343
; %bb.340:                              ;   in Loop: Header=BB1_282 Depth=1
	s_mov_b64 s[18:19], 0
.LBB1_341:                              ;   Parent Loop BB1_282 Depth=1
                                        ; =>  This Inner Loop Header: Depth=2
	s_sleep 1
	global_load_dwordx2 v[22:23], v31, s[10:11] offset:40
	global_load_dwordx2 v[34:35], v31, s[10:11]
	v_pk_mov_b32 v[24:25], v[6:7], v[6:7] op_sel:[0,1]
	s_waitcnt vmcnt(1)
	v_and_b32_e32 v6, v22, v24
	s_waitcnt vmcnt(0)
	v_mad_u64_u32 v[6:7], s[20:21], v6, 24, v[34:35]
	v_and_b32_e32 v23, v23, v25
	v_mov_b32_e32 v22, v7
	v_mad_u64_u32 v[22:23], s[20:21], v23, 24, v[22:23]
	v_mov_b32_e32 v7, v22
	global_load_dwordx2 v[22:23], v[6:7], off glc
	s_waitcnt vmcnt(0)
	global_atomic_cmpswap_x2 v[6:7], v31, v[22:25], s[10:11] offset:24 glc
	s_waitcnt vmcnt(0)
	buffer_invl2
	buffer_wbinvl1_vol
	v_cmp_eq_u64_e32 vcc, v[6:7], v[24:25]
	s_or_b64 s[18:19], vcc, s[18:19]
	s_andn2_b64 exec, exec, s[18:19]
	s_cbranch_execnz .LBB1_341
; %bb.342:                              ;   in Loop: Header=BB1_282 Depth=1
	s_or_b64 exec, exec, s[18:19]
.LBB1_343:                              ;   in Loop: Header=BB1_282 Depth=1
	s_or_b64 exec, exec, s[16:17]
.LBB1_344:                              ;   in Loop: Header=BB1_282 Depth=1
	s_or_b64 exec, exec, s[14:15]
	global_load_dwordx2 v[34:35], v31, s[10:11] offset:40
	global_load_dwordx4 v[22:25], v31, s[10:11]
	v_readfirstlane_b32 s14, v6
	v_readfirstlane_b32 s15, v7
	s_mov_b64 s[16:17], exec
	s_waitcnt vmcnt(1)
	v_readfirstlane_b32 s18, v34
	v_readfirstlane_b32 s19, v35
	s_and_b64 s[18:19], s[14:15], s[18:19]
	s_mul_i32 s20, s19, 24
	s_mul_hi_u32 s21, s18, 24
	s_mul_i32 s24, s18, 24
	s_add_i32 s20, s21, s20
	v_mov_b32_e32 v6, s20
	s_waitcnt vmcnt(0)
	v_add_co_u32_e32 v34, vcc, s24, v22
	v_addc_co_u32_e32 v35, vcc, v23, v6, vcc
	s_and_saveexec_b64 s[20:21], s[4:5]
	s_cbranch_execz .LBB1_346
; %bb.345:                              ;   in Loop: Header=BB1_282 Depth=1
	v_pk_mov_b32 v[6:7], s[16:17], s[16:17] op_sel:[0,1]
	global_store_dwordx4 v[34:35], v[6:9], off offset:8
.LBB1_346:                              ;   in Loop: Header=BB1_282 Depth=1
	s_or_b64 exec, exec, s[20:21]
	s_lshl_b64 s[16:17], s[18:19], 12
	v_mov_b32_e32 v7, s17
	v_add_co_u32_e32 v6, vcc, s16, v24
	v_addc_co_u32_e32 v7, vcc, v25, v7, vcc
	v_or_b32_e32 v24, 0, v1
	v_cmp_lt_u64_e32 vcc, 56, v[26:27]
	v_or_b32_e32 v25, v0, v28
	v_cndmask_b32_e32 v1, v24, v1, vcc
	v_lshl_add_u32 v24, v32, 2, 28
	v_cndmask_b32_e32 v0, v25, v0, vcc
	v_and_b32_e32 v24, 0x1e0, v24
	v_and_or_b32 v0, v0, s23, v24
	v_readfirstlane_b32 s16, v6
	v_readfirstlane_b32 s17, v7
	s_nop 4
	global_store_dwordx4 v36, v[0:3], s[16:17]
	global_store_dwordx4 v36, v[10:13], s[16:17] offset:16
	global_store_dwordx4 v36, v[14:17], s[16:17] offset:32
	;; [unrolled: 1-line block ×3, first 2 shown]
	s_and_saveexec_b64 s[16:17], s[4:5]
	s_cbranch_execz .LBB1_354
; %bb.347:                              ;   in Loop: Header=BB1_282 Depth=1
	global_load_dwordx2 v[14:15], v31, s[10:11] offset:32 glc
	global_load_dwordx2 v[0:1], v31, s[10:11] offset:40
	v_mov_b32_e32 v12, s14
	v_mov_b32_e32 v13, s15
	s_waitcnt vmcnt(0)
	v_readfirstlane_b32 s18, v0
	v_readfirstlane_b32 s19, v1
	s_and_b64 s[18:19], s[18:19], s[14:15]
	s_mul_i32 s19, s19, 24
	s_mul_hi_u32 s20, s18, 24
	s_mul_i32 s18, s18, 24
	s_add_i32 s19, s20, s19
	v_mov_b32_e32 v0, s19
	v_add_co_u32_e32 v10, vcc, s18, v22
	v_addc_co_u32_e32 v11, vcc, v23, v0, vcc
	global_store_dwordx2 v[10:11], v[14:15], off
	buffer_wbl2
	s_waitcnt vmcnt(0)
	global_atomic_cmpswap_x2 v[2:3], v31, v[12:15], s[10:11] offset:32 glc
	s_waitcnt vmcnt(0)
	v_cmp_ne_u64_e32 vcc, v[2:3], v[14:15]
	s_and_saveexec_b64 s[18:19], vcc
	s_cbranch_execz .LBB1_350
; %bb.348:                              ;   in Loop: Header=BB1_282 Depth=1
	s_mov_b64 s[20:21], 0
.LBB1_349:                              ;   Parent Loop BB1_282 Depth=1
                                        ; =>  This Inner Loop Header: Depth=2
	s_sleep 1
	global_store_dwordx2 v[10:11], v[2:3], off
	v_mov_b32_e32 v0, s14
	v_mov_b32_e32 v1, s15
	buffer_wbl2
	s_waitcnt vmcnt(0)
	global_atomic_cmpswap_x2 v[0:1], v31, v[0:3], s[10:11] offset:32 glc
	s_waitcnt vmcnt(0)
	v_cmp_eq_u64_e32 vcc, v[0:1], v[2:3]
	s_or_b64 s[20:21], vcc, s[20:21]
	v_pk_mov_b32 v[2:3], v[0:1], v[0:1] op_sel:[0,1]
	s_andn2_b64 exec, exec, s[20:21]
	s_cbranch_execnz .LBB1_349
.LBB1_350:                              ;   in Loop: Header=BB1_282 Depth=1
	s_or_b64 exec, exec, s[18:19]
	global_load_dwordx2 v[0:1], v31, s[10:11] offset:16
	s_mov_b64 s[20:21], exec
	v_mbcnt_lo_u32_b32 v2, s20, 0
	v_mbcnt_hi_u32_b32 v2, s21, v2
	v_cmp_eq_u32_e32 vcc, 0, v2
	s_and_saveexec_b64 s[18:19], vcc
	s_cbranch_execz .LBB1_352
; %bb.351:                              ;   in Loop: Header=BB1_282 Depth=1
	s_bcnt1_i32_b64 s20, s[20:21]
	v_mov_b32_e32 v30, s20
	buffer_wbl2
	s_waitcnt vmcnt(0)
	global_atomic_add_x2 v[0:1], v[30:31], off offset:8
.LBB1_352:                              ;   in Loop: Header=BB1_282 Depth=1
	s_or_b64 exec, exec, s[18:19]
	s_waitcnt vmcnt(0)
	global_load_dwordx2 v[2:3], v[0:1], off offset:16
	s_waitcnt vmcnt(0)
	v_cmp_eq_u64_e32 vcc, 0, v[2:3]
	s_cbranch_vccnz .LBB1_354
; %bb.353:                              ;   in Loop: Header=BB1_282 Depth=1
	global_load_dword v30, v[0:1], off offset:24
	s_waitcnt vmcnt(0)
	v_and_b32_e32 v0, 0xffffff, v30
	v_readfirstlane_b32 m0, v0
	buffer_wbl2
	global_store_dwordx2 v[2:3], v[30:31], off
	s_sendmsg sendmsg(MSG_INTERRUPT)
.LBB1_354:                              ;   in Loop: Header=BB1_282 Depth=1
	s_or_b64 exec, exec, s[16:17]
	v_add_co_u32_e32 v0, vcc, v6, v36
	v_addc_co_u32_e32 v1, vcc, 0, v7, vcc
	s_branch .LBB1_358
.LBB1_355:                              ;   in Loop: Header=BB1_358 Depth=2
	s_or_b64 exec, exec, s[16:17]
	v_readfirstlane_b32 s16, v2
	s_cmp_eq_u32 s16, 0
	s_cbranch_scc1 .LBB1_357
; %bb.356:                              ;   in Loop: Header=BB1_358 Depth=2
	s_sleep 1
	s_cbranch_execnz .LBB1_358
	s_branch .LBB1_360
.LBB1_357:                              ;   in Loop: Header=BB1_282 Depth=1
	s_branch .LBB1_360
.LBB1_358:                              ;   Parent Loop BB1_282 Depth=1
                                        ; =>  This Inner Loop Header: Depth=2
	v_mov_b32_e32 v2, 1
	s_and_saveexec_b64 s[16:17], s[4:5]
	s_cbranch_execz .LBB1_355
; %bb.359:                              ;   in Loop: Header=BB1_358 Depth=2
	global_load_dword v2, v[34:35], off offset:20 glc
	s_waitcnt vmcnt(0)
	buffer_invl2
	buffer_wbinvl1_vol
	v_and_b32_e32 v2, 1, v2
	s_branch .LBB1_355
.LBB1_360:                              ;   in Loop: Header=BB1_282 Depth=1
	global_load_dwordx4 v[0:3], v[0:1], off
	s_and_saveexec_b64 s[16:17], s[4:5]
	s_cbranch_execz .LBB1_281
; %bb.361:                              ;   in Loop: Header=BB1_282 Depth=1
	global_load_dwordx2 v[2:3], v31, s[10:11] offset:40
	global_load_dwordx2 v[6:7], v31, s[10:11] offset:24 glc
	global_load_dwordx2 v[14:15], v31, s[10:11]
	v_mov_b32_e32 v11, s15
	s_waitcnt vmcnt(2)
	v_add_co_u32_e32 v13, vcc, 1, v2
	v_addc_co_u32_e32 v16, vcc, 0, v3, vcc
	v_add_co_u32_e32 v10, vcc, s14, v13
	v_addc_co_u32_e32 v11, vcc, v16, v11, vcc
	v_cmp_eq_u64_e32 vcc, 0, v[10:11]
	v_cndmask_b32_e32 v11, v11, v16, vcc
	v_cndmask_b32_e32 v10, v10, v13, vcc
	v_and_b32_e32 v3, v11, v3
	v_and_b32_e32 v2, v10, v2
	v_mul_lo_u32 v3, v3, 24
	v_mul_hi_u32 v13, v2, 24
	v_mul_lo_u32 v2, v2, 24
	v_add_u32_e32 v3, v13, v3
	s_waitcnt vmcnt(0)
	v_add_co_u32_e32 v2, vcc, v14, v2
	v_addc_co_u32_e32 v3, vcc, v15, v3, vcc
	v_mov_b32_e32 v12, v6
	global_store_dwordx2 v[2:3], v[6:7], off
	v_mov_b32_e32 v13, v7
	buffer_wbl2
	s_waitcnt vmcnt(0)
	global_atomic_cmpswap_x2 v[12:13], v31, v[10:13], s[10:11] offset:24 glc
	s_waitcnt vmcnt(0)
	v_cmp_ne_u64_e32 vcc, v[12:13], v[6:7]
	s_and_b64 exec, exec, vcc
	s_cbranch_execz .LBB1_281
; %bb.362:                              ;   in Loop: Header=BB1_282 Depth=1
	s_mov_b64 s[4:5], 0
.LBB1_363:                              ;   Parent Loop BB1_282 Depth=1
                                        ; =>  This Inner Loop Header: Depth=2
	s_sleep 1
	global_store_dwordx2 v[2:3], v[12:13], off
	buffer_wbl2
	s_waitcnt vmcnt(0)
	global_atomic_cmpswap_x2 v[6:7], v31, v[10:13], s[10:11] offset:24 glc
	s_waitcnt vmcnt(0)
	v_cmp_eq_u64_e32 vcc, v[6:7], v[12:13]
	s_or_b64 s[4:5], vcc, s[4:5]
	v_pk_mov_b32 v[12:13], v[6:7], v[6:7] op_sel:[0,1]
	s_andn2_b64 exec, exec, s[4:5]
	s_cbranch_execnz .LBB1_363
	s_branch .LBB1_281
.LBB1_364:
	s_or_b64 exec, exec, s[6:7]
                                        ; implicit-def: $vgpr36
                                        ; implicit-def: $vgpr37
.LBB1_365:
	s_andn2_saveexec_b64 s[6:7], s[12:13]
	s_cbranch_execz .LBB1_392
; %bb.366:
	v_readfirstlane_b32 s4, v37
	v_cmp_eq_u32_e64 s[4:5], s4, v37
	v_pk_mov_b32 v[8:9], 0, 0
	s_and_saveexec_b64 s[12:13], s[4:5]
	s_cbranch_execz .LBB1_372
; %bb.367:
	s_waitcnt vmcnt(0)
	v_mov_b32_e32 v2, 0
	global_load_dwordx2 v[6:7], v2, s[10:11] offset:24 glc
	s_waitcnt vmcnt(0)
	buffer_invl2
	buffer_wbinvl1_vol
	global_load_dwordx2 v[4:5], v2, s[10:11] offset:40
	global_load_dwordx2 v[8:9], v2, s[10:11]
	s_waitcnt vmcnt(1)
	v_and_b32_e32 v3, v4, v6
	v_and_b32_e32 v4, v5, v7
	v_mul_lo_u32 v4, v4, 24
	v_mul_hi_u32 v5, v3, 24
	v_mul_lo_u32 v3, v3, 24
	v_add_u32_e32 v5, v5, v4
	s_waitcnt vmcnt(0)
	v_add_co_u32_e32 v4, vcc, v8, v3
	v_addc_co_u32_e32 v5, vcc, v9, v5, vcc
	global_load_dwordx2 v[4:5], v[4:5], off glc
	s_waitcnt vmcnt(0)
	global_atomic_cmpswap_x2 v[8:9], v2, v[4:7], s[10:11] offset:24 glc
	s_waitcnt vmcnt(0)
	buffer_invl2
	buffer_wbinvl1_vol
	v_cmp_ne_u64_e32 vcc, v[8:9], v[6:7]
	s_and_saveexec_b64 s[14:15], vcc
	s_cbranch_execz .LBB1_371
; %bb.368:
	s_mov_b64 s[16:17], 0
.LBB1_369:                              ; =>This Inner Loop Header: Depth=1
	s_sleep 1
	global_load_dwordx2 v[4:5], v2, s[10:11] offset:40
	global_load_dwordx2 v[10:11], v2, s[10:11]
	v_pk_mov_b32 v[6:7], v[8:9], v[8:9] op_sel:[0,1]
	s_waitcnt vmcnt(1)
	v_and_b32_e32 v4, v4, v6
	v_and_b32_e32 v3, v5, v7
	s_waitcnt vmcnt(0)
	v_mad_u64_u32 v[4:5], s[18:19], v4, 24, v[10:11]
	v_mov_b32_e32 v8, v5
	v_mad_u64_u32 v[8:9], s[18:19], v3, 24, v[8:9]
	v_mov_b32_e32 v5, v8
	global_load_dwordx2 v[4:5], v[4:5], off glc
	s_waitcnt vmcnt(0)
	global_atomic_cmpswap_x2 v[8:9], v2, v[4:7], s[10:11] offset:24 glc
	s_waitcnt vmcnt(0)
	buffer_invl2
	buffer_wbinvl1_vol
	v_cmp_eq_u64_e32 vcc, v[8:9], v[6:7]
	s_or_b64 s[16:17], vcc, s[16:17]
	s_andn2_b64 exec, exec, s[16:17]
	s_cbranch_execnz .LBB1_369
; %bb.370:
	s_or_b64 exec, exec, s[16:17]
.LBB1_371:
	s_or_b64 exec, exec, s[14:15]
.LBB1_372:
	s_or_b64 exec, exec, s[12:13]
	s_waitcnt vmcnt(0)
	v_mov_b32_e32 v2, 0
	global_load_dwordx2 v[10:11], v2, s[10:11] offset:40
	global_load_dwordx4 v[4:7], v2, s[10:11]
	v_readfirstlane_b32 s12, v8
	v_readfirstlane_b32 s13, v9
	s_mov_b64 s[14:15], exec
	s_waitcnt vmcnt(1)
	v_readfirstlane_b32 s16, v10
	v_readfirstlane_b32 s17, v11
	s_and_b64 s[16:17], s[12:13], s[16:17]
	s_mul_i32 s18, s17, 24
	s_mul_hi_u32 s19, s16, 24
	s_mul_i32 s20, s16, 24
	s_add_i32 s18, s19, s18
	v_mov_b32_e32 v3, s18
	s_waitcnt vmcnt(0)
	v_add_co_u32_e32 v8, vcc, s20, v4
	v_addc_co_u32_e32 v9, vcc, v5, v3, vcc
	s_and_saveexec_b64 s[18:19], s[4:5]
	s_cbranch_execz .LBB1_374
; %bb.373:
	v_pk_mov_b32 v[10:11], s[14:15], s[14:15] op_sel:[0,1]
	v_mov_b32_e32 v12, 2
	v_mov_b32_e32 v13, 1
	global_store_dwordx4 v[8:9], v[10:13], off offset:8
.LBB1_374:
	s_or_b64 exec, exec, s[18:19]
	s_lshl_b64 s[14:15], s[16:17], 12
	v_mov_b32_e32 v3, s15
	v_add_co_u32_e32 v10, vcc, s14, v6
	v_addc_co_u32_e32 v11, vcc, v7, v3, vcc
	s_movk_i32 s14, 0xff1f
	s_mov_b32 s16, 0
	v_and_or_b32 v0, v0, s14, 32
	v_mov_b32_e32 v3, v2
	v_readfirstlane_b32 s14, v10
	v_readfirstlane_b32 s15, v11
	s_mov_b32 s17, s16
	v_add_co_u32_e32 v6, vcc, v10, v36
	s_mov_b32 s18, s16
	s_mov_b32 s19, s16
	s_nop 0
	global_store_dwordx4 v36, v[0:3], s[14:15]
	v_addc_co_u32_e32 v7, vcc, 0, v11, vcc
	v_pk_mov_b32 v[0:1], s[16:17], s[16:17] op_sel:[0,1]
	v_pk_mov_b32 v[2:3], s[18:19], s[18:19] op_sel:[0,1]
	global_store_dwordx4 v36, v[0:3], s[14:15] offset:16
	global_store_dwordx4 v36, v[0:3], s[14:15] offset:32
	;; [unrolled: 1-line block ×3, first 2 shown]
	s_and_saveexec_b64 s[14:15], s[4:5]
	s_cbranch_execz .LBB1_382
; %bb.375:
	v_mov_b32_e32 v10, 0
	global_load_dwordx2 v[14:15], v10, s[10:11] offset:32 glc
	global_load_dwordx2 v[0:1], v10, s[10:11] offset:40
	v_mov_b32_e32 v12, s12
	v_mov_b32_e32 v13, s13
	s_waitcnt vmcnt(0)
	v_readfirstlane_b32 s16, v0
	v_readfirstlane_b32 s17, v1
	s_and_b64 s[16:17], s[16:17], s[12:13]
	s_mul_i32 s17, s17, 24
	s_mul_hi_u32 s18, s16, 24
	s_mul_i32 s16, s16, 24
	s_add_i32 s17, s18, s17
	v_mov_b32_e32 v0, s17
	v_add_co_u32_e32 v4, vcc, s16, v4
	v_addc_co_u32_e32 v5, vcc, v5, v0, vcc
	global_store_dwordx2 v[4:5], v[14:15], off
	buffer_wbl2
	s_waitcnt vmcnt(0)
	global_atomic_cmpswap_x2 v[2:3], v10, v[12:15], s[10:11] offset:32 glc
	s_waitcnt vmcnt(0)
	v_cmp_ne_u64_e32 vcc, v[2:3], v[14:15]
	s_and_saveexec_b64 s[16:17], vcc
	s_cbranch_execz .LBB1_378
; %bb.376:
	s_mov_b64 s[18:19], 0
.LBB1_377:                              ; =>This Inner Loop Header: Depth=1
	s_sleep 1
	global_store_dwordx2 v[4:5], v[2:3], off
	v_mov_b32_e32 v0, s12
	v_mov_b32_e32 v1, s13
	buffer_wbl2
	s_waitcnt vmcnt(0)
	global_atomic_cmpswap_x2 v[0:1], v10, v[0:3], s[10:11] offset:32 glc
	s_waitcnt vmcnt(0)
	v_cmp_eq_u64_e32 vcc, v[0:1], v[2:3]
	s_or_b64 s[18:19], vcc, s[18:19]
	v_pk_mov_b32 v[2:3], v[0:1], v[0:1] op_sel:[0,1]
	s_andn2_b64 exec, exec, s[18:19]
	s_cbranch_execnz .LBB1_377
.LBB1_378:
	s_or_b64 exec, exec, s[16:17]
	v_mov_b32_e32 v3, 0
	global_load_dwordx2 v[0:1], v3, s[10:11] offset:16
	s_mov_b64 s[16:17], exec
	v_mbcnt_lo_u32_b32 v2, s16, 0
	v_mbcnt_hi_u32_b32 v2, s17, v2
	v_cmp_eq_u32_e32 vcc, 0, v2
	s_and_saveexec_b64 s[18:19], vcc
	s_cbranch_execz .LBB1_380
; %bb.379:
	s_bcnt1_i32_b64 s16, s[16:17]
	v_mov_b32_e32 v2, s16
	buffer_wbl2
	s_waitcnt vmcnt(0)
	global_atomic_add_x2 v[0:1], v[2:3], off offset:8
.LBB1_380:
	s_or_b64 exec, exec, s[18:19]
	s_waitcnt vmcnt(0)
	global_load_dwordx2 v[2:3], v[0:1], off offset:16
	s_waitcnt vmcnt(0)
	v_cmp_eq_u64_e32 vcc, 0, v[2:3]
	s_cbranch_vccnz .LBB1_382
; %bb.381:
	global_load_dword v0, v[0:1], off offset:24
	v_mov_b32_e32 v1, 0
	buffer_wbl2
	s_waitcnt vmcnt(0)
	global_store_dwordx2 v[2:3], v[0:1], off
	v_and_b32_e32 v0, 0xffffff, v0
	v_readfirstlane_b32 m0, v0
	s_sendmsg sendmsg(MSG_INTERRUPT)
.LBB1_382:
	s_or_b64 exec, exec, s[14:15]
	s_branch .LBB1_386
.LBB1_383:                              ;   in Loop: Header=BB1_386 Depth=1
	s_or_b64 exec, exec, s[14:15]
	v_readfirstlane_b32 s14, v0
	s_cmp_eq_u32 s14, 0
	s_cbranch_scc1 .LBB1_385
; %bb.384:                              ;   in Loop: Header=BB1_386 Depth=1
	s_sleep 1
	s_cbranch_execnz .LBB1_386
	s_branch .LBB1_388
.LBB1_385:
	s_branch .LBB1_388
.LBB1_386:                              ; =>This Inner Loop Header: Depth=1
	v_mov_b32_e32 v0, 1
	s_and_saveexec_b64 s[14:15], s[4:5]
	s_cbranch_execz .LBB1_383
; %bb.387:                              ;   in Loop: Header=BB1_386 Depth=1
	global_load_dword v0, v[8:9], off offset:20 glc
	s_waitcnt vmcnt(0)
	buffer_invl2
	buffer_wbinvl1_vol
	v_and_b32_e32 v0, 1, v0
	s_branch .LBB1_383
.LBB1_388:
	global_load_dwordx2 v[0:1], v[6:7], off
	s_and_saveexec_b64 s[14:15], s[4:5]
	s_cbranch_execz .LBB1_391
; %bb.389:
	v_mov_b32_e32 v8, 0
	global_load_dwordx2 v[6:7], v8, s[10:11] offset:40
	global_load_dwordx2 v[10:11], v8, s[10:11] offset:24 glc
	global_load_dwordx2 v[12:13], v8, s[10:11]
	v_mov_b32_e32 v3, s13
	s_mov_b64 s[4:5], 0
	s_waitcnt vmcnt(2)
	v_add_co_u32_e32 v5, vcc, 1, v6
	v_addc_co_u32_e32 v9, vcc, 0, v7, vcc
	v_add_co_u32_e32 v2, vcc, s12, v5
	v_addc_co_u32_e32 v3, vcc, v9, v3, vcc
	v_cmp_eq_u64_e32 vcc, 0, v[2:3]
	v_cndmask_b32_e32 v3, v3, v9, vcc
	v_cndmask_b32_e32 v2, v2, v5, vcc
	v_and_b32_e32 v5, v3, v7
	v_and_b32_e32 v6, v2, v6
	v_mul_lo_u32 v5, v5, 24
	v_mul_hi_u32 v7, v6, 24
	v_mul_lo_u32 v6, v6, 24
	v_add_u32_e32 v5, v7, v5
	s_waitcnt vmcnt(0)
	v_add_co_u32_e32 v6, vcc, v12, v6
	v_addc_co_u32_e32 v7, vcc, v13, v5, vcc
	v_mov_b32_e32 v4, v10
	global_store_dwordx2 v[6:7], v[10:11], off
	v_mov_b32_e32 v5, v11
	buffer_wbl2
	s_waitcnt vmcnt(0)
	global_atomic_cmpswap_x2 v[4:5], v8, v[2:5], s[10:11] offset:24 glc
	s_waitcnt vmcnt(0)
	v_cmp_ne_u64_e32 vcc, v[4:5], v[10:11]
	s_and_b64 exec, exec, vcc
	s_cbranch_execz .LBB1_391
.LBB1_390:                              ; =>This Inner Loop Header: Depth=1
	s_sleep 1
	global_store_dwordx2 v[6:7], v[4:5], off
	buffer_wbl2
	s_waitcnt vmcnt(0)
	global_atomic_cmpswap_x2 v[10:11], v8, v[2:5], s[10:11] offset:24 glc
	s_waitcnt vmcnt(0)
	v_cmp_eq_u64_e32 vcc, v[10:11], v[4:5]
	s_or_b64 s[4:5], vcc, s[4:5]
	v_pk_mov_b32 v[4:5], v[10:11], v[10:11] op_sel:[0,1]
	s_andn2_b64 exec, exec, s[4:5]
	s_cbranch_execnz .LBB1_390
.LBB1_391:
	s_or_b64 exec, exec, s[14:15]
.LBB1_392:
	s_or_b64 exec, exec, s[6:7]
	s_getpc_b64 s[4:5]
	s_add_u32 s4, s4, .str.1@rel32@lo+4
	s_addc_u32 s5, s5, .str.1@rel32@hi+12
	s_getpc_b64 s[6:7]
	s_add_u32 s6, s6, .str.1@rel32@lo+32
	s_addc_u32 s7, s7, .str.1@rel32@hi+40
	s_sub_i32 s10, s6, s4
	s_ashr_i32 s11, s10, 31
	s_waitcnt vmcnt(0)
	v_mov_b32_e32 v2, s4
	v_mov_b32_e32 v3, s5
	;; [unrolled: 1-line block ×5, first 2 shown]
	s_getpc_b64 s[6:7]
	s_add_u32 s6, s6, __ockl_fprintf_append_string_n@rel32@lo+4
	s_addc_u32 s7, s7, __ockl_fprintf_append_string_n@rel32@hi+12
	s_swappc_b64 s[30:31], s[6:7]
	s_trap 2
.Lfunc_end1:
	.size	__assert_fail, .Lfunc_end1-__assert_fail
                                        ; -- End function
	.section	.AMDGPU.csdata,"",@progbits
; Function info:
; codeLenInByte = 15360
; NumSgprs: 38
; NumVgprs: 41
; NumAgprs: 0
; TotalNumVgprs: 41
; ScratchSize: 64
; MemoryBound: 0
	.text
	.p2align	2                               ; -- Begin function _ZN12_GLOBAL__N_17runRingI14__hip_fp8_e4m37FuncSumIS1_E11ProtoSimpleILi1ELi1ELi0ELi1ELi0ELi0EELi0ELi1ELi0EEEviiP15ncclDevWorkColl
	.type	_ZN12_GLOBAL__N_17runRingI14__hip_fp8_e4m37FuncSumIS1_E11ProtoSimpleILi1ELi1ELi0ELi1ELi0ELi0EELi0ELi1ELi0EEEviiP15ncclDevWorkColl,@function
_ZN12_GLOBAL__N_17runRingI14__hip_fp8_e4m37FuncSumIS1_E11ProtoSimpleILi1ELi1ELi0ELi1ELi0ELi0EELi0ELi1ELi0EEEviiP15ncclDevWorkColl: ; @_ZN12_GLOBAL__N_17runRingI14__hip_fp8_e4m37FuncSumIS1_E11ProtoSimpleILi1ELi1ELi0ELi1ELi0ELi0EELi0ELi1ELi0EEEviiP15ncclDevWorkColl
; %bb.0:
	s_waitcnt vmcnt(0) expcnt(0) lgkmcnt(0)
	s_mov_b32 s4, s33
	s_mov_b32 s33, s32
	s_or_saveexec_b64 s[6:7], -1
	buffer_store_dword v63, off, s[0:3], s33 offset:92 ; 4-byte Folded Spill
	s_mov_b64 exec, s[6:7]
	v_writelane_b32 v63, s4, 47
	s_addk_i32 s32, 0x1c00
	buffer_store_dword v40, off, s[0:3], s33 offset:88 ; 4-byte Folded Spill
	buffer_store_dword v41, off, s[0:3], s33 offset:84 ; 4-byte Folded Spill
	;; [unrolled: 1-line block ×22, first 2 shown]
	buffer_store_dword a40, off, s[0:3], s33 ; 4-byte Folded Spill
	v_writelane_b32 v63, s34, 0
	v_writelane_b32 v63, s35, 1
	;; [unrolled: 1-line block ×47, first 2 shown]
	s_trap 2
	ds_read_b64 v[14:15], v0
	ds_read_b32 v4, v0
	v_mov_b32_e32 v54, v1
	v_mov_b32_e32 v41, v0
	flat_load_ushort v17, v[2:3] offset:8
	flat_load_dwordx2 v[8:9], v[2:3]
	s_waitcnt lgkmcnt(0)
	v_ashrrev_i32_e32 v1, 31, v15
	v_mov_b32_e32 v0, v15
	v_lshlrev_b64 v[0:1], 2, v[0:1]
	v_add_co_u32_e32 v0, vcc, v14, v0
	v_addc_co_u32_e32 v1, vcc, v15, v1, vcc
	v_add_co_u32_e32 v0, vcc, -4, v0
	v_addc_co_u32_e32 v1, vcc, -1, v1, vcc
	flat_load_dword v0, v[0:1]
                                        ; implicit-def: $vgpr18_vgpr19
                                        ; implicit-def: $vgpr44_vgpr45
                                        ; implicit-def: $vgpr58_vgpr59
	s_waitcnt vmcnt(0)
	v_mov_b32_e32 v16, v9
	v_cmp_ne_u32_sdwa s[4:5], v8, v4 src0_sel:BYTE_0 src1_sel:DWORD
	s_and_saveexec_b64 s[6:7], s[4:5]
	s_xor_b64 s[4:5], exec, s[6:7]
	s_cbranch_execz .LBB2_6
; %bb.1:
	v_not_b32_sdwa v1, v8 dst_sel:DWORD dst_unused:UNUSED_PAD src0_sel:BYTE_0
	v_cmp_ne_u32_sdwa s[6:7], v8, v4 src0_sel:BYTE_1 src1_sel:DWORD
                                        ; implicit-def: $vgpr18_vgpr19
                                        ; implicit-def: $vgpr44_vgpr45
                                        ; implicit-def: $vgpr58_vgpr59
	s_and_saveexec_b64 s[10:11], s[6:7]
	s_xor_b64 s[6:7], exec, s[10:11]
	s_cbranch_execz .LBB2_3
; %bb.2:
	flat_load_dwordx4 v[6:9], v[2:3] offset:72
	flat_load_dwordx2 v[10:11], v[2:3] offset:96
	v_add_u32_e32 v1, v4, v1
	v_ashrrev_i32_e32 v4, 31, v1
	s_waitcnt vmcnt(0) lgkmcnt(0)
	v_mul_lo_u32 v4, v8, v4
	v_mad_u64_u32 v[58:59], s[10:11], v8, v1, v[6:7]
	v_mul_lo_u32 v1, v9, v1
	v_lshrrev_b64 v[18:19], 12, v[10:11]
	v_add3_u32 v59, v1, v59, v4
	v_pk_mov_b32 v[44:45], v[8:9], v[8:9] op_sel:[0,1]
                                        ; implicit-def: $vgpr8
                                        ; implicit-def: $vgpr1
.LBB2_3:
	s_andn2_saveexec_b64 s[6:7], s[6:7]
	s_cbranch_execz .LBB2_5
; %bb.4:
	flat_load_dwordx4 v[4:7], v[2:3] offset:72
	flat_load_dwordx4 v[44:47], v[2:3] offset:88
	v_add_u32_sdwa v1, v8, v1 dst_sel:DWORD dst_unused:UNUSED_PAD src0_sel:BYTE_1 src1_sel:DWORD
	v_ashrrev_i32_e32 v8, 31, v1
	s_waitcnt vmcnt(0) lgkmcnt(0)
	v_mul_lo_u32 v8, v6, v8
	v_mad_u64_u32 v[58:59], s[10:11], v6, v1, v[4:5]
	v_mul_lo_u32 v1, v7, v1
	v_add3_u32 v59, v1, v59, v8
	v_lshrrev_b32_e32 v18, 1, v47
.LBB2_5:
	s_or_b64 exec, exec, s[6:7]
.LBB2_6:
	s_andn2_saveexec_b64 s[4:5], s[4:5]
	s_cbranch_execz .LBB2_8
; %bb.7:
	flat_load_dwordx2 v[4:5], v[2:3] offset:96
	flat_load_dwordx2 v[44:45], v[2:3] offset:72
	v_pk_mov_b32 v[58:59], 0, 0
	s_waitcnt vmcnt(0) lgkmcnt(0)
	v_lshlrev_b64 v[18:19], 9, v[4:5]
.LBB2_8:
	s_or_b64 exec, exec, s[4:5]
	s_trap 2
	s_waitcnt lgkmcnt(0)
	ds_read_b64 v[4:5], v0
	s_waitcnt lgkmcnt(0)
	v_cmp_ne_u32_e32 vcc, -1, v4
	v_cndmask_b32_e64 v1, 0, 1, vcc
	v_cmp_ne_u32_e32 vcc, -1, v5
	v_addc_co_u32_e64 v4, s[4:5], 0, v1, vcc
	v_lshlrev_b32_e32 v5, 1, v4
	v_cmp_le_i32_e64 s[4:5], v5, v54
	s_and_saveexec_b64 s[6:7], s[4:5]
	s_xor_b64 s[26:27], exec, s[6:7]
	s_cbranch_execz .LBB2_3182
; %bb.9:
	flat_load_dwordx4 v[10:13], v[2:3] offset:16
	flat_load_dwordx2 v[20:21], v[2:3] offset:104
	s_trap 2
	s_load_dword s4, s[8:9], 0x0
	v_mov_b32_e32 v2, 0
	v_mov_b32_e32 v62, 4
	s_waitcnt lgkmcnt(0)
	s_cmp_lt_u32 s12, s4
	s_cselect_b32 s4, 12, 18
	s_add_u32 s4, s8, s4
	s_addc_u32 s5, s9, 0
	global_load_ushort v40, v2, s[4:5]
	ds_read_b32 v2, v0
	v_cmp_ge_i32_e64 s[4:5], v41, v1
	s_waitcnt lgkmcnt(0)
	v_readfirstlane_b32 s70, v2
	s_and_saveexec_b64 s[6:7], s[4:5]
	s_cbranch_execz .LBB2_19
; %bb.10:
	v_cmp_le_u32_e64 s[4:5], v4, v41
                                        ; implicit-def: $vgpr62
	s_and_saveexec_b64 s[10:11], s[4:5]
	s_xor_b64 s[4:5], exec, s[10:11]
	s_cbranch_execz .LBB2_16
; %bb.11:
	v_cndmask_b32_e64 v2, 0, 1, vcc
	v_sub_u32_e32 v2, v54, v2
	v_cmp_ge_u32_e32 vcc, v41, v2
                                        ; implicit-def: $sgpr12
	s_and_saveexec_b64 s[10:11], vcc
	s_xor_b64 s[10:11], exec, s[10:11]
; %bb.12:
	s_mov_b32 s12, 16
                                        ; implicit-def: $vgpr4
; %bb.13:
	s_or_saveexec_b64 s[10:11], s[10:11]
	v_mov_b32_e32 v62, s12
	s_xor_b64 exec, exec, s[10:11]
; %bb.14:
	v_sub_u32_e32 v2, v54, v4
	v_cmp_ge_i32_e32 vcc, v41, v2
	v_cndmask_b32_e64 v2, 0, 1, vcc
	v_lshlrev_b32_e32 v62, 5, v2
; %bb.15:
	s_or_b64 exec, exec, s[10:11]
.LBB2_16:
	s_andn2_saveexec_b64 s[4:5], s[4:5]
; %bb.17:
	v_mov_b32_e32 v62, 8
; %bb.18:
	s_or_b64 exec, exec, s[4:5]
.LBB2_19:
	s_or_b64 exec, exec, s[6:7]
	v_and_b32_e32 v2, 36, v62
	v_cmp_ne_u32_e32 vcc, 0, v2
	v_mov_b32_e32 v22, -1
	s_and_saveexec_b64 s[4:5], vcc
	s_cbranch_execz .LBB2_21
; %bb.20:
	s_trap 2
	ds_read_b32 v22, v0
.LBB2_21:
	s_or_b64 exec, exec, s[4:5]
	v_and_b32_e32 v2, 24, v62
	v_cmp_ne_u32_e64 s[4:5], 0, v2
	s_and_saveexec_b64 s[6:7], s[4:5]
	s_cbranch_execz .LBB2_23
; %bb.22:
	s_trap 2
	s_waitcnt lgkmcnt(0)
	ds_read_b32 v22, v0
.LBB2_23:
	s_or_b64 exec, exec, s[6:7]
	v_lshrrev_b64 v[2:3], 31, v[16:17]
	v_pk_mov_b32 v[46:47], 0, 0
	v_and_b32_e32 v2, 3, v2
	s_waitcnt lgkmcnt(0)
	v_ashrrev_i32_e32 v23, 31, v22
	v_pk_mov_b32 v[48:49], v[46:47], v[46:47] op_sel:[0,1]
                                        ; implicit-def: $agpr8_agpr9
                                        ; implicit-def: $vgpr56
                                        ; implicit-def: $vgpr36_vgpr37
                                        ; implicit-def: $vgpr42_vgpr43
                                        ; implicit-def: $vgpr32_vgpr33
	s_and_saveexec_b64 s[4:5], vcc
	s_cbranch_execz .LBB2_33
; %bb.24:
	s_trap 2
	ds_read_b64 v[4:5], v0
	v_lshlrev_b64 v[6:7], 3, v[22:23]
	v_and_b32_e32 v3, 0xffff, v2
	s_movk_i32 s6, 0xa8
                                        ; implicit-def: $agpr8_agpr9
	s_waitcnt lgkmcnt(0)
	v_add_co_u32_e32 v4, vcc, v4, v6
	v_addc_co_u32_e32 v5, vcc, v5, v7, vcc
	flat_load_dwordx2 v[4:5], v[4:5]
	s_waitcnt vmcnt(0) lgkmcnt(0)
	v_mad_u64_u32 v[4:5], s[6:7], v3, s6, v[4:5]
	flat_load_dword v3, v[4:5] offset:640
	v_add_co_u32_e32 v46, vcc, 0x1f8, v4
	v_addc_co_u32_e32 v47, vcc, 0, v5, vcc
	s_waitcnt vmcnt(0) lgkmcnt(0)
	v_cmp_eq_u32_e32 vcc, 1, v3
	s_and_saveexec_b64 s[6:7], vcc
	s_cbranch_execz .LBB2_26
; %bb.25:
	flat_load_dwordx2 v[6:7], v[46:47] offset:144
	v_or_b32_e32 v62, 0x2000, v62
	s_waitcnt vmcnt(0) lgkmcnt(0)
	flat_load_dwordx2 v[4:5], v[6:7]
	s_trap 2
	v_accvgpr_write_b32 a9, v7
	v_accvgpr_write_b32 a8, v6
	s_waitcnt vmcnt(0) lgkmcnt(0)
	ds_write_b64 v0, v[4:5]
	flat_load_dwordx2 v[4:5], v[6:7] offset:8
	s_waitcnt vmcnt(0) lgkmcnt(0)
	ds_write_b64 v0, v[4:5]
	flat_load_dwordx2 v[4:5], v[6:7] offset:16
	s_waitcnt vmcnt(0) lgkmcnt(0)
	ds_write_b64 v0, v[4:5]
.LBB2_26:
	s_or_b64 exec, exec, s[6:7]
	flat_load_dwordx2 v[50:51], v[46:47] offset:104
	v_and_b32_e32 v3, 32, v62
	v_cmp_ne_u32_e32 vcc, 0, v3
                                        ; implicit-def: $vgpr32_vgpr33
	s_and_saveexec_b64 s[6:7], vcc
	s_cbranch_execz .LBB2_28
; %bb.27:
	flat_load_dwordx2 v[32:33], v[46:47] offset:56
	s_waitcnt vmcnt(0) lgkmcnt(0)
	flat_store_dwordx2 v[32:33], v[50:51]
.LBB2_28:
	s_or_b64 exec, exec, s[6:7]
	v_and_b32_e32 v3, 4, v62
	v_cmp_ne_u32_e32 vcc, 0, v3
	v_pk_mov_b32 v[48:49], 0, 0
                                        ; implicit-def: $vgpr56
                                        ; implicit-def: $vgpr36_vgpr37
                                        ; implicit-def: $vgpr42_vgpr43
	s_and_saveexec_b64 s[6:7], vcc
	s_cbranch_execz .LBB2_32
; %bb.29:
	v_and_b32_e32 v3, 0x800, v62
	v_cmp_eq_u32_e32 vcc, 0, v3
	s_and_saveexec_b64 s[10:11], vcc
	s_cbranch_execz .LBB2_31
; %bb.30:
	s_trap 2
	ds_write_b64 v0, v[46:47]
.LBB2_31:
	s_or_b64 exec, exec, s[10:11]
	flat_load_dwordx2 v[32:33], v[46:47] offset:48
	v_or_b32_e32 v3, 0x100, v62
	s_waitcnt vmcnt(0) lgkmcnt(0)
	flat_load_dwordx2 v[36:37], v[32:33] glc
	flat_load_dwordx2 v[48:49], v[46:47] offset:96
	flat_load_dword v56, v[46:47] offset:72
	flat_load_dwordx2 v[42:43], v[46:47] offset:16
	s_waitcnt vmcnt(0) lgkmcnt(0)
	v_cmp_eq_u64_e32 vcc, 0, v[48:49]
	v_cndmask_b32_e32 v62, v3, v62, vcc
.LBB2_32:
	s_or_b64 exec, exec, s[6:7]
.LBB2_33:
	s_or_b64 exec, exec, s[4:5]
	v_and_b32_e32 v3, 24, v62
	v_cmp_ne_u32_e32 vcc, 0, v3
                                        ; implicit-def: $agpr22_agpr23
	s_and_saveexec_b64 s[4:5], vcc
	s_cbranch_execz .LBB2_41
; %bb.34:
	s_trap 2
	ds_read_b64 v[4:5], v0
	v_lshlrev_b64 v[6:7], 3, v[22:23]
	v_and_b32_e32 v2, 0xffff, v2
	s_movk_i32 s6, 0xa8
                                        ; implicit-def: $agpr22_agpr23
	s_waitcnt lgkmcnt(0)
	v_add_co_u32_e32 v4, vcc, v4, v6
	v_addc_co_u32_e32 v5, vcc, v5, v7, vcc
	flat_load_dwordx2 v[4:5], v[4:5]
	s_waitcnt vmcnt(0) lgkmcnt(0)
	v_mad_u64_u32 v[46:47], s[6:7], v2, s6, v[4:5]
	flat_load_dwordx4 v[48:51], v[46:47] offset:96
	v_or_b32_e32 v2, 0x100, v62
	s_waitcnt vmcnt(0) lgkmcnt(0)
	v_cmp_eq_u64_e32 vcc, 0, v[48:49]
	v_cndmask_b32_e32 v62, v2, v62, vcc
	v_and_b32_e32 v2, 16, v62
	v_cmp_ne_u32_e32 vcc, 0, v2
	s_and_saveexec_b64 s[6:7], vcc
	s_cbranch_execz .LBB2_36
; %bb.35:
	flat_load_dwordx2 a[22:23], v[46:47] offset:120
	flat_load_dwordx2 v[32:33], v[46:47] offset:48
	flat_load_dwordx2 v[42:43], v[46:47] offset:16
.LBB2_36:
	s_or_b64 exec, exec, s[6:7]
	v_and_b32_e32 v2, 8, v62
	v_cmp_ne_u32_e32 vcc, 0, v2
	s_and_saveexec_b64 s[6:7], vcc
	s_cbranch_execz .LBB2_40
; %bb.37:
	v_and_b32_e32 v2, 0x800, v62
	v_cmp_eq_u32_e32 vcc, 0, v2
	s_and_saveexec_b64 s[10:11], vcc
	s_cbranch_execz .LBB2_39
; %bb.38:
	s_trap 2
	ds_write_b64 v0, v[46:47]
.LBB2_39:
	s_or_b64 exec, exec, s[10:11]
	s_waitcnt vmcnt(0) lgkmcnt(0)
	flat_load_dwordx2 v[32:33], v[46:47] offset:56
	s_waitcnt vmcnt(0) lgkmcnt(0)
	flat_load_dwordx2 v[36:37], v[32:33] glc
	flat_load_dword v56, v[46:47] offset:72
	flat_load_dwordx2 v[42:43], v[46:47] offset:16
.LBB2_40:
	s_or_b64 exec, exec, s[6:7]
.LBB2_41:
	s_or_b64 exec, exec, s[4:5]
	v_cmp_eq_u32_e64 s[4:5], 0, v41
	s_and_saveexec_b64 s[6:7], s[4:5]
	s_cbranch_execz .LBB2_43
; %bb.42:
	s_waitcnt vmcnt(0)
	v_mov_b32_e32 v2, v12
	v_mov_b32_e32 v3, v13
	;; [unrolled: 1-line block ×4, first 2 shown]
	ds_write2_b64 v0, v[2:3], v[4:5] offset1:1
	v_mov_b32_e32 v2, 0
	v_mov_b32_e32 v3, v2
	s_trap 2
	ds_write_b64 v0, v[2:3]
	ds_write_b64 v0, v[20:21]
.LBB2_43:
	s_or_b64 exec, exec, s[6:7]
	v_bfe_u32 v2, v16, 1, 30
	v_and_b32_e32 v60, 0x3ffffe00, v18
	v_mov_b32_e32 v61, 0
	v_cmp_ne_u32_e32 vcc, v0, v2
                                        ; implicit-def: $vgpr38_vgpr39
	s_and_saveexec_b64 s[6:7], vcc
	s_xor_b64 s[28:29], exec, s[6:7]
	s_cbranch_execz .LBB2_2975
; %bb.44:
	v_cmp_ne_u32_e32 vcc, v14, v2
	v_cmp_ne_u64_e64 s[6:7], 0, v[44:45]
                                        ; implicit-def: $vgpr38_vgpr39
	s_and_saveexec_b64 s[10:11], vcc
	s_xor_b64 s[30:31], exec, s[10:11]
	s_cbranch_execz .LBB2_1513
; %bb.45:
	v_pk_mov_b32 v[38:39], 0, 0
	s_and_saveexec_b64 s[34:35], s[6:7]
	s_cbranch_execz .LBB2_1512
; %bb.46:
	v_and_b32_e32 v0, 63, v31
	v_cmp_eq_u32_e64 s[14:15], 0, v0
	v_ashrrev_i32_e32 v0, 31, v41
	v_lshrrev_b32_e32 v0, 26, v0
	v_add_u32_e32 v0, v41, v0
	v_and_b32_e32 v2, 0xffffffc0, v0
	v_ashrrev_i32_e32 v30, 6, v0
	v_sub_u32_e32 v2, v41, v2
	v_lshlrev_b32_e32 v0, 11, v30
	v_lshl_add_u32 v0, v2, 4, v0
	v_lshrrev_b32_e32 v28, 6, v54
	v_cmp_le_i32_e64 s[16:17], v2, v1
	v_cmp_lt_i32_e64 s[18:19], v2, v1
	v_accvgpr_write_b32 a28, v0
	v_ashrrev_i32_e32 v1, 31, v0
	v_mov_b32_e32 v0, 0xfffff800
	v_lshl_add_u32 v0, v28, 11, v0
	s_movk_i32 s20, 0x800
	v_accvgpr_write_b32 a27, v1
	v_ashrrev_i32_e32 v1, 31, v0
	v_add_co_u32_e64 v0, s[20:21], s20, v0
	v_accvgpr_write_b32 a1, v31
	v_accvgpr_write_b32 a29, v0
	v_addc_co_u32_e64 v0, s[20:21], 0, v1, s[20:21]
	v_lshlrev_b32_e32 v31, 10, v28
	v_accvgpr_write_b32 a30, v0
	v_add_u32_e32 v0, 0xfffffc00, v31
	s_movk_i32 s20, 0x400
	v_ashrrev_i32_e32 v1, 31, v0
	v_add_co_u32_e64 v34, s[20:21], s20, v0
	v_addc_co_u32_e64 v35, s[20:21], 0, v1, s[20:21]
	v_mov_b32_e32 v0, 0xffffff00
	s_waitcnt vmcnt(0) lgkmcnt(0)
	v_accvgpr_write_b32 a12, v48
	v_lshl_add_u32 v0, v28, 8, v0
	s_movk_i32 s20, 0x100
	v_accvgpr_write_b32 a13, v49
	v_accvgpr_write_b32 a14, v50
	;; [unrolled: 1-line block ×3, first 2 shown]
	s_ashr_i32 s10, s70, 31
	v_ashrrev_i32_e32 v1, 31, v0
	v_add_co_u32_e64 v48, s[20:21], s20, v0
	s_lshr_b32 s10, s10, 24
	v_addc_co_u32_e64 v50, s[20:21], 0, v1, s[20:21]
	v_accvgpr_read_b32 v0, a22
	v_accvgpr_write_b32 a10, v46
	s_add_i32 s10, s70, s10
	v_cmp_eq_u32_e32 vcc, 64, v54
	v_accvgpr_write_b32 a25, v2
	v_and_b32_e32 v52, 0xffffffc0, v54
	v_accvgpr_read_b32 v1, a23
	v_pk_mov_b32 v[2:3], v[44:45], v[44:45] op_sel:[0,1]
	v_pk_mov_b32 v[44:45], 0, 0
	s_mov_b32 s46, -1
	v_accvgpr_write_b32 a11, v47
	s_ashr_i32 s71, s10, 8
	v_cmp_ge_i32_e64 s[10:11], v41, v54
	v_accvgpr_write_b32 a16, v56
	v_ashrrev_i32_e32 v29, 31, v56
	v_cmp_ne_u32_e64 s[12:13], 64, v54
	v_accvgpr_write_b32 a2, v40
	v_cmp_ne_u32_sdwa s[36:37], v40, v54 src0_sel:WORD_0 src1_sel:DWORD
	v_mov_b32_e32 v57, 0
	v_accvgpr_write_b32 a0, v54
	v_ashrrev_i32_e32 v49, 31, v52
	s_mov_b64 s[38:39], 0
	v_cmp_eq_u64_e64 s[20:21], 0, v[0:1]
	s_movk_i32 s72, 0x270e
	s_movk_i32 s73, 0x108
	v_mov_b32_e32 v53, 1
	s_xor_b64 s[40:41], vcc, -1
	s_movk_i32 s74, 0x80
	s_movk_i32 s75, 0x7f
	s_mov_b64 s[42:43], 0x7f800000
	s_mov_b64 s[44:45], 0x43e00001
	s_movk_i32 s76, 0x7a
	s_mov_b32 s47, 0xffffff
	s_mov_b64 s[48:49], 0xffffff
	s_mov_b32 s77, 0xc0c0500
	v_bfrev_b32_e32 v51, 60
	v_pk_mov_b32 v[38:39], v[44:45], v[44:45] op_sel:[0,1]
	v_accvgpr_write_b32 a26, v30
	v_accvgpr_write_b32 a34, v48
	s_trap 2
	s_branch .LBB2_49
.LBB2_47:                               ;   in Loop: Header=BB2_49 Depth=1
	s_or_b64 exec, exec, s[22:23]
.LBB2_48:                               ;   in Loop: Header=BB2_49 Depth=1
	s_or_b64 exec, exec, s[24:25]
	v_add_co_u32_e32 v44, vcc, v44, v60
	v_accvgpr_read_b32 v2, a4
	v_addc_co_u32_e32 v45, vcc, 0, v45, vcc
	v_accvgpr_read_b32 v3, a5
	v_cmp_ge_u64_e32 vcc, v[44:45], v[2:3]
	s_or_b64 s[38:39], vcc, s[38:39]
	s_andn2_b64 exec, exec, s[38:39]
	s_cbranch_execz .LBB2_1511
.LBB2_49:                               ; =>This Loop Header: Depth=1
                                        ;     Child Loop BB2_58 Depth 2
                                        ;     Child Loop BB2_84 Depth 2
	;; [unrolled: 1-line block ×10, first 2 shown]
	v_sub_co_u32_e32 v0, vcc, v2, v44
	v_subb_co_u32_e32 v1, vcc, v3, v45, vcc
	v_cmp_lt_u64_e32 vcc, v[60:61], v[0:1]
	v_cndmask_b32_e64 v55, v1, 0, vcc
	v_cndmask_b32_e32 v54, v0, v60, vcc
	v_add_u32_e32 v0, 15, v54
	v_cmp_eq_u64_e32 vcc, 0, v[54:55]
	v_accvgpr_write_b32 a5, v3
	v_and_b32_e32 v0, 0x7ffffff0, v0
	s_or_b64 s[50:51], s[10:11], vcc
	v_accvgpr_write_b32 a4, v2
	v_max_i32_e32 v46, s71, v0
	s_xor_b64 s[22:23], s[50:51], -1
	v_mov_b32_e32 v0, v57
	s_and_saveexec_b64 s[52:53], s[22:23]
	s_cbranch_execz .LBB2_1461
; %bb.50:                               ;   in Loop: Header=BB2_49 Depth=1
	s_and_saveexec_b64 s[22:23], s[4:5]
	s_cbranch_execz .LBB2_52
; %bb.51:                               ;   in Loop: Header=BB2_49 Depth=1
	s_trap 2
	ds_read_b64 v[0:1], v0
	v_mov_b32_e32 v56, v57
	s_waitcnt lgkmcnt(0)
	v_add_co_u32_e32 v0, vcc, v0, v58
	v_addc_co_u32_e32 v1, vcc, v1, v59, vcc
	v_add_co_u32_e32 v0, vcc, v0, v44
	v_addc_co_u32_e32 v1, vcc, v1, v45, vcc
	ds_write_b64 v0, v[0:1]
	ds_write_b64 v0, v[56:57]
.LBB2_52:                               ;   in Loop: Header=BB2_49 Depth=1
	s_or_b64 exec, exec, s[22:23]
	v_and_b32_e32 v0, 12, v62
	v_cmp_ne_u32_e32 vcc, 0, v0
	s_mov_b64 s[24:25], -1
	s_and_saveexec_b64 s[22:23], vcc
	s_cbranch_execz .LBB2_64
; %bb.53:                               ;   in Loop: Header=BB2_49 Depth=1
	v_and_b32_e32 v10, 8, v62
	v_add_co_u32_e32 v0, vcc, v36, v10
	v_accvgpr_read_b32 v2, a12
	v_addc_co_u32_e32 v1, vcc, 0, v37, vcc
	v_accvgpr_read_b32 v4, a14
	v_accvgpr_read_b32 v5, a15
	v_add_co_u32_e32 v12, vcc, 1, v4
	v_addc_co_u32_e32 v13, vcc, 0, v5, vcc
	v_cmp_lt_u64_e32 vcc, v[0:1], v[12:13]
	v_mov_b32_e32 v0, 1
	v_accvgpr_read_b32 v3, a13
	s_and_saveexec_b64 s[24:25], vcc
	s_cbranch_execz .LBB2_63
; %bb.54:                               ;   in Loop: Header=BB2_49 Depth=1
	s_mov_b64 s[54:55], 0
	v_mov_b32_e32 v0, 0
                                        ; implicit-def: $sgpr56_sgpr57
	s_branch .LBB2_58
.LBB2_55:                               ;   in Loop: Header=BB2_58 Depth=2
	s_or_b64 exec, exec, s[64:65]
	v_mov_b32_e32 v1, 0
	s_orn2_b64 s[62:63], s[62:63], exec
.LBB2_56:                               ;   in Loop: Header=BB2_58 Depth=2
	s_or_b64 exec, exec, s[60:61]
	s_andn2_b64 vcc, s[56:57], exec
	s_and_b64 s[56:57], s[62:63], exec
	s_or_b64 s[56:57], vcc, s[56:57]
	v_mov_b32_e32 v0, v1
.LBB2_57:                               ;   in Loop: Header=BB2_58 Depth=2
	s_or_b64 exec, exec, s[58:59]
	s_waitcnt vmcnt(0) lgkmcnt(0)
	v_add_co_u32_e32 v2, vcc, v36, v10
	v_addc_co_u32_e32 v3, vcc, 0, v37, vcc
	v_cmp_ge_u64_e32 vcc, v[2:3], v[12:13]
	s_xor_b64 s[58:59], s[56:57], -1
	s_or_b64 vcc, s[58:59], vcc
	s_and_b64 vcc, exec, vcc
	s_or_b64 s[54:55], vcc, s[54:55]
	s_andn2_b64 exec, exec, s[54:55]
	s_cbranch_execz .LBB2_62
.LBB2_58:                               ;   Parent Loop BB2_49 Depth=1
                                        ; =>  This Inner Loop Header: Depth=2
	s_sleep 1
	flat_load_dwordx2 v[36:37], v[32:33] glc
	v_and_b32_e32 v1, 64, v62
	v_cmp_eq_u32_e32 vcc, 0, v1
	s_andn2_b64 s[56:57], s[56:57], exec
	s_and_saveexec_b64 s[58:59], vcc
	s_cbranch_execz .LBB2_57
; %bb.59:                               ;   in Loop: Header=BB2_58 Depth=2
	v_add_u32_e32 v1, 1, v0
	v_cmp_lt_i32_e32 vcc, s72, v0
	s_mov_b64 s[62:63], -1
	s_and_saveexec_b64 s[60:61], vcc
	s_cbranch_execz .LBB2_56
; %bb.60:                               ;   in Loop: Header=BB2_58 Depth=2
	s_trap 2
	ds_read_b64 v[0:1], v0
	s_waitcnt vmcnt(0) lgkmcnt(0)
	flat_load_dword v0, v[0:1] glc
	s_waitcnt vmcnt(0) lgkmcnt(0)
	buffer_invl2
	buffer_wbinvl1_vol
	v_cmp_ne_u32_e32 vcc, 0, v0
	s_and_saveexec_b64 s[64:65], vcc
	s_cbranch_execz .LBB2_55
; %bb.61:                               ;   in Loop: Header=BB2_58 Depth=2
	v_or_b32_e32 v62, 64, v62
	s_xor_b64 s[62:63], exec, -1
	ds_write_b32 v0, v0
	s_trap 2
	s_branch .LBB2_55
.LBB2_62:                               ;   in Loop: Header=BB2_49 Depth=1
	s_or_b64 exec, exec, s[54:55]
	v_and_b32_e32 v0, 12, v62
.LBB2_63:                               ;   in Loop: Header=BB2_49 Depth=1
	s_or_b64 exec, exec, s[24:25]
	v_cmp_eq_u32_e32 vcc, 0, v0
	s_orn2_b64 s[24:25], vcc, exec
	;;#ASMSTART
	s_wakeup
	;;#ASMEND
.LBB2_64:                               ;   in Loop: Header=BB2_49 Depth=1
	s_or_b64 exec, exec, s[22:23]
	s_xor_b64 s[22:23], s[24:25], -1
	v_min_u32_e32 v46, v46, v54
	s_and_saveexec_b64 s[24:25], s[22:23]
	s_cbranch_execz .LBB2_76
; %bb.65:                               ;   in Loop: Header=BB2_49 Depth=1
	v_and_b32_e32 v0, 0x108, v62
	v_cmp_ne_u32_e32 vcc, s73, v0
	v_accvgpr_read_b32 v0, a12
	v_accvgpr_read_b32 v2, a14
	v_and_b32_e32 v10, 7, v2
	v_accvgpr_read_b32 v1, a13
	v_accvgpr_read_b32 v3, a15
	s_and_saveexec_b64 s[22:23], vcc
	s_xor_b64 s[22:23], exec, s[22:23]
	s_andn2_saveexec_b64 s[22:23], s[22:23]
	s_cbranch_execz .LBB2_67
; %bb.66:                               ;   in Loop: Header=BB2_49 Depth=1
	v_accvgpr_read_b32 v0, a12
	v_accvgpr_read_b32 v1, a13
	v_mad_u64_u32 v[0:1], vcc, v10, 24, v[0:1]
	v_mov_b32_e32 v47, v57
	v_accvgpr_read_b32 v2, a14
	v_accvgpr_read_b32 v3, a15
	flat_store_dwordx2 v[0:1], v[46:47] offset:8
.LBB2_67:                               ;   in Loop: Header=BB2_49 Depth=1
	s_or_b64 exec, exec, s[22:23]
	v_and_b32_e32 v0, 0x100, v62
	v_cmp_ne_u32_e32 vcc, 0, v0
	s_mov_b64 s[22:23], -1
                                        ; implicit-def: $vgpr12_vgpr13
	s_and_saveexec_b64 s[54:55], vcc
	s_cbranch_execz .LBB2_71
; %bb.68:                               ;   in Loop: Header=BB2_49 Depth=1
	v_accvgpr_read_b32 v0, a12
	v_accvgpr_read_b32 v1, a13
	v_mad_u64_u32 v[14:15], s[22:23], v10, 24, v[0:1]
	v_mov_b32_e32 v0, v15
	v_mad_u64_u32 v[0:1], s[22:23], v57, 24, v[0:1]
	v_mov_b32_e32 v15, v0
	flat_load_dword v0, v[14:15]
	v_accvgpr_read_b32 v2, a14
	v_accvgpr_read_b32 v3, a15
                                        ; implicit-def: $vgpr12_vgpr13
	s_waitcnt vmcnt(0) lgkmcnt(0)
	v_cmp_ne_u32_e32 vcc, 1, v0
	v_cmp_eq_u32_e64 s[22:23], 1, v0
	s_and_saveexec_b64 s[56:57], s[22:23]
	s_cbranch_execz .LBB2_70
; %bb.69:                               ;   in Loop: Header=BB2_49 Depth=1
	flat_load_dword v12, v[14:15] offset:4 glc
	s_waitcnt vmcnt(0) lgkmcnt(0)
	v_ashrrev_i32_e32 v13, 31, v12
.LBB2_70:                               ;   in Loop: Header=BB2_49 Depth=1
	s_or_b64 exec, exec, s[56:57]
	s_orn2_b64 s[22:23], vcc, exec
.LBB2_71:                               ;   in Loop: Header=BB2_49 Depth=1
	s_or_b64 exec, exec, s[54:55]
	s_and_saveexec_b64 vcc, s[22:23]
; %bb.72:                               ;   in Loop: Header=BB2_49 Depth=1
	v_accvgpr_read_b32 v2, a16
	v_mul_lo_u32 v0, v57, v2
	v_mul_lo_u32 v1, v10, v29
	v_mad_u64_u32 v[12:13], s[22:23], v10, v2, 0
	v_add3_u32 v13, v13, v1, v0
; %bb.73:                               ;   in Loop: Header=BB2_49 Depth=1
	s_or_b64 exec, exec, vcc
	v_add_co_u32_e32 v0, vcc, v42, v12
	v_addc_co_u32_e32 v1, vcc, v43, v13, vcc
	s_trap 2
	ds_write_b64 v0, v[0:1]
	v_and_b32_e32 v0, 0x2000, v62
	v_cmp_ne_u32_e32 vcc, 0, v0
	s_and_saveexec_b64 s[22:23], vcc
	s_cbranch_execz .LBB2_75
; %bb.74:                               ;   in Loop: Header=BB2_49 Depth=1
	ds_read_b64 v[0:1], v0 offset:584
	s_waitcnt lgkmcnt(0)
	v_add_co_u32_e32 v0, vcc, 1, v0
	v_addc_co_u32_e32 v1, vcc, 0, v1, vcc
	ds_write_b64 v0, v[0:1] offset:584
.LBB2_75:                               ;   in Loop: Header=BB2_49 Depth=1
	s_or_b64 exec, exec, s[22:23]
	v_accvgpr_read_b32 v0, a12
	v_accvgpr_read_b32 v2, a14
	;; [unrolled: 1-line block ×3, first 2 shown]
	v_add_co_u32_e32 v2, vcc, 1, v2
	v_addc_co_u32_e32 v3, vcc, 0, v3, vcc
	v_accvgpr_read_b32 v1, a13
	v_accvgpr_write_b32 a15, v3
	v_accvgpr_write_b32 a14, v2
	v_accvgpr_write_b32 a13, v1
	v_accvgpr_write_b32 a12, v0
.LBB2_76:                               ;   in Loop: Header=BB2_49 Depth=1
	s_or_b64 exec, exec, s[24:25]
	s_and_saveexec_b64 s[22:23], s[12:13]
	s_cbranch_execz .LBB2_95
; %bb.77:                               ;   in Loop: Header=BB2_49 Depth=1
	s_and_saveexec_b64 s[24:25], s[36:37]
	s_xor_b64 s[24:25], exec, s[24:25]
	s_cbranch_execz .LBB2_92
; %bb.78:                               ;   in Loop: Header=BB2_49 Depth=1
	s_and_saveexec_b64 s[54:55], s[14:15]
	s_cbranch_execz .LBB2_91
; %bb.79:                               ;   in Loop: Header=BB2_49 Depth=1
	s_mov_b64 s[58:59], exec
	v_mbcnt_lo_u32_b32 v0, s58, 0
	v_mbcnt_hi_u32_b32 v0, s59, v0
	v_cmp_eq_u32_e32 vcc, 0, v0
	s_waitcnt vmcnt(0) lgkmcnt(0)
	buffer_wbinvl1_vol
	s_and_saveexec_b64 s[56:57], vcc
	s_cbranch_execz .LBB2_81
; %bb.80:                               ;   in Loop: Header=BB2_49 Depth=1
	s_bcnt1_i32_b64 vcc_lo, s[58:59]
	v_mov_b32_e32 v56, vcc_lo
	ds_add_u64 v0, v[56:57]
	s_trap 2
.LBB2_81:                               ;   in Loop: Header=BB2_49 Depth=1
	s_or_b64 exec, exec, s[56:57]
	s_trap 2
	ds_read_b64 v[0:1], v0
	v_add_co_u32_e32 v38, vcc, v38, v28
	v_addc_co_u32_e32 v39, vcc, 0, v39, vcc
	s_waitcnt lgkmcnt(0)
	v_cmp_lt_u64_e32 vcc, v[0:1], v[38:39]
	s_and_saveexec_b64 s[56:57], vcc
	s_cbranch_execz .LBB2_90
; %bb.82:                               ;   in Loop: Header=BB2_49 Depth=1
	s_mov_b32 s68, 0
	s_mov_b64 s[58:59], 0
                                        ; implicit-def: $sgpr60_sgpr61
                                        ; implicit-def: $sgpr62_sgpr63
	s_branch .LBB2_84
.LBB2_83:                               ;   in Loop: Header=BB2_84 Depth=2
	s_or_b64 exec, exec, s[66:67]
	s_and_b64 vcc, exec, vcc
	s_or_b64 s[58:59], vcc, s[58:59]
	s_andn2_b64 vcc, s[60:61], exec
	s_and_b64 s[60:61], s[62:63], exec
	s_or_b64 s[60:61], vcc, s[60:61]
	s_andn2_b64 exec, exec, s[58:59]
	s_cbranch_execz .LBB2_88
.LBB2_84:                               ;   Parent Loop BB2_49 Depth=1
                                        ; =>  This Inner Loop Header: Depth=2
	s_add_i32 s68, s68, 1
	s_cmpk_lg_i32 s68, 0x2710
	s_cselect_b64 s[64:65], -1, 0
	s_and_b64 vcc, exec, s[64:65]
                                        ; implicit-def: $sgpr66_sgpr67
	s_cbranch_vccnz .LBB2_86
; %bb.85:                               ;   in Loop: Header=BB2_84 Depth=2
	s_trap 2
	ds_read_b64 v[0:1], v0
	s_andn2_b64 s[64:65], s[64:65], exec
	s_mov_b32 s68, 0
	s_mov_b64 s[66:67], -1
	s_waitcnt lgkmcnt(0)
	flat_load_dword v0, v[0:1] glc
	s_waitcnt vmcnt(0) lgkmcnt(0)
	buffer_invl2
	buffer_wbinvl1_vol
	v_cmp_eq_u32_e32 vcc, 0, v0
	s_and_b64 vcc, vcc, exec
	s_or_b64 s[64:65], s[64:65], vcc
.LBB2_86:                               ;   in Loop: Header=BB2_84 Depth=2
	s_andn2_b64 s[62:63], s[62:63], exec
	s_and_b64 s[66:67], s[66:67], exec
	s_mov_b64 vcc, -1
	s_or_b64 s[62:63], s[62:63], s[66:67]
	s_and_saveexec_b64 s[66:67], s[64:65]
	s_cbranch_execz .LBB2_83
; %bb.87:                               ;   in Loop: Header=BB2_84 Depth=2
	s_sleep 1
	s_trap 2
	ds_read_b64 v[0:1], v0
	s_andn2_b64 s[62:63], s[62:63], exec
	s_waitcnt lgkmcnt(0)
	v_cmp_ge_u64_e32 vcc, v[0:1], v[38:39]
	s_orn2_b64 vcc, vcc, exec
	s_branch .LBB2_83
.LBB2_88:                               ;   in Loop: Header=BB2_49 Depth=1
	s_or_b64 exec, exec, s[58:59]
	s_and_saveexec_b64 vcc, s[60:61]
	s_xor_b64 vcc, exec, vcc
	s_cbranch_execz .LBB2_90
; %bb.89:                               ;   in Loop: Header=BB2_49 Depth=1
	ds_write_b32 v0, v53
	s_trap 2
.LBB2_90:                               ;   in Loop: Header=BB2_49 Depth=1
	s_or_b64 exec, exec, s[56:57]
	;;#ASMSTART
	s_wakeup
	;;#ASMEND
.LBB2_91:                               ;   in Loop: Header=BB2_49 Depth=1
	s_or_b64 exec, exec, s[54:55]
.LBB2_92:                               ;   in Loop: Header=BB2_49 Depth=1
	s_andn2_saveexec_b64 s[24:25], s[24:25]
	s_cbranch_execz .LBB2_94
; %bb.93:                               ;   in Loop: Header=BB2_49 Depth=1
	s_waitcnt vmcnt(0) lgkmcnt(0)
	buffer_wbinvl1_vol
	s_barrier
.LBB2_94:                               ;   in Loop: Header=BB2_49 Depth=1
	s_or_b64 exec, exec, s[24:25]
.LBB2_95:                               ;   in Loop: Header=BB2_49 Depth=1
	s_or_b64 exec, exec, s[22:23]
	s_trap 2
	ds_read_b32 v0, v0
	v_and_b32_e32 v1, 0x4000, v62
	v_cmp_ne_u32_e32 vcc, 0, v1
	s_and_b64 s[24:25], s[40:41], vcc
	s_and_saveexec_b64 s[22:23], s[24:25]
	s_cbranch_execz .LBB2_114
; %bb.96:                               ;   in Loop: Header=BB2_49 Depth=1
	s_and_saveexec_b64 s[24:25], s[36:37]
	s_xor_b64 s[24:25], exec, s[24:25]
	s_cbranch_execz .LBB2_111
; %bb.97:                               ;   in Loop: Header=BB2_49 Depth=1
	s_and_saveexec_b64 s[54:55], s[14:15]
	s_cbranch_execz .LBB2_110
; %bb.98:                               ;   in Loop: Header=BB2_49 Depth=1
	s_mov_b64 s[58:59], exec
	v_mbcnt_lo_u32_b32 v1, s58, 0
	v_mbcnt_hi_u32_b32 v1, s59, v1
	v_cmp_eq_u32_e32 vcc, 0, v1
	s_waitcnt vmcnt(0) lgkmcnt(0)
	buffer_wbinvl1_vol
	s_and_saveexec_b64 s[56:57], vcc
	s_cbranch_execz .LBB2_100
; %bb.99:                               ;   in Loop: Header=BB2_49 Depth=1
	s_bcnt1_i32_b64 vcc_lo, s[58:59]
	v_mov_b32_e32 v56, vcc_lo
	ds_add_u64 v0, v[56:57]
	s_trap 2
.LBB2_100:                              ;   in Loop: Header=BB2_49 Depth=1
	s_or_b64 exec, exec, s[56:57]
	s_trap 2
	ds_read_b64 v[2:3], v0
	v_add_co_u32_e32 v38, vcc, v38, v28
	v_addc_co_u32_e32 v39, vcc, 0, v39, vcc
	s_waitcnt lgkmcnt(0)
	v_cmp_lt_u64_e32 vcc, v[2:3], v[38:39]
	s_and_saveexec_b64 s[56:57], vcc
	s_cbranch_execz .LBB2_109
; %bb.101:                              ;   in Loop: Header=BB2_49 Depth=1
	s_mov_b32 s68, 0
	s_mov_b64 s[58:59], 0
                                        ; implicit-def: $sgpr60_sgpr61
                                        ; implicit-def: $sgpr62_sgpr63
	s_branch .LBB2_103
.LBB2_102:                              ;   in Loop: Header=BB2_103 Depth=2
	s_or_b64 exec, exec, s[66:67]
	s_and_b64 vcc, exec, vcc
	s_or_b64 s[58:59], vcc, s[58:59]
	s_andn2_b64 vcc, s[60:61], exec
	s_and_b64 s[60:61], s[62:63], exec
	s_or_b64 s[60:61], vcc, s[60:61]
	s_andn2_b64 exec, exec, s[58:59]
	s_cbranch_execz .LBB2_107
.LBB2_103:                              ;   Parent Loop BB2_49 Depth=1
                                        ; =>  This Inner Loop Header: Depth=2
	s_add_i32 s68, s68, 1
	s_cmpk_lg_i32 s68, 0x2710
	s_cselect_b64 s[64:65], -1, 0
	s_and_b64 vcc, exec, s[64:65]
                                        ; implicit-def: $sgpr66_sgpr67
	s_cbranch_vccnz .LBB2_105
; %bb.104:                              ;   in Loop: Header=BB2_103 Depth=2
	s_trap 2
	ds_read_b64 v[2:3], v0
	s_andn2_b64 s[64:65], s[64:65], exec
	s_mov_b32 s68, 0
	s_mov_b64 s[66:67], -1
	s_waitcnt lgkmcnt(0)
	flat_load_dword v1, v[2:3] glc
	s_waitcnt vmcnt(0) lgkmcnt(0)
	buffer_invl2
	buffer_wbinvl1_vol
	v_cmp_eq_u32_e32 vcc, 0, v1
	s_and_b64 vcc, vcc, exec
	s_or_b64 s[64:65], s[64:65], vcc
.LBB2_105:                              ;   in Loop: Header=BB2_103 Depth=2
	s_andn2_b64 s[62:63], s[62:63], exec
	s_and_b64 s[66:67], s[66:67], exec
	s_mov_b64 vcc, -1
	s_or_b64 s[62:63], s[62:63], s[66:67]
	s_and_saveexec_b64 s[66:67], s[64:65]
	s_cbranch_execz .LBB2_102
; %bb.106:                              ;   in Loop: Header=BB2_103 Depth=2
	s_sleep 1
	s_trap 2
	ds_read_b64 v[2:3], v0
	s_andn2_b64 s[62:63], s[62:63], exec
	s_waitcnt lgkmcnt(0)
	v_cmp_ge_u64_e32 vcc, v[2:3], v[38:39]
	s_orn2_b64 vcc, vcc, exec
	s_branch .LBB2_102
.LBB2_107:                              ;   in Loop: Header=BB2_49 Depth=1
	s_or_b64 exec, exec, s[58:59]
	s_and_saveexec_b64 vcc, s[60:61]
	s_xor_b64 vcc, exec, vcc
	s_cbranch_execz .LBB2_109
; %bb.108:                              ;   in Loop: Header=BB2_49 Depth=1
	ds_write_b32 v0, v53
	s_trap 2
.LBB2_109:                              ;   in Loop: Header=BB2_49 Depth=1
	s_or_b64 exec, exec, s[56:57]
	;;#ASMSTART
	s_wakeup
	;;#ASMEND
.LBB2_110:                              ;   in Loop: Header=BB2_49 Depth=1
	s_or_b64 exec, exec, s[54:55]
.LBB2_111:                              ;   in Loop: Header=BB2_49 Depth=1
	s_andn2_saveexec_b64 s[24:25], s[24:25]
	s_cbranch_execz .LBB2_113
; %bb.112:                              ;   in Loop: Header=BB2_49 Depth=1
	s_waitcnt vmcnt(0) lgkmcnt(0)
	buffer_wbinvl1_vol
	s_barrier
.LBB2_113:                              ;   in Loop: Header=BB2_49 Depth=1
	s_or_b64 exec, exec, s[24:25]
.LBB2_114:                              ;   in Loop: Header=BB2_49 Depth=1
	s_or_b64 exec, exec, s[22:23]
	s_trap 2
	s_waitcnt lgkmcnt(0)
	ds_read_b64 v[2:3], v0
	s_waitcnt lgkmcnt(0)
	v_readfirstlane_b32 s22, v2
	v_readfirstlane_b32 s23, v3
	s_cmp_eq_u64 s[22:23], 0
	s_cselect_b64 s[22:23], -1, 0
	s_or_b64 s[24:25], s[22:23], s[22:23]
	s_mov_b64 s[22:23], 0
	s_and_b64 vcc, exec, s[24:25]
	s_cbranch_vccnz .LBB2_1435
; %bb.115:                              ;   in Loop: Header=BB2_49 Depth=1
	s_mov_b64 s[24:25], -1
	s_and_saveexec_b64 s[22:23], s[16:17]
	s_cbranch_execz .LBB2_117
; %bb.116:                              ;   in Loop: Header=BB2_49 Depth=1
	ds_read_b32 v1, v0 offset:720
	s_waitcnt lgkmcnt(0)
	v_and_b32_e32 v1, 15, v1
	v_cmp_eq_u32_e32 vcc, 0, v1
	s_orn2_b64 s[24:25], vcc, exec
.LBB2_117:                              ;   in Loop: Header=BB2_49 Depth=1
	s_or_b64 exec, exec, s[22:23]
	s_and_saveexec_b64 s[22:23], s[18:19]
	s_cbranch_execz .LBB2_119
; %bb.118:                              ;   in Loop: Header=BB2_49 Depth=1
	ds_read_b32 v1, v0 offset:784
	s_waitcnt lgkmcnt(0)
	v_and_b32_e32 v1, 15, v1
	v_cmp_eq_u32_e32 vcc, 0, v1
	s_and_b64 vcc, s[24:25], vcc
	s_andn2_b64 s[24:25], s[24:25], exec
	s_and_b64 vcc, vcc, exec
	s_or_b64 s[24:25], s[24:25], vcc
.LBB2_119:                              ;   in Loop: Header=BB2_49 Depth=1
	s_or_b64 exec, exec, s[22:23]
	v_cmp_eq_u32_e32 vcc, 0, v0
	s_xor_b64 s[24:25], s[24:25], -1
	v_cndmask_b32_e32 v55, 0, v46, vcc
	v_cndmask_b32_e64 v0, 0, 1, s[24:25]
	v_mov_b32_e32 v2, 0
	s_mov_b64 s[22:23], -1
	;;#ASMSTART
	;;#ASMEND
	v_cmp_ne_u32_e32 vcc, 0, v0
	v_mov_b32_e32 v18, v55
	v_mov_b32_e32 v19, v41
	;; [unrolled: 1-line block ×3, first 2 shown]
	s_cbranch_vccz .LBB2_121
; %bb.120:                              ;   in Loop: Header=BB2_49 Depth=1
	s_and_saveexec_b64 s[24:25], s[22:23]
	s_cbranch_execnz .LBB2_1286
	s_branch .LBB2_1434
.LBB2_121:                              ;   in Loop: Header=BB2_49 Depth=1
	v_lshrrev_b32_e32 v0, 11, v55
	v_accvgpr_write_b32 a40, v46
	v_accvgpr_write_b32 a38, v54
	;; [unrolled: 1-line block ×9, first 2 shown]
	v_sub_u32_e32 v47, v0, v30
	v_cmp_lt_i32_e32 vcc, 0, v47
	s_mov_b64 s[24:25], exec
	s_and_b64 s[22:23], s[24:25], vcc
	v_accvgpr_write_b32 a37, v55
	s_mov_b64 exec, s[22:23]
	s_cbranch_execz .LBB2_893
; %bb.122:                              ;   in Loop: Header=BB2_49 Depth=1
	s_trap 2
	ds_read_b128 v[0:3], v0
	v_accvgpr_write_b32 a6, v58
	v_accvgpr_read_b32 v6, a28
	v_accvgpr_write_b32 a7, v59
	v_accvgpr_read_b32 v7, a27
	s_waitcnt lgkmcnt(0)
	ds_read_b64 v[4:5], v0
	v_add_co_u32_e32 v58, vcc, v0, v6
	v_accvgpr_write_b32 a20, v60
	v_addc_co_u32_e32 v59, vcc, v1, v7, vcc
	v_accvgpr_write_b32 a21, v61
	v_add_co_u32_e32 v60, vcc, v2, v6
	v_addc_co_u32_e32 v61, vcc, v3, v7, vcc
	v_accvgpr_write_b32 a18, v42
	s_waitcnt lgkmcnt(0)
	v_add_co_u32_e32 v40, vcc, v4, v6
	v_accvgpr_write_b32 a19, v43
	v_accvgpr_write_b32 a3, v41
	v_addc_co_u32_e32 v41, vcc, v5, v7, vcc
	s_mov_b64 s[54:55], 0
	s_branch .LBB2_124
.LBB2_123:                              ;   in Loop: Header=BB2_124 Depth=2
	s_or_b64 exec, exec, s[22:23]
	v_lshlrev_b32_e32 v6, 8, v35
	v_perm_b32 v6, v6, v34, s77
	v_lshl_or_b32 v6, v54, 16, v6
	v_and_b32_e32 v1, 0xff, v1
	v_lshlrev_b32_e32 v0, 8, v0
	v_lshl_or_b32 v7, v23, 24, v6
	v_lshlrev_b32_e32 v6, 24, v43
	v_lshlrev_b32_e32 v1, 16, v1
	v_perm_b32 v0, v0, v3, s77
	v_or3_b32 v6, v6, v1, v0
	v_and_b32_e32 v0, 0xff, v31
	v_lshlrev_b32_e32 v3, 8, v42
	v_lshlrev_b32_e32 v1, 24, v28
	;; [unrolled: 1-line block ×3, first 2 shown]
	v_perm_b32 v3, v3, v55, s77
	v_or3_b32 v8, v1, v0, v3
	v_lshlrev_b32_e32 v0, 8, v22
	v_perm_b32 v0, v0, v52, s77
	v_lshl_or_b32 v0, v46, 16, v0
	v_lshl_or_b32 v9, v21, 24, v0
	v_lshlrev_b32_e32 v0, 8, v20
	v_perm_b32 v0, v0, v27, s77
	v_lshl_or_b32 v0, v18, 16, v0
	v_lshl_or_b32 v1, v15, 24, v0
	v_and_b32_e32 v0, 0xff, v2
	v_lshlrev_b32_e32 v3, 8, v25
	v_lshlrev_b32_e32 v2, 24, v26
	;; [unrolled: 1-line block ×3, first 2 shown]
	v_perm_b32 v3, v3, v24, s77
	v_or3_b32 v0, v2, v0, v3
	v_and_b32_e32 v2, 0xff, v30
	v_lshlrev_b32_e32 v3, 24, v4
	v_lshlrev_b32_e32 v4, 8, v53
	;; [unrolled: 1-line block ×3, first 2 shown]
	v_perm_b32 v4, v4, v19, s77
	v_or3_b32 v2, v3, v2, v4
	v_lshlrev_b32_e32 v3, 8, v14
	v_perm_b32 v3, v3, v5, s77
	v_lshl_or_b32 v3, v48, 16, v3
	v_lshl_or_b32 v3, v10, 24, v3
	global_store_dwordx4 v[40:41], v[6:9], off glc slc
	global_store_dwordx4 v[40:41], v[0:3], off offset:1024 glc slc
	s_nop 0
	v_accvgpr_read_b32 v1, a29
	v_add_co_u32_e32 v58, vcc, v58, v1
	v_accvgpr_read_b32 v2, a30
	v_addc_co_u32_e32 v59, vcc, v59, v2, vcc
	v_add_co_u32_e32 v60, vcc, v60, v1
	v_accvgpr_read_b32 v0, a24
	v_addc_co_u32_e32 v61, vcc, v61, v2, vcc
	v_sub_u32_e32 v47, v47, v0
	v_cmp_gt_i32_e32 vcc, 1, v47
	s_or_b64 s[54:55], vcc, s[54:55]
	v_add_co_u32_e32 v40, vcc, v40, v1
	v_addc_co_u32_e32 v41, vcc, v41, v2, vcc
	s_andn2_b64 exec, exec, s[54:55]
	s_cbranch_execz .LBB2_892
.LBB2_124:                              ;   Parent Loop BB2_49 Depth=1
                                        ; =>  This Inner Loop Header: Depth=2
	global_load_dwordx4 v[22:25], v[58:59], off glc slc
	global_load_dwordx4 v[14:17], v[58:59], off offset:1024 glc slc
	global_load_dwordx4 v[18:21], v[60:61], off glc slc
	global_load_dwordx4 v[10:13], v[60:61], off offset:1024 glc slc
	v_mov_b32_e32 v0, 0
	v_mov_b32_e32 v1, 0
	s_waitcnt vmcnt(0)
	v_cmp_ne_u16_sdwa vcc, v22, v57 src0_sel:BYTE_0 src1_sel:DWORD
	s_and_saveexec_b64 s[22:23], vcc
	s_cbranch_execz .LBB2_130
; %bb.125:                              ;   in Loop: Header=BB2_124 Depth=2
	v_cmp_ne_u16_sdwa vcc, v22, s74 src0_sel:BYTE_0 src1_sel:DWORD
	v_bfrev_b32_e32 v1, 1
	s_and_saveexec_b64 s[56:57], vcc
	s_cbranch_execz .LBB2_129
; %bb.126:                              ;   in Loop: Header=BB2_124 Depth=2
	v_and_b32_e32 v2, 0x7f, v22
	v_cmp_ne_u32_e32 vcc, s75, v2
	v_mov_b32_e32 v1, 0x7f800001
	s_and_saveexec_b64 s[58:59], vcc
	s_cbranch_execz .LBB2_128
; %bb.127:                              ;   in Loop: Header=BB2_124 Depth=2
	v_and_b32_e32 v1, 7, v22
	v_ffbh_u32_e32 v1, v1
	v_min_u32_e32 v1, 32, v1
	v_subrev_u32_e32 v4, 28, v1
	v_cmp_gt_u32_e32 vcc, 8, v2
	v_lshrrev_b32_e32 v3, 3, v2
	v_sub_u32_e32 v1, 29, v1
	v_cndmask_b32_e32 v2, 0, v4, vcc
	v_cndmask_b32_e32 v1, v3, v1, vcc
	v_lshlrev_b64 v[2:3], v2, v[22:23]
	v_lshlrev_b32_e32 v2, 20, v2
	v_lshlrev_b32_e32 v3, 24, v22
	v_and_b32_e32 v2, 0x700000, v2
	v_and_b32_e32 v3, 0x80000000, v3
	v_lshl_add_u32 v1, v1, 23, v51
	v_or3_b32 v1, v3, v1, v2
.LBB2_128:                              ;   in Loop: Header=BB2_124 Depth=2
	s_or_b64 exec, exec, s[58:59]
.LBB2_129:                              ;   in Loop: Header=BB2_124 Depth=2
	s_or_b64 exec, exec, s[56:57]
.LBB2_130:                              ;   in Loop: Header=BB2_124 Depth=2
	s_or_b64 exec, exec, s[22:23]
	v_cmp_ne_u16_sdwa vcc, v18, v57 src0_sel:BYTE_0 src1_sel:DWORD
	s_and_saveexec_b64 s[22:23], vcc
	s_cbranch_execz .LBB2_136
; %bb.131:                              ;   in Loop: Header=BB2_124 Depth=2
	v_cmp_ne_u16_sdwa vcc, v18, s74 src0_sel:BYTE_0 src1_sel:DWORD
	v_bfrev_b32_e32 v0, 1
	s_and_saveexec_b64 s[56:57], vcc
	s_cbranch_execz .LBB2_135
; %bb.132:                              ;   in Loop: Header=BB2_124 Depth=2
	v_and_b32_e32 v2, 0x7f, v18
	v_cmp_ne_u32_e32 vcc, s75, v2
	v_mov_b32_e32 v0, 0x7f800001
	s_and_saveexec_b64 s[58:59], vcc
	s_cbranch_execz .LBB2_134
; %bb.133:                              ;   in Loop: Header=BB2_124 Depth=2
	v_and_b32_e32 v0, 7, v18
	v_ffbh_u32_e32 v0, v0
	v_min_u32_e32 v0, 32, v0
	v_subrev_u32_e32 v4, 28, v0
	v_cmp_gt_u32_e32 vcc, 8, v2
	v_lshrrev_b32_e32 v3, 3, v2
	v_sub_u32_e32 v0, 29, v0
	v_cndmask_b32_e32 v2, 0, v4, vcc
	v_cndmask_b32_e32 v0, v3, v0, vcc
	v_lshlrev_b64 v[2:3], v2, v[18:19]
	v_lshlrev_b32_e32 v2, 20, v2
	v_lshlrev_b32_e32 v3, 24, v18
	v_and_b32_e32 v2, 0x700000, v2
	v_and_b32_e32 v3, 0x80000000, v3
	v_lshl_add_u32 v0, v0, 23, v51
	v_or3_b32 v0, v3, v0, v2
.LBB2_134:                              ;   in Loop: Header=BB2_124 Depth=2
	s_or_b64 exec, exec, s[58:59]
.LBB2_135:                              ;   in Loop: Header=BB2_124 Depth=2
	s_or_b64 exec, exec, s[56:57]
.LBB2_136:                              ;   in Loop: Header=BB2_124 Depth=2
	s_or_b64 exec, exec, s[22:23]
	v_add_f32_e32 v1, v1, v0
	v_and_b32_sdwa v0, v1, s74 dst_sel:DWORD dst_unused:UNUSED_PAD src0_sel:BYTE_3 src1_sel:DWORD
	v_and_b32_e32 v4, 0x7f800000, v1
	v_mov_b32_e32 v5, v57
	v_and_b32_e32 v56, 0x7fffff, v1
	v_or_b32_e32 v3, 0x7e, v0
	v_cmp_ne_u64_e32 vcc, s[42:43], v[4:5]
	s_and_saveexec_b64 s[22:23], vcc
	s_xor_b64 s[56:57], exec, s[22:23]
	s_cbranch_execz .LBB2_146
; %bb.137:                              ;   in Loop: Header=BB2_124 Depth=2
	v_and_b32_e32 v4, 0x7fffffff, v1
	v_mov_b32_e32 v5, v57
	v_cmp_gt_u64_e32 vcc, s[44:45], v[4:5]
	s_and_saveexec_b64 s[58:59], vcc
	s_cbranch_execz .LBB2_145
; %bb.138:                              ;   in Loop: Header=BB2_124 Depth=2
	v_cmp_ne_u32_e32 vcc, 0, v1
	v_mov_b32_e32 v3, 0
	s_and_saveexec_b64 s[60:61], vcc
	s_cbranch_execz .LBB2_144
; %bb.139:                              ;   in Loop: Header=BB2_124 Depth=2
	v_bfe_u32 v1, v1, 23, 8
	v_sub_u32_e32 v3, 0x79, v1
	v_cmp_gt_u32_e32 vcc, s76, v1
	v_add_u32_e32 v2, 0xffffff81, v1
	v_cndmask_b32_e32 v3, 0, v3, vcc
	v_cmp_eq_u32_e32 vcc, 0, v1
	v_mov_b32_e32 v1, 0xffffff82
	v_cndmask_b32_e32 v1, v2, v1, vcc
	v_mov_b32_e32 v2, 0x78
	v_cndmask_b32_e32 v26, v3, v2, vcc
	v_add_u32_e32 v2, 20, v26
	v_or_b32_e32 v4, 0x800000, v56
	v_lshlrev_b64 v[2:3], v2, -1
	v_cndmask_b32_e32 v56, v4, v56, vcc
	v_not_b32_e32 v2, v2
	v_and_b32_e32 v4, v56, v2
	v_add_u32_e32 v2, 19, v26
	v_lshrrev_b64 v[8:9], v26, v[56:57]
	v_not_b32_e32 v3, v3
	v_lshlrev_b64 v[6:7], v2, 1
	v_lshrrev_b32_e32 v2, 23, v8
	v_and_b32_e32 v5, 0, v3
	v_add3_u32 v3, v26, v1, v2
	v_bfe_u32 v1, v8, 20, 1
	v_add_u32_e32 v1, -1, v1
	v_cmp_eq_u64_e32 vcc, v[4:5], v[6:7]
	v_cndmask_b32_e32 v1, 0, v1, vcc
	v_add_u32_e32 v1, v1, v8
	v_and_b32_e32 v1, 0xfffff, v1
	v_add_co_u32_e32 v54, vcc, v1, v8
	v_add_u32_e32 v2, 6, v3
	v_addc_co_u32_e32 v55, vcc, 0, v9, vcc
	v_cmp_ne_u32_e32 vcc, 0, v2
                                        ; implicit-def: $vgpr1
	s_and_saveexec_b64 s[22:23], vcc
	s_xor_b64 s[22:23], exec, s[22:23]
; %bb.140:                              ;   in Loop: Header=BB2_124 Depth=2
	v_add_u32_e32 v1, 7, v3
	v_cmp_lt_u64_e32 vcc, s[48:49], v[54:55]
	v_cndmask_b32_e32 v1, v2, v1, vcc
	v_cndmask_b32_e64 v2, 0, 1, vcc
	v_lshrrev_b64 v[54:55], v2, v[54:55]
; %bb.141:                              ;   in Loop: Header=BB2_124 Depth=2
	s_andn2_saveexec_b64 s[22:23], s[22:23]
; %bb.142:                              ;   in Loop: Header=BB2_124 Depth=2
	v_bfe_u32 v1, v54, 23, 1
; %bb.143:                              ;   in Loop: Header=BB2_124 Depth=2
	s_or_b64 exec, exec, s[22:23]
	v_lshrrev_b64 v[2:3], 20, v[54:55]
	v_cmp_gt_i32_e32 vcc, 16, v1
	v_cndmask_b32_e32 v3, 0, v3, vcc
	v_cndmask_b32_e32 v2, 7, v2, vcc
	v_cmp_eq_u32_e32 vcc, 0, v1
	v_min_i32_e32 v1, 15, v1
	v_cmp_eq_u64_e64 s[22:23], 0, v[2:3]
	v_lshlrev_b32_e32 v1, 3, v1
	v_and_or_b32 v1, v2, 7, v1
	s_and_b64 s[22:23], vcc, s[22:23]
	v_cndmask_b32_e64 v1, v1, 0, s[22:23]
	v_or_b32_e32 v3, v1, v0
.LBB2_144:                              ;   in Loop: Header=BB2_124 Depth=2
	s_or_b64 exec, exec, s[60:61]
.LBB2_145:                              ;   in Loop: Header=BB2_124 Depth=2
	s_or_b64 exec, exec, s[58:59]
                                        ; implicit-def: $vgpr1
.LBB2_146:                              ;   in Loop: Header=BB2_124 Depth=2
	s_andn2_saveexec_b64 s[22:23], s[56:57]
; %bb.147:                              ;   in Loop: Header=BB2_124 Depth=2
	v_or_b32_sdwa v0, v1, s75 dst_sel:DWORD dst_unused:UNUSED_PAD src0_sel:BYTE_3 src1_sel:DWORD
	v_cmp_eq_u64_e32 vcc, 0, v[56:57]
	v_cndmask_b32_e32 v3, v0, v3, vcc
; %bb.148:                              ;   in Loop: Header=BB2_124 Depth=2
	s_or_b64 exec, exec, s[22:23]
	v_lshrrev_b16_e32 v54, 8, v22
	v_cmp_ne_u16_e32 vcc, 0, v54
	v_mov_b32_e32 v0, 0
	v_mov_b32_e32 v1, 0
	s_and_saveexec_b64 s[22:23], vcc
	s_cbranch_execz .LBB2_154
; %bb.149:                              ;   in Loop: Header=BB2_124 Depth=2
	v_cmp_ne_u16_e32 vcc, s74, v54
	v_bfrev_b32_e32 v1, 1
	s_and_saveexec_b64 s[56:57], vcc
	s_cbranch_execz .LBB2_153
; %bb.150:                              ;   in Loop: Header=BB2_124 Depth=2
	v_and_b32_e32 v2, 0x7f, v54
	v_cmp_ne_u32_e32 vcc, s75, v2
	v_mov_b32_e32 v1, 0x7f800001
	s_and_saveexec_b64 s[58:59], vcc
	s_cbranch_execz .LBB2_152
; %bb.151:                              ;   in Loop: Header=BB2_124 Depth=2
	v_and_b32_e32 v1, 7, v54
	v_ffbh_u32_e32 v4, v1
	v_min_u32_e32 v7, 32, v4
	v_subrev_u32_e32 v4, 28, v7
	v_lshlrev_b64 v[4:5], v4, v[54:55]
	v_lshrrev_b32_e32 v6, 3, v2
	v_sub_u32_e32 v5, 29, v7
	v_and_b32_e32 v4, 7, v4
	v_cmp_gt_u32_e32 vcc, 8, v2
	v_cndmask_b32_e32 v2, v6, v5, vcc
	v_cndmask_b32_e32 v1, v1, v4, vcc
	v_lshlrev_b32_e32 v4, 16, v22
	v_lshlrev_b32_e32 v1, 20, v1
	v_and_b32_e32 v4, 0x80000000, v4
	v_lshl_add_u32 v2, v2, 23, v51
	v_or3_b32 v1, v4, v2, v1
.LBB2_152:                              ;   in Loop: Header=BB2_124 Depth=2
	s_or_b64 exec, exec, s[58:59]
.LBB2_153:                              ;   in Loop: Header=BB2_124 Depth=2
	s_or_b64 exec, exec, s[56:57]
.LBB2_154:                              ;   in Loop: Header=BB2_124 Depth=2
	s_or_b64 exec, exec, s[22:23]
	v_lshrrev_b16_e32 v54, 8, v18
	v_cmp_ne_u16_e32 vcc, 0, v54
	s_and_saveexec_b64 s[22:23], vcc
	s_cbranch_execz .LBB2_160
; %bb.155:                              ;   in Loop: Header=BB2_124 Depth=2
	v_cmp_ne_u16_e32 vcc, s74, v54
	v_bfrev_b32_e32 v0, 1
	s_and_saveexec_b64 s[56:57], vcc
	s_cbranch_execz .LBB2_159
; %bb.156:                              ;   in Loop: Header=BB2_124 Depth=2
	v_and_b32_e32 v2, 0x7f, v54
	v_cmp_ne_u32_e32 vcc, s75, v2
	v_mov_b32_e32 v0, 0x7f800001
	s_and_saveexec_b64 s[58:59], vcc
	s_cbranch_execz .LBB2_158
; %bb.157:                              ;   in Loop: Header=BB2_124 Depth=2
	v_and_b32_e32 v0, 7, v54
	v_ffbh_u32_e32 v4, v0
	v_min_u32_e32 v7, 32, v4
	v_subrev_u32_e32 v4, 28, v7
	v_lshlrev_b64 v[4:5], v4, v[54:55]
	v_lshrrev_b32_e32 v6, 3, v2
	v_sub_u32_e32 v5, 29, v7
	v_and_b32_e32 v4, 7, v4
	v_cmp_gt_u32_e32 vcc, 8, v2
	v_cndmask_b32_e32 v2, v6, v5, vcc
	v_cndmask_b32_e32 v0, v0, v4, vcc
	v_lshlrev_b32_e32 v4, 16, v18
	v_lshlrev_b32_e32 v0, 20, v0
	v_and_b32_e32 v4, 0x80000000, v4
	v_lshl_add_u32 v2, v2, 23, v51
	v_or3_b32 v0, v4, v2, v0
.LBB2_158:                              ;   in Loop: Header=BB2_124 Depth=2
	s_or_b64 exec, exec, s[58:59]
.LBB2_159:                              ;   in Loop: Header=BB2_124 Depth=2
	s_or_b64 exec, exec, s[56:57]
.LBB2_160:                              ;   in Loop: Header=BB2_124 Depth=2
	s_or_b64 exec, exec, s[22:23]
	v_add_f32_e32 v2, v1, v0
	v_and_b32_sdwa v1, v2, s74 dst_sel:DWORD dst_unused:UNUSED_PAD src0_sel:BYTE_3 src1_sel:DWORD
	v_and_b32_e32 v4, 0x7f800000, v2
	v_mov_b32_e32 v5, v57
	v_and_b32_e32 v56, 0x7fffff, v2
	v_or_b32_e32 v0, 0x7e, v1
	v_cmp_ne_u64_e32 vcc, s[42:43], v[4:5]
	s_and_saveexec_b64 s[22:23], vcc
	s_xor_b64 s[56:57], exec, s[22:23]
	s_cbranch_execz .LBB2_170
; %bb.161:                              ;   in Loop: Header=BB2_124 Depth=2
	v_and_b32_e32 v4, 0x7fffffff, v2
	v_mov_b32_e32 v5, v57
	v_cmp_gt_u64_e32 vcc, s[44:45], v[4:5]
	s_and_saveexec_b64 s[58:59], vcc
	s_cbranch_execz .LBB2_169
; %bb.162:                              ;   in Loop: Header=BB2_124 Depth=2
	v_cmp_ne_u32_e32 vcc, 0, v2
	v_mov_b32_e32 v0, 0
	s_and_saveexec_b64 s[60:61], vcc
	s_cbranch_execz .LBB2_168
; %bb.163:                              ;   in Loop: Header=BB2_124 Depth=2
	v_bfe_u32 v0, v2, 23, 8
	v_sub_u32_e32 v4, 0x79, v0
	v_cmp_gt_u32_e32 vcc, s76, v0
	v_add_u32_e32 v2, 0xffffff81, v0
	v_cndmask_b32_e32 v4, 0, v4, vcc
	v_cmp_eq_u32_e32 vcc, 0, v0
	v_mov_b32_e32 v0, 0xffffff82
	v_cndmask_b32_e32 v0, v2, v0, vcc
	v_mov_b32_e32 v2, 0x78
	v_cndmask_b32_e32 v2, v4, v2, vcc
	v_or_b32_e32 v5, 0x800000, v56
	v_add_u32_e32 v4, 20, v2
	v_cndmask_b32_e32 v56, v5, v56, vcc
	v_lshlrev_b64 v[4:5], v4, -1
	v_not_b32_e32 v4, v4
	v_and_b32_e32 v6, v56, v4
	v_add_u32_e32 v4, 19, v2
	v_lshrrev_b64 v[26:27], v2, v[56:57]
	v_not_b32_e32 v5, v5
	v_lshlrev_b64 v[8:9], v4, 1
	v_lshrrev_b32_e32 v4, 23, v26
	v_and_b32_e32 v7, 0, v5
	v_add3_u32 v4, v2, v0, v4
	v_bfe_u32 v0, v26, 20, 1
	v_add_u32_e32 v0, -1, v0
	v_cmp_eq_u64_e32 vcc, v[6:7], v[8:9]
	v_cndmask_b32_e32 v0, 0, v0, vcc
	v_add_u32_e32 v0, v0, v26
	v_and_b32_e32 v0, 0xfffff, v0
	v_add_co_u32_e32 v54, vcc, v0, v26
	v_add_u32_e32 v2, 6, v4
	v_addc_co_u32_e32 v55, vcc, 0, v27, vcc
	v_cmp_ne_u32_e32 vcc, 0, v2
                                        ; implicit-def: $vgpr0
	s_and_saveexec_b64 s[22:23], vcc
	s_xor_b64 s[22:23], exec, s[22:23]
; %bb.164:                              ;   in Loop: Header=BB2_124 Depth=2
	v_add_u32_e32 v0, 7, v4
	v_cmp_lt_u64_e32 vcc, s[48:49], v[54:55]
	v_cndmask_b32_e32 v0, v2, v0, vcc
	v_cndmask_b32_e64 v2, 0, 1, vcc
	v_lshrrev_b64 v[54:55], v2, v[54:55]
; %bb.165:                              ;   in Loop: Header=BB2_124 Depth=2
	s_andn2_saveexec_b64 s[22:23], s[22:23]
; %bb.166:                              ;   in Loop: Header=BB2_124 Depth=2
	v_bfe_u32 v0, v54, 23, 1
; %bb.167:                              ;   in Loop: Header=BB2_124 Depth=2
	s_or_b64 exec, exec, s[22:23]
	v_lshrrev_b64 v[4:5], 20, v[54:55]
	v_cmp_gt_i32_e32 vcc, 16, v0
	v_cndmask_b32_e32 v5, 0, v5, vcc
	v_cndmask_b32_e32 v4, 7, v4, vcc
	v_cmp_eq_u32_e32 vcc, 0, v0
	v_min_i32_e32 v0, 15, v0
	v_cmp_eq_u64_e64 s[22:23], 0, v[4:5]
	v_lshlrev_b32_e32 v0, 3, v0
	v_and_or_b32 v0, v4, 7, v0
	s_and_b64 s[22:23], vcc, s[22:23]
	v_cndmask_b32_e64 v0, v0, 0, s[22:23]
	v_or_b32_e32 v0, v0, v1
.LBB2_168:                              ;   in Loop: Header=BB2_124 Depth=2
	s_or_b64 exec, exec, s[60:61]
.LBB2_169:                              ;   in Loop: Header=BB2_124 Depth=2
	s_or_b64 exec, exec, s[58:59]
                                        ; implicit-def: $vgpr2
.LBB2_170:                              ;   in Loop: Header=BB2_124 Depth=2
	s_andn2_saveexec_b64 s[22:23], s[56:57]
; %bb.171:                              ;   in Loop: Header=BB2_124 Depth=2
	v_or_b32_sdwa v1, v2, s75 dst_sel:DWORD dst_unused:UNUSED_PAD src0_sel:BYTE_3 src1_sel:DWORD
	v_cmp_eq_u64_e32 vcc, 0, v[56:57]
	v_cndmask_b32_e32 v0, v1, v0, vcc
; %bb.172:                              ;   in Loop: Header=BB2_124 Depth=2
	s_or_b64 exec, exec, s[22:23]
	v_lshrrev_b32_e32 v54, 16, v22
	v_cmp_ne_u16_sdwa vcc, v54, v57 src0_sel:BYTE_0 src1_sel:DWORD
	v_mov_b32_e32 v1, 0
	v_mov_b32_e32 v2, 0
	s_and_saveexec_b64 s[22:23], vcc
	s_cbranch_execz .LBB2_178
; %bb.173:                              ;   in Loop: Header=BB2_124 Depth=2
	v_cmp_ne_u16_sdwa vcc, v54, s74 src0_sel:BYTE_0 src1_sel:DWORD
	v_bfrev_b32_e32 v2, 1
	s_and_saveexec_b64 s[56:57], vcc
	s_cbranch_execz .LBB2_177
; %bb.174:                              ;   in Loop: Header=BB2_124 Depth=2
	v_bfe_u32 v4, v22, 16, 7
	v_cmp_ne_u32_e32 vcc, s75, v4
	v_mov_b32_e32 v2, 0x7f800001
	s_and_saveexec_b64 s[58:59], vcc
	s_cbranch_execz .LBB2_176
; %bb.175:                              ;   in Loop: Header=BB2_124 Depth=2
	v_and_b32_e32 v2, 7, v54
	v_ffbh_u32_e32 v6, v2
	v_min_u32_e32 v8, 32, v6
	v_subrev_u32_e32 v6, 28, v8
	v_lshlrev_b64 v[6:7], v6, v[54:55]
	v_lshrrev_b32_e32 v5, 3, v4
	v_sub_u32_e32 v7, 29, v8
	v_and_b32_e32 v6, 7, v6
	v_cmp_gt_u32_e32 vcc, 8, v4
	v_cndmask_b32_e32 v4, v5, v7, vcc
	v_cndmask_b32_e32 v2, v2, v6, vcc
	v_lshlrev_b32_e32 v5, 24, v54
	v_lshlrev_b32_e32 v2, 20, v2
	v_and_b32_e32 v5, 0x80000000, v5
	v_lshl_add_u32 v4, v4, 23, v51
	v_or3_b32 v2, v5, v4, v2
.LBB2_176:                              ;   in Loop: Header=BB2_124 Depth=2
	s_or_b64 exec, exec, s[58:59]
.LBB2_177:                              ;   in Loop: Header=BB2_124 Depth=2
	s_or_b64 exec, exec, s[56:57]
.LBB2_178:                              ;   in Loop: Header=BB2_124 Depth=2
	s_or_b64 exec, exec, s[22:23]
	v_lshrrev_b32_e32 v54, 16, v18
	v_cmp_ne_u16_sdwa vcc, v54, v57 src0_sel:BYTE_0 src1_sel:DWORD
	s_and_saveexec_b64 s[22:23], vcc
	s_cbranch_execz .LBB2_184
; %bb.179:                              ;   in Loop: Header=BB2_124 Depth=2
	v_cmp_ne_u16_sdwa vcc, v54, s74 src0_sel:BYTE_0 src1_sel:DWORD
	v_bfrev_b32_e32 v1, 1
	s_and_saveexec_b64 s[56:57], vcc
	s_cbranch_execz .LBB2_183
; %bb.180:                              ;   in Loop: Header=BB2_124 Depth=2
	v_bfe_u32 v4, v18, 16, 7
	v_cmp_ne_u32_e32 vcc, s75, v4
	v_mov_b32_e32 v1, 0x7f800001
	s_and_saveexec_b64 s[58:59], vcc
	s_cbranch_execz .LBB2_182
; %bb.181:                              ;   in Loop: Header=BB2_124 Depth=2
	v_and_b32_e32 v1, 7, v54
	v_ffbh_u32_e32 v6, v1
	v_min_u32_e32 v8, 32, v6
	v_subrev_u32_e32 v6, 28, v8
	v_lshlrev_b64 v[6:7], v6, v[54:55]
	v_lshrrev_b32_e32 v5, 3, v4
	v_sub_u32_e32 v7, 29, v8
	v_and_b32_e32 v6, 7, v6
	v_cmp_gt_u32_e32 vcc, 8, v4
	v_cndmask_b32_e32 v4, v5, v7, vcc
	v_cndmask_b32_e32 v1, v1, v6, vcc
	v_lshlrev_b32_e32 v5, 8, v18
	v_lshlrev_b32_e32 v1, 20, v1
	v_and_b32_e32 v5, 0x80000000, v5
	v_lshl_add_u32 v4, v4, 23, v51
	v_or3_b32 v1, v5, v4, v1
.LBB2_182:                              ;   in Loop: Header=BB2_124 Depth=2
	s_or_b64 exec, exec, s[58:59]
.LBB2_183:                              ;   in Loop: Header=BB2_124 Depth=2
	s_or_b64 exec, exec, s[56:57]
.LBB2_184:                              ;   in Loop: Header=BB2_124 Depth=2
	s_or_b64 exec, exec, s[22:23]
	v_add_f32_e32 v4, v2, v1
	v_and_b32_sdwa v2, v4, s74 dst_sel:DWORD dst_unused:UNUSED_PAD src0_sel:BYTE_3 src1_sel:DWORD
	v_and_b32_e32 v6, 0x7f800000, v4
	v_mov_b32_e32 v7, v57
	v_and_b32_e32 v56, 0x7fffff, v4
	v_or_b32_e32 v1, 0x7e, v2
	v_cmp_ne_u64_e32 vcc, s[42:43], v[6:7]
	s_and_saveexec_b64 s[22:23], vcc
	s_xor_b64 s[56:57], exec, s[22:23]
	s_cbranch_execz .LBB2_194
; %bb.185:                              ;   in Loop: Header=BB2_124 Depth=2
	v_and_b32_e32 v6, 0x7fffffff, v4
	v_mov_b32_e32 v7, v57
	v_cmp_gt_u64_e32 vcc, s[44:45], v[6:7]
	s_and_saveexec_b64 s[58:59], vcc
	s_cbranch_execz .LBB2_193
; %bb.186:                              ;   in Loop: Header=BB2_124 Depth=2
	v_cmp_ne_u32_e32 vcc, 0, v4
	v_mov_b32_e32 v1, 0
	s_and_saveexec_b64 s[60:61], vcc
	s_cbranch_execz .LBB2_192
; %bb.187:                              ;   in Loop: Header=BB2_124 Depth=2
	v_bfe_u32 v1, v4, 23, 8
	v_sub_u32_e32 v5, 0x79, v1
	v_cmp_gt_u32_e32 vcc, s76, v1
	v_add_u32_e32 v4, 0xffffff81, v1
	v_cndmask_b32_e32 v5, 0, v5, vcc
	v_cmp_eq_u32_e32 vcc, 0, v1
	v_mov_b32_e32 v1, 0xffffff82
	v_cndmask_b32_e32 v1, v4, v1, vcc
	v_mov_b32_e32 v4, 0x78
	v_cndmask_b32_e32 v28, v5, v4, vcc
	v_add_u32_e32 v4, 20, v28
	v_or_b32_e32 v6, 0x800000, v56
	v_lshlrev_b64 v[4:5], v4, -1
	v_cndmask_b32_e32 v56, v6, v56, vcc
	v_not_b32_e32 v4, v4
	v_and_b32_e32 v6, v56, v4
	v_add_u32_e32 v4, 19, v28
	v_lshrrev_b64 v[26:27], v28, v[56:57]
	v_not_b32_e32 v5, v5
	v_lshlrev_b64 v[8:9], v4, 1
	v_lshrrev_b32_e32 v4, 23, v26
	v_and_b32_e32 v7, 0, v5
	v_add3_u32 v5, v28, v1, v4
	v_bfe_u32 v1, v26, 20, 1
	v_add_u32_e32 v1, -1, v1
	v_cmp_eq_u64_e32 vcc, v[6:7], v[8:9]
	v_cndmask_b32_e32 v1, 0, v1, vcc
	v_add_u32_e32 v1, v1, v26
	v_and_b32_e32 v1, 0xfffff, v1
	v_add_co_u32_e32 v54, vcc, v1, v26
	v_add_u32_e32 v4, 6, v5
	v_addc_co_u32_e32 v55, vcc, 0, v27, vcc
	v_cmp_ne_u32_e32 vcc, 0, v4
                                        ; implicit-def: $vgpr1
	s_and_saveexec_b64 s[22:23], vcc
	s_xor_b64 s[22:23], exec, s[22:23]
; %bb.188:                              ;   in Loop: Header=BB2_124 Depth=2
	v_add_u32_e32 v1, 7, v5
	v_cmp_lt_u64_e32 vcc, s[48:49], v[54:55]
	v_cndmask_b32_e32 v1, v4, v1, vcc
	v_cndmask_b32_e64 v4, 0, 1, vcc
	v_lshrrev_b64 v[54:55], v4, v[54:55]
; %bb.189:                              ;   in Loop: Header=BB2_124 Depth=2
	s_andn2_saveexec_b64 s[22:23], s[22:23]
; %bb.190:                              ;   in Loop: Header=BB2_124 Depth=2
	v_bfe_u32 v1, v54, 23, 1
; %bb.191:                              ;   in Loop: Header=BB2_124 Depth=2
	s_or_b64 exec, exec, s[22:23]
	v_lshrrev_b64 v[4:5], 20, v[54:55]
	v_cmp_gt_i32_e32 vcc, 16, v1
	v_cndmask_b32_e32 v5, 0, v5, vcc
	v_cndmask_b32_e32 v4, 7, v4, vcc
	v_cmp_eq_u32_e32 vcc, 0, v1
	v_min_i32_e32 v1, 15, v1
	v_cmp_eq_u64_e64 s[22:23], 0, v[4:5]
	v_lshlrev_b32_e32 v1, 3, v1
	v_and_or_b32 v1, v4, 7, v1
	s_and_b64 s[22:23], vcc, s[22:23]
	v_cndmask_b32_e64 v1, v1, 0, s[22:23]
	v_or_b32_e32 v1, v1, v2
.LBB2_192:                              ;   in Loop: Header=BB2_124 Depth=2
	s_or_b64 exec, exec, s[60:61]
.LBB2_193:                              ;   in Loop: Header=BB2_124 Depth=2
	s_or_b64 exec, exec, s[58:59]
                                        ; implicit-def: $vgpr4
.LBB2_194:                              ;   in Loop: Header=BB2_124 Depth=2
	s_andn2_saveexec_b64 s[22:23], s[56:57]
; %bb.195:                              ;   in Loop: Header=BB2_124 Depth=2
	v_or_b32_sdwa v2, v4, s75 dst_sel:DWORD dst_unused:UNUSED_PAD src0_sel:BYTE_3 src1_sel:DWORD
	v_cmp_eq_u64_e32 vcc, 0, v[56:57]
	v_cndmask_b32_e32 v1, v2, v1, vcc
; %bb.196:                              ;   in Loop: Header=BB2_124 Depth=2
	s_or_b64 exec, exec, s[22:23]
	v_cmp_lt_u32_e32 vcc, s47, v22
	v_mov_b32_e32 v2, 0
	v_mov_b32_e32 v4, 0
	s_and_saveexec_b64 s[22:23], vcc
	s_cbranch_execz .LBB2_202
; %bb.197:                              ;   in Loop: Header=BB2_124 Depth=2
	v_lshrrev_b32_e32 v54, 24, v22
	v_cmp_ne_u32_e32 vcc, s74, v54
	v_bfrev_b32_e32 v4, 1
	s_and_saveexec_b64 s[56:57], vcc
	s_cbranch_execz .LBB2_201
; %bb.198:                              ;   in Loop: Header=BB2_124 Depth=2
	v_bfe_u32 v5, v22, 24, 7
	v_cmp_ne_u32_e32 vcc, s75, v5
	v_mov_b32_e32 v4, 0x7f800001
	s_and_saveexec_b64 s[58:59], vcc
	s_cbranch_execz .LBB2_200
; %bb.199:                              ;   in Loop: Header=BB2_124 Depth=2
	v_and_b32_e32 v4, 7, v54
	v_ffbh_u32_e32 v6, v4
	v_min_u32_e32 v9, 32, v6
	v_subrev_u32_e32 v6, 28, v9
	v_lshlrev_b64 v[6:7], v6, v[54:55]
	v_lshrrev_b32_e32 v8, 3, v5
	v_sub_u32_e32 v7, 29, v9
	v_and_b32_e32 v6, 7, v6
	v_cmp_gt_u32_e32 vcc, 8, v5
	v_cndmask_b32_e32 v5, v8, v7, vcc
	v_cndmask_b32_e32 v4, v4, v6, vcc
	v_lshlrev_b32_e32 v6, 24, v54
	v_lshlrev_b32_e32 v4, 20, v4
	v_and_b32_e32 v6, 0x80000000, v6
	v_lshl_add_u32 v5, v5, 23, v51
	v_or3_b32 v4, v6, v5, v4
.LBB2_200:                              ;   in Loop: Header=BB2_124 Depth=2
	s_or_b64 exec, exec, s[58:59]
.LBB2_201:                              ;   in Loop: Header=BB2_124 Depth=2
	s_or_b64 exec, exec, s[56:57]
.LBB2_202:                              ;   in Loop: Header=BB2_124 Depth=2
	s_or_b64 exec, exec, s[22:23]
	v_cmp_lt_u32_e32 vcc, s47, v18
	s_and_saveexec_b64 s[22:23], vcc
	s_cbranch_execz .LBB2_208
; %bb.203:                              ;   in Loop: Header=BB2_124 Depth=2
	v_lshrrev_b32_e32 v54, 24, v18
	v_cmp_ne_u32_e32 vcc, s74, v54
	v_bfrev_b32_e32 v2, 1
	s_and_saveexec_b64 s[56:57], vcc
	s_cbranch_execz .LBB2_207
; %bb.204:                              ;   in Loop: Header=BB2_124 Depth=2
	v_bfe_u32 v5, v18, 24, 7
	v_cmp_ne_u32_e32 vcc, s75, v5
	v_mov_b32_e32 v2, 0x7f800001
	s_and_saveexec_b64 s[58:59], vcc
	s_cbranch_execz .LBB2_206
; %bb.205:                              ;   in Loop: Header=BB2_124 Depth=2
	v_and_b32_e32 v2, 7, v54
	v_ffbh_u32_e32 v6, v2
	v_min_u32_e32 v9, 32, v6
	v_subrev_u32_e32 v6, 28, v9
	v_lshlrev_b64 v[6:7], v6, v[54:55]
	v_lshrrev_b32_e32 v8, 3, v5
	v_sub_u32_e32 v7, 29, v9
	v_and_b32_e32 v6, 7, v6
	v_cmp_gt_u32_e32 vcc, 8, v5
	v_cndmask_b32_e32 v5, v8, v7, vcc
	v_cndmask_b32_e32 v2, v2, v6, vcc
	v_lshlrev_b32_e32 v6, 24, v54
	v_lshlrev_b32_e32 v2, 20, v2
	v_and_b32_e32 v6, 0x80000000, v6
	v_lshl_add_u32 v5, v5, 23, v51
	v_or3_b32 v2, v6, v5, v2
.LBB2_206:                              ;   in Loop: Header=BB2_124 Depth=2
	s_or_b64 exec, exec, s[58:59]
.LBB2_207:                              ;   in Loop: Header=BB2_124 Depth=2
	s_or_b64 exec, exec, s[56:57]
.LBB2_208:                              ;   in Loop: Header=BB2_124 Depth=2
	s_or_b64 exec, exec, s[22:23]
	v_add_f32_e32 v4, v4, v2
	v_and_b32_sdwa v2, v4, s74 dst_sel:DWORD dst_unused:UNUSED_PAD src0_sel:BYTE_3 src1_sel:DWORD
	v_and_b32_e32 v6, 0x7f800000, v4
	v_mov_b32_e32 v7, v57
	v_and_b32_e32 v56, 0x7fffff, v4
	v_or_b32_e32 v43, 0x7e, v2
	v_cmp_ne_u64_e32 vcc, s[42:43], v[6:7]
	s_and_saveexec_b64 s[22:23], vcc
	s_xor_b64 s[56:57], exec, s[22:23]
	s_cbranch_execz .LBB2_218
; %bb.209:                              ;   in Loop: Header=BB2_124 Depth=2
	v_and_b32_e32 v6, 0x7fffffff, v4
	v_mov_b32_e32 v7, v57
	v_cmp_gt_u64_e32 vcc, s[44:45], v[6:7]
	s_and_saveexec_b64 s[58:59], vcc
	s_cbranch_execz .LBB2_217
; %bb.210:                              ;   in Loop: Header=BB2_124 Depth=2
	v_cmp_ne_u32_e32 vcc, 0, v4
	v_mov_b32_e32 v43, 0
	s_and_saveexec_b64 s[60:61], vcc
	s_cbranch_execz .LBB2_216
; %bb.211:                              ;   in Loop: Header=BB2_124 Depth=2
	v_bfe_u32 v4, v4, 23, 8
	v_sub_u32_e32 v6, 0x79, v4
	v_cmp_gt_u32_e32 vcc, s76, v4
	v_add_u32_e32 v5, 0xffffff81, v4
	v_cndmask_b32_e32 v6, 0, v6, vcc
	v_cmp_eq_u32_e32 vcc, 0, v4
	v_mov_b32_e32 v4, 0xffffff82
	v_cndmask_b32_e32 v26, v5, v4, vcc
	v_mov_b32_e32 v4, 0x78
	v_cndmask_b32_e32 v27, v6, v4, vcc
	v_add_u32_e32 v4, 20, v27
	v_or_b32_e32 v7, 0x800000, v56
	v_lshlrev_b64 v[4:5], v4, -1
	v_cndmask_b32_e32 v56, v7, v56, vcc
	v_not_b32_e32 v4, v4
	v_and_b32_e32 v6, v56, v4
	v_add_u32_e32 v4, 19, v27
	v_lshrrev_b64 v[28:29], v27, v[56:57]
	v_not_b32_e32 v5, v5
	v_lshlrev_b64 v[8:9], v4, 1
	v_lshrrev_b32_e32 v4, 23, v28
	v_and_b32_e32 v7, 0, v5
	v_add3_u32 v26, v27, v26, v4
	v_bfe_u32 v4, v28, 20, 1
	v_add_u32_e32 v4, -1, v4
	v_cmp_eq_u64_e32 vcc, v[6:7], v[8:9]
	v_cndmask_b32_e32 v4, 0, v4, vcc
	v_add_u32_e32 v4, v4, v28
	v_and_b32_e32 v4, 0xfffff, v4
	v_add_co_u32_e32 v54, vcc, v4, v28
	v_add_u32_e32 v5, 6, v26
	v_addc_co_u32_e32 v55, vcc, 0, v29, vcc
	v_cmp_ne_u32_e32 vcc, 0, v5
                                        ; implicit-def: $vgpr4
	s_and_saveexec_b64 s[22:23], vcc
	s_xor_b64 s[22:23], exec, s[22:23]
; %bb.212:                              ;   in Loop: Header=BB2_124 Depth=2
	v_add_u32_e32 v4, 7, v26
	v_cmp_lt_u64_e32 vcc, s[48:49], v[54:55]
	v_cndmask_b32_e32 v4, v5, v4, vcc
	v_cndmask_b32_e64 v5, 0, 1, vcc
	v_lshrrev_b64 v[54:55], v5, v[54:55]
; %bb.213:                              ;   in Loop: Header=BB2_124 Depth=2
	s_andn2_saveexec_b64 s[22:23], s[22:23]
; %bb.214:                              ;   in Loop: Header=BB2_124 Depth=2
	v_bfe_u32 v4, v54, 23, 1
; %bb.215:                              ;   in Loop: Header=BB2_124 Depth=2
	s_or_b64 exec, exec, s[22:23]
	v_lshrrev_b64 v[6:7], 20, v[54:55]
	v_cmp_gt_i32_e32 vcc, 16, v4
	v_cndmask_b32_e32 v7, 0, v7, vcc
	v_cndmask_b32_e32 v6, 7, v6, vcc
	v_cmp_eq_u32_e32 vcc, 0, v4
	v_min_i32_e32 v4, 15, v4
	v_cmp_eq_u64_e64 s[22:23], 0, v[6:7]
	v_lshlrev_b32_e32 v4, 3, v4
	v_and_or_b32 v4, v6, 7, v4
	s_and_b64 s[22:23], vcc, s[22:23]
	v_cndmask_b32_e64 v4, v4, 0, s[22:23]
	v_or_b32_e32 v43, v4, v2
.LBB2_216:                              ;   in Loop: Header=BB2_124 Depth=2
	s_or_b64 exec, exec, s[60:61]
.LBB2_217:                              ;   in Loop: Header=BB2_124 Depth=2
	s_or_b64 exec, exec, s[58:59]
                                        ; implicit-def: $vgpr4
.LBB2_218:                              ;   in Loop: Header=BB2_124 Depth=2
	s_andn2_saveexec_b64 s[22:23], s[56:57]
; %bb.219:                              ;   in Loop: Header=BB2_124 Depth=2
	v_or_b32_sdwa v2, v4, s75 dst_sel:DWORD dst_unused:UNUSED_PAD src0_sel:BYTE_3 src1_sel:DWORD
	v_cmp_eq_u64_e32 vcc, 0, v[56:57]
	v_cndmask_b32_e32 v43, v2, v43, vcc
; %bb.220:                              ;   in Loop: Header=BB2_124 Depth=2
	s_or_b64 exec, exec, s[22:23]
	v_mov_b32_e32 v56, v23
	v_cmp_ne_u16_sdwa vcc, v23, v57 src0_sel:BYTE_0 src1_sel:DWORD
	v_mov_b32_e32 v4, 0
	v_mov_b32_e32 v2, 0
	s_and_saveexec_b64 s[22:23], vcc
	s_cbranch_execz .LBB2_226
; %bb.221:                              ;   in Loop: Header=BB2_124 Depth=2
	v_cmp_ne_u16_sdwa vcc, v23, s74 src0_sel:BYTE_0 src1_sel:DWORD
	v_bfrev_b32_e32 v2, 1
	s_and_saveexec_b64 s[56:57], vcc
	s_cbranch_execz .LBB2_225
; %bb.222:                              ;   in Loop: Header=BB2_124 Depth=2
	v_and_b32_e32 v5, 0x7f, v23
	v_cmp_ne_u32_e32 vcc, s75, v5
	v_mov_b32_e32 v2, 0x7f800001
	s_and_saveexec_b64 s[58:59], vcc
	s_cbranch_execz .LBB2_224
; %bb.223:                              ;   in Loop: Header=BB2_124 Depth=2
	v_and_b32_e32 v2, 7, v23
	v_ffbh_u32_e32 v2, v2
	v_min_u32_e32 v2, 32, v2
	v_subrev_u32_e32 v7, 28, v2
	v_cmp_gt_u32_e32 vcc, 8, v5
	v_lshrrev_b32_e32 v6, 3, v5
	v_sub_u32_e32 v2, 29, v2
	v_cndmask_b32_e32 v5, 0, v7, vcc
	v_cndmask_b32_e32 v2, v6, v2, vcc
	v_lshlrev_b64 v[6:7], v5, v[56:57]
	v_lshlrev_b32_e32 v5, 20, v6
	v_lshlrev_b32_e32 v6, 24, v56
	v_and_b32_e32 v5, 0x700000, v5
	v_and_b32_e32 v6, 0x80000000, v6
	v_lshl_add_u32 v2, v2, 23, v51
	v_or3_b32 v2, v6, v2, v5
.LBB2_224:                              ;   in Loop: Header=BB2_124 Depth=2
	s_or_b64 exec, exec, s[58:59]
.LBB2_225:                              ;   in Loop: Header=BB2_124 Depth=2
	s_or_b64 exec, exec, s[56:57]
.LBB2_226:                              ;   in Loop: Header=BB2_124 Depth=2
	s_or_b64 exec, exec, s[22:23]
	v_cmp_ne_u16_sdwa vcc, v19, v57 src0_sel:BYTE_0 src1_sel:DWORD
	s_and_saveexec_b64 s[22:23], vcc
	s_cbranch_execz .LBB2_232
; %bb.227:                              ;   in Loop: Header=BB2_124 Depth=2
	v_cmp_ne_u16_sdwa vcc, v19, s74 src0_sel:BYTE_0 src1_sel:DWORD
	v_bfrev_b32_e32 v4, 1
	s_and_saveexec_b64 s[56:57], vcc
	s_cbranch_execz .LBB2_231
; %bb.228:                              ;   in Loop: Header=BB2_124 Depth=2
	v_and_b32_e32 v5, 0x7f, v19
	v_cmp_ne_u32_e32 vcc, s75, v5
	v_mov_b32_e32 v4, 0x7f800001
	s_and_saveexec_b64 s[58:59], vcc
	s_cbranch_execz .LBB2_230
; %bb.229:                              ;   in Loop: Header=BB2_124 Depth=2
	v_and_b32_e32 v4, 7, v19
	v_ffbh_u32_e32 v4, v4
	v_min_u32_e32 v4, 32, v4
	v_lshrrev_b32_e32 v8, 3, v5
	v_subrev_u32_e32 v9, 28, v4
	v_sub_u32_e32 v4, 29, v4
	v_cmp_gt_u32_e32 vcc, 8, v5
	v_mov_b32_e32 v6, v19
	v_mov_b32_e32 v7, v57
	v_cndmask_b32_e32 v8, v8, v4, vcc
	v_cndmask_b32_e32 v4, 0, v9, vcc
	v_lshlrev_b64 v[4:5], v4, v[6:7]
	v_lshlrev_b32_e32 v4, 20, v4
	v_lshlrev_b32_e32 v5, 24, v6
	v_and_b32_e32 v4, 0x700000, v4
	v_and_b32_e32 v5, 0x80000000, v5
	v_lshl_add_u32 v6, v8, 23, v51
	v_or3_b32 v4, v5, v6, v4
.LBB2_230:                              ;   in Loop: Header=BB2_124 Depth=2
	s_or_b64 exec, exec, s[58:59]
.LBB2_231:                              ;   in Loop: Header=BB2_124 Depth=2
	s_or_b64 exec, exec, s[56:57]
.LBB2_232:                              ;   in Loop: Header=BB2_124 Depth=2
	s_or_b64 exec, exec, s[22:23]
	v_add_f32_e32 v4, v2, v4
	v_and_b32_sdwa v2, v4, s74 dst_sel:DWORD dst_unused:UNUSED_PAD src0_sel:BYTE_3 src1_sel:DWORD
	v_and_b32_e32 v6, 0x7f800000, v4
	v_mov_b32_e32 v7, v57
	v_and_b32_e32 v54, 0x7fffff, v4
	v_mov_b32_e32 v55, v57
	v_or_b32_e32 v34, 0x7e, v2
	v_cmp_ne_u64_e32 vcc, s[42:43], v[6:7]
	s_and_saveexec_b64 s[22:23], vcc
	s_xor_b64 s[56:57], exec, s[22:23]
	s_cbranch_execz .LBB2_242
; %bb.233:                              ;   in Loop: Header=BB2_124 Depth=2
	v_and_b32_e32 v6, 0x7fffffff, v4
	v_mov_b32_e32 v7, v57
	v_cmp_gt_u64_e32 vcc, s[44:45], v[6:7]
	s_and_saveexec_b64 s[58:59], vcc
	s_cbranch_execz .LBB2_241
; %bb.234:                              ;   in Loop: Header=BB2_124 Depth=2
	v_cmp_ne_u32_e32 vcc, 0, v4
	v_mov_b32_e32 v34, 0
	s_and_saveexec_b64 s[60:61], vcc
	s_cbranch_execz .LBB2_240
; %bb.235:                              ;   in Loop: Header=BB2_124 Depth=2
	v_bfe_u32 v4, v4, 23, 8
	v_sub_u32_e32 v6, 0x79, v4
	v_cmp_gt_u32_e32 vcc, s76, v4
	v_add_u32_e32 v5, 0xffffff81, v4
	v_cndmask_b32_e32 v6, 0, v6, vcc
	v_cmp_eq_u32_e32 vcc, 0, v4
	v_mov_b32_e32 v4, 0xffffff82
	v_cndmask_b32_e32 v26, v5, v4, vcc
	v_mov_b32_e32 v4, 0x78
	v_cndmask_b32_e32 v27, v6, v4, vcc
	v_add_u32_e32 v4, 20, v27
	v_or_b32_e32 v7, 0x800000, v54
	v_lshlrev_b64 v[4:5], v4, -1
	v_cndmask_b32_e32 v54, v7, v54, vcc
	v_not_b32_e32 v4, v4
	v_and_b32_e32 v6, v54, v4
	v_add_u32_e32 v4, 19, v27
	v_lshrrev_b64 v[28:29], v27, v[54:55]
	v_not_b32_e32 v5, v5
	v_lshlrev_b64 v[8:9], v4, 1
	v_lshrrev_b32_e32 v4, 23, v28
	v_and_b32_e32 v7, 0, v5
	v_add3_u32 v26, v27, v26, v4
	v_bfe_u32 v4, v28, 20, 1
	v_add_u32_e32 v4, -1, v4
	v_cmp_eq_u64_e32 vcc, v[6:7], v[8:9]
	v_cndmask_b32_e32 v4, 0, v4, vcc
	v_add_u32_e32 v4, v4, v28
	v_and_b32_e32 v4, 0xfffff, v4
	v_add_co_u32_e32 v54, vcc, v4, v28
	v_add_u32_e32 v5, 6, v26
	v_addc_co_u32_e32 v55, vcc, 0, v29, vcc
	v_cmp_ne_u32_e32 vcc, 0, v5
                                        ; implicit-def: $vgpr4
	s_and_saveexec_b64 s[22:23], vcc
	s_xor_b64 s[22:23], exec, s[22:23]
; %bb.236:                              ;   in Loop: Header=BB2_124 Depth=2
	v_add_u32_e32 v4, 7, v26
	v_cmp_lt_u64_e32 vcc, s[48:49], v[54:55]
	v_cndmask_b32_e32 v4, v5, v4, vcc
	v_cndmask_b32_e64 v5, 0, 1, vcc
	v_lshrrev_b64 v[54:55], v5, v[54:55]
; %bb.237:                              ;   in Loop: Header=BB2_124 Depth=2
	s_andn2_saveexec_b64 s[22:23], s[22:23]
; %bb.238:                              ;   in Loop: Header=BB2_124 Depth=2
	v_bfe_u32 v4, v54, 23, 1
; %bb.239:                              ;   in Loop: Header=BB2_124 Depth=2
	s_or_b64 exec, exec, s[22:23]
	v_lshrrev_b64 v[6:7], 20, v[54:55]
	v_cmp_gt_i32_e32 vcc, 16, v4
	v_cndmask_b32_e32 v7, 0, v7, vcc
	v_cndmask_b32_e32 v6, 7, v6, vcc
	v_cmp_eq_u32_e32 vcc, 0, v4
	v_min_i32_e32 v4, 15, v4
	v_cmp_eq_u64_e64 s[22:23], 0, v[6:7]
	v_lshlrev_b32_e32 v4, 3, v4
	v_and_or_b32 v4, v6, 7, v4
	s_and_b64 s[22:23], vcc, s[22:23]
	v_cndmask_b32_e64 v4, v4, 0, s[22:23]
	v_or_b32_e32 v34, v4, v2
.LBB2_240:                              ;   in Loop: Header=BB2_124 Depth=2
	s_or_b64 exec, exec, s[60:61]
.LBB2_241:                              ;   in Loop: Header=BB2_124 Depth=2
	s_or_b64 exec, exec, s[58:59]
                                        ; implicit-def: $vgpr4
                                        ; implicit-def: $vgpr54_vgpr55
.LBB2_242:                              ;   in Loop: Header=BB2_124 Depth=2
	s_andn2_saveexec_b64 s[22:23], s[56:57]
; %bb.243:                              ;   in Loop: Header=BB2_124 Depth=2
	v_or_b32_sdwa v2, v4, s75 dst_sel:DWORD dst_unused:UNUSED_PAD src0_sel:BYTE_3 src1_sel:DWORD
	v_cmp_eq_u64_e32 vcc, 0, v[54:55]
	v_cndmask_b32_e32 v34, v2, v34, vcc
; %bb.244:                              ;   in Loop: Header=BB2_124 Depth=2
	s_or_b64 exec, exec, s[22:23]
	v_lshrrev_b16_e32 v54, 8, v56
	v_cmp_ne_u16_e32 vcc, 0, v54
	v_mov_b32_e32 v2, 0
	v_mov_b32_e32 v4, 0
	s_and_saveexec_b64 s[22:23], vcc
	s_cbranch_execz .LBB2_250
; %bb.245:                              ;   in Loop: Header=BB2_124 Depth=2
	v_cmp_ne_u16_e32 vcc, s74, v54
	v_bfrev_b32_e32 v4, 1
	s_and_saveexec_b64 s[56:57], vcc
	s_cbranch_execz .LBB2_249
; %bb.246:                              ;   in Loop: Header=BB2_124 Depth=2
	v_and_b32_e32 v5, 0x7f, v54
	v_cmp_ne_u32_e32 vcc, s75, v5
	v_mov_b32_e32 v4, 0x7f800001
	s_and_saveexec_b64 s[58:59], vcc
	s_cbranch_execz .LBB2_248
; %bb.247:                              ;   in Loop: Header=BB2_124 Depth=2
	v_and_b32_e32 v4, 7, v54
	v_ffbh_u32_e32 v6, v4
	v_min_u32_e32 v9, 32, v6
	v_subrev_u32_e32 v6, 28, v9
	v_lshlrev_b64 v[6:7], v6, v[54:55]
	v_lshrrev_b32_e32 v8, 3, v5
	v_sub_u32_e32 v7, 29, v9
	v_and_b32_e32 v6, 7, v6
	v_cmp_gt_u32_e32 vcc, 8, v5
	v_cndmask_b32_e32 v5, v8, v7, vcc
	v_cndmask_b32_e32 v4, v4, v6, vcc
	v_lshlrev_b32_e32 v6, 16, v56
	v_lshlrev_b32_e32 v4, 20, v4
	v_and_b32_e32 v6, 0x80000000, v6
	v_lshl_add_u32 v5, v5, 23, v51
	v_or3_b32 v4, v6, v5, v4
.LBB2_248:                              ;   in Loop: Header=BB2_124 Depth=2
	s_or_b64 exec, exec, s[58:59]
.LBB2_249:                              ;   in Loop: Header=BB2_124 Depth=2
	s_or_b64 exec, exec, s[56:57]
.LBB2_250:                              ;   in Loop: Header=BB2_124 Depth=2
	s_or_b64 exec, exec, s[22:23]
	v_mov_b32_e32 v54, v19
	v_lshrrev_b16_e32 v56, 8, v54
	v_cmp_ne_u16_e32 vcc, 0, v56
	s_and_saveexec_b64 s[22:23], vcc
	s_cbranch_execz .LBB2_256
; %bb.251:                              ;   in Loop: Header=BB2_124 Depth=2
	v_cmp_ne_u16_e32 vcc, s74, v56
	v_bfrev_b32_e32 v2, 1
	s_and_saveexec_b64 s[56:57], vcc
	s_cbranch_execz .LBB2_255
; %bb.252:                              ;   in Loop: Header=BB2_124 Depth=2
	v_and_b32_e32 v5, 0x7f, v56
	v_cmp_ne_u32_e32 vcc, s75, v5
	v_mov_b32_e32 v2, 0x7f800001
	s_and_saveexec_b64 s[58:59], vcc
	s_cbranch_execz .LBB2_254
; %bb.253:                              ;   in Loop: Header=BB2_124 Depth=2
	v_and_b32_e32 v2, 7, v56
	v_ffbh_u32_e32 v6, v2
	v_min_u32_e32 v9, 32, v6
	v_subrev_u32_e32 v6, 28, v9
	v_lshlrev_b64 v[6:7], v6, v[56:57]
	v_lshrrev_b32_e32 v8, 3, v5
	v_sub_u32_e32 v7, 29, v9
	v_and_b32_e32 v6, 7, v6
	v_cmp_gt_u32_e32 vcc, 8, v5
	v_cndmask_b32_e32 v5, v8, v7, vcc
	v_cndmask_b32_e32 v2, v2, v6, vcc
	v_lshlrev_b32_e32 v6, 16, v54
	v_lshlrev_b32_e32 v2, 20, v2
	v_and_b32_e32 v6, 0x80000000, v6
	v_lshl_add_u32 v5, v5, 23, v51
	v_or3_b32 v2, v6, v5, v2
.LBB2_254:                              ;   in Loop: Header=BB2_124 Depth=2
	s_or_b64 exec, exec, s[58:59]
.LBB2_255:                              ;   in Loop: Header=BB2_124 Depth=2
	s_or_b64 exec, exec, s[56:57]
.LBB2_256:                              ;   in Loop: Header=BB2_124 Depth=2
	s_or_b64 exec, exec, s[22:23]
	v_add_f32_e32 v4, v4, v2
	v_and_b32_sdwa v2, v4, s74 dst_sel:DWORD dst_unused:UNUSED_PAD src0_sel:BYTE_3 src1_sel:DWORD
	v_and_b32_e32 v6, 0x7f800000, v4
	v_mov_b32_e32 v7, v57
	v_and_b32_e32 v56, 0x7fffff, v4
	v_or_b32_e32 v35, 0x7e, v2
	v_cmp_ne_u64_e32 vcc, s[42:43], v[6:7]
	s_and_saveexec_b64 s[22:23], vcc
	s_xor_b64 s[56:57], exec, s[22:23]
	s_cbranch_execz .LBB2_266
; %bb.257:                              ;   in Loop: Header=BB2_124 Depth=2
	v_and_b32_e32 v6, 0x7fffffff, v4
	v_mov_b32_e32 v7, v57
	v_cmp_gt_u64_e32 vcc, s[44:45], v[6:7]
	s_and_saveexec_b64 s[58:59], vcc
	s_cbranch_execz .LBB2_265
; %bb.258:                              ;   in Loop: Header=BB2_124 Depth=2
	v_cmp_ne_u32_e32 vcc, 0, v4
	v_mov_b32_e32 v35, 0
	s_and_saveexec_b64 s[60:61], vcc
	s_cbranch_execz .LBB2_264
; %bb.259:                              ;   in Loop: Header=BB2_124 Depth=2
	v_bfe_u32 v4, v4, 23, 8
	v_sub_u32_e32 v6, 0x79, v4
	v_cmp_gt_u32_e32 vcc, s76, v4
	v_add_u32_e32 v5, 0xffffff81, v4
	v_cndmask_b32_e32 v6, 0, v6, vcc
	v_cmp_eq_u32_e32 vcc, 0, v4
	v_mov_b32_e32 v4, 0xffffff82
	v_cndmask_b32_e32 v26, v5, v4, vcc
	v_mov_b32_e32 v4, 0x78
	v_cndmask_b32_e32 v27, v6, v4, vcc
	v_add_u32_e32 v4, 20, v27
	v_or_b32_e32 v7, 0x800000, v56
	v_lshlrev_b64 v[4:5], v4, -1
	v_cndmask_b32_e32 v56, v7, v56, vcc
	v_not_b32_e32 v4, v4
	v_and_b32_e32 v6, v56, v4
	v_add_u32_e32 v4, 19, v27
	v_lshrrev_b64 v[28:29], v27, v[56:57]
	v_not_b32_e32 v5, v5
	v_lshlrev_b64 v[8:9], v4, 1
	v_lshrrev_b32_e32 v4, 23, v28
	v_and_b32_e32 v7, 0, v5
	v_add3_u32 v26, v27, v26, v4
	v_bfe_u32 v4, v28, 20, 1
	v_add_u32_e32 v4, -1, v4
	v_cmp_eq_u64_e32 vcc, v[6:7], v[8:9]
	v_cndmask_b32_e32 v4, 0, v4, vcc
	v_add_u32_e32 v4, v4, v28
	v_and_b32_e32 v4, 0xfffff, v4
	v_add_co_u32_e32 v54, vcc, v4, v28
	v_add_u32_e32 v5, 6, v26
	v_addc_co_u32_e32 v55, vcc, 0, v29, vcc
	v_cmp_ne_u32_e32 vcc, 0, v5
                                        ; implicit-def: $vgpr4
	s_and_saveexec_b64 s[22:23], vcc
	s_xor_b64 s[22:23], exec, s[22:23]
; %bb.260:                              ;   in Loop: Header=BB2_124 Depth=2
	v_add_u32_e32 v4, 7, v26
	v_cmp_lt_u64_e32 vcc, s[48:49], v[54:55]
	v_cndmask_b32_e32 v4, v5, v4, vcc
	v_cndmask_b32_e64 v5, 0, 1, vcc
	v_lshrrev_b64 v[54:55], v5, v[54:55]
; %bb.261:                              ;   in Loop: Header=BB2_124 Depth=2
	s_andn2_saveexec_b64 s[22:23], s[22:23]
; %bb.262:                              ;   in Loop: Header=BB2_124 Depth=2
	v_bfe_u32 v4, v54, 23, 1
; %bb.263:                              ;   in Loop: Header=BB2_124 Depth=2
	s_or_b64 exec, exec, s[22:23]
	v_lshrrev_b64 v[6:7], 20, v[54:55]
	v_cmp_gt_i32_e32 vcc, 16, v4
	v_cndmask_b32_e32 v7, 0, v7, vcc
	v_cndmask_b32_e32 v6, 7, v6, vcc
	v_cmp_eq_u32_e32 vcc, 0, v4
	v_min_i32_e32 v4, 15, v4
	v_cmp_eq_u64_e64 s[22:23], 0, v[6:7]
	v_lshlrev_b32_e32 v4, 3, v4
	v_and_or_b32 v4, v6, 7, v4
	s_and_b64 s[22:23], vcc, s[22:23]
	v_cndmask_b32_e64 v4, v4, 0, s[22:23]
	v_or_b32_e32 v35, v4, v2
.LBB2_264:                              ;   in Loop: Header=BB2_124 Depth=2
	s_or_b64 exec, exec, s[60:61]
.LBB2_265:                              ;   in Loop: Header=BB2_124 Depth=2
	s_or_b64 exec, exec, s[58:59]
                                        ; implicit-def: $vgpr4
.LBB2_266:                              ;   in Loop: Header=BB2_124 Depth=2
	s_andn2_saveexec_b64 s[22:23], s[56:57]
; %bb.267:                              ;   in Loop: Header=BB2_124 Depth=2
	v_or_b32_sdwa v2, v4, s75 dst_sel:DWORD dst_unused:UNUSED_PAD src0_sel:BYTE_3 src1_sel:DWORD
	v_cmp_eq_u64_e32 vcc, 0, v[56:57]
	v_cndmask_b32_e32 v35, v2, v35, vcc
; %bb.268:                              ;   in Loop: Header=BB2_124 Depth=2
	s_or_b64 exec, exec, s[22:23]
	v_lshrrev_b32_e32 v54, 16, v23
	v_cmp_ne_u16_sdwa vcc, v54, v57 src0_sel:BYTE_0 src1_sel:DWORD
	v_mov_b32_e32 v2, 0
	v_mov_b32_e32 v4, 0
	s_and_saveexec_b64 s[22:23], vcc
	s_cbranch_execz .LBB2_274
; %bb.269:                              ;   in Loop: Header=BB2_124 Depth=2
	v_cmp_ne_u16_sdwa vcc, v54, s74 src0_sel:BYTE_0 src1_sel:DWORD
	v_bfrev_b32_e32 v4, 1
	s_and_saveexec_b64 s[56:57], vcc
	s_cbranch_execz .LBB2_273
; %bb.270:                              ;   in Loop: Header=BB2_124 Depth=2
	v_bfe_u32 v5, v23, 16, 7
	v_cmp_ne_u32_e32 vcc, s75, v5
	v_mov_b32_e32 v4, 0x7f800001
	s_and_saveexec_b64 s[58:59], vcc
	s_cbranch_execz .LBB2_272
; %bb.271:                              ;   in Loop: Header=BB2_124 Depth=2
	v_and_b32_e32 v4, 7, v54
	v_ffbh_u32_e32 v6, v4
	v_min_u32_e32 v9, 32, v6
	v_subrev_u32_e32 v6, 28, v9
	v_lshlrev_b64 v[6:7], v6, v[54:55]
	v_lshrrev_b32_e32 v8, 3, v5
	v_sub_u32_e32 v7, 29, v9
	v_and_b32_e32 v6, 7, v6
	v_cmp_gt_u32_e32 vcc, 8, v5
	v_cndmask_b32_e32 v5, v8, v7, vcc
	v_cndmask_b32_e32 v4, v4, v6, vcc
	v_lshlrev_b32_e32 v6, 24, v54
	v_lshlrev_b32_e32 v4, 20, v4
	v_and_b32_e32 v6, 0x80000000, v6
	v_lshl_add_u32 v5, v5, 23, v51
	v_or3_b32 v4, v6, v5, v4
.LBB2_272:                              ;   in Loop: Header=BB2_124 Depth=2
	s_or_b64 exec, exec, s[58:59]
.LBB2_273:                              ;   in Loop: Header=BB2_124 Depth=2
	s_or_b64 exec, exec, s[56:57]
.LBB2_274:                              ;   in Loop: Header=BB2_124 Depth=2
	s_or_b64 exec, exec, s[22:23]
	v_lshrrev_b32_e32 v54, 16, v19
	v_cmp_ne_u16_sdwa vcc, v54, v57 src0_sel:BYTE_0 src1_sel:DWORD
	s_and_saveexec_b64 s[22:23], vcc
	s_cbranch_execz .LBB2_280
; %bb.275:                              ;   in Loop: Header=BB2_124 Depth=2
	v_cmp_ne_u16_sdwa vcc, v54, s74 src0_sel:BYTE_0 src1_sel:DWORD
	v_bfrev_b32_e32 v2, 1
	s_and_saveexec_b64 s[56:57], vcc
	s_cbranch_execz .LBB2_279
; %bb.276:                              ;   in Loop: Header=BB2_124 Depth=2
	v_bfe_u32 v5, v19, 16, 7
	v_cmp_ne_u32_e32 vcc, s75, v5
	v_mov_b32_e32 v2, 0x7f800001
	s_and_saveexec_b64 s[58:59], vcc
	s_cbranch_execz .LBB2_278
; %bb.277:                              ;   in Loop: Header=BB2_124 Depth=2
	v_and_b32_e32 v2, 7, v54
	v_ffbh_u32_e32 v6, v2
	v_min_u32_e32 v9, 32, v6
	v_subrev_u32_e32 v6, 28, v9
	v_lshlrev_b64 v[6:7], v6, v[54:55]
	v_lshrrev_b32_e32 v8, 3, v5
	v_sub_u32_e32 v7, 29, v9
	v_and_b32_e32 v6, 7, v6
	v_cmp_gt_u32_e32 vcc, 8, v5
	v_cndmask_b32_e32 v5, v8, v7, vcc
	v_cndmask_b32_e32 v2, v2, v6, vcc
	v_lshlrev_b32_e32 v6, 8, v19
	v_lshlrev_b32_e32 v2, 20, v2
	v_and_b32_e32 v6, 0x80000000, v6
	v_lshl_add_u32 v5, v5, 23, v51
	v_or3_b32 v2, v6, v5, v2
.LBB2_278:                              ;   in Loop: Header=BB2_124 Depth=2
	s_or_b64 exec, exec, s[58:59]
.LBB2_279:                              ;   in Loop: Header=BB2_124 Depth=2
	s_or_b64 exec, exec, s[56:57]
.LBB2_280:                              ;   in Loop: Header=BB2_124 Depth=2
	s_or_b64 exec, exec, s[22:23]
	v_add_f32_e32 v4, v4, v2
	v_and_b32_sdwa v2, v4, s74 dst_sel:DWORD dst_unused:UNUSED_PAD src0_sel:BYTE_3 src1_sel:DWORD
	v_and_b32_e32 v6, 0x7f800000, v4
	v_mov_b32_e32 v7, v57
	v_and_b32_e32 v56, 0x7fffff, v4
	v_or_b32_e32 v54, 0x7e, v2
	v_cmp_ne_u64_e32 vcc, s[42:43], v[6:7]
	s_and_saveexec_b64 s[22:23], vcc
	s_xor_b64 s[56:57], exec, s[22:23]
	s_cbranch_execz .LBB2_290
; %bb.281:                              ;   in Loop: Header=BB2_124 Depth=2
	v_and_b32_e32 v6, 0x7fffffff, v4
	v_mov_b32_e32 v7, v57
	v_cmp_gt_u64_e32 vcc, s[44:45], v[6:7]
	s_and_saveexec_b64 s[58:59], vcc
	s_cbranch_execz .LBB2_289
; %bb.282:                              ;   in Loop: Header=BB2_124 Depth=2
	v_cmp_ne_u32_e32 vcc, 0, v4
	v_mov_b32_e32 v54, 0
	s_and_saveexec_b64 s[60:61], vcc
	s_cbranch_execz .LBB2_288
; %bb.283:                              ;   in Loop: Header=BB2_124 Depth=2
	v_bfe_u32 v4, v4, 23, 8
	v_sub_u32_e32 v6, 0x79, v4
	v_cmp_gt_u32_e32 vcc, s76, v4
	v_add_u32_e32 v5, 0xffffff81, v4
	v_cndmask_b32_e32 v6, 0, v6, vcc
	v_cmp_eq_u32_e32 vcc, 0, v4
	v_mov_b32_e32 v4, 0xffffff82
	v_cndmask_b32_e32 v26, v5, v4, vcc
	v_mov_b32_e32 v4, 0x78
	v_cndmask_b32_e32 v27, v6, v4, vcc
	v_add_u32_e32 v4, 20, v27
	v_or_b32_e32 v7, 0x800000, v56
	v_lshlrev_b64 v[4:5], v4, -1
	v_cndmask_b32_e32 v56, v7, v56, vcc
	v_not_b32_e32 v4, v4
	v_and_b32_e32 v6, v56, v4
	v_add_u32_e32 v4, 19, v27
	v_lshrrev_b64 v[28:29], v27, v[56:57]
	v_not_b32_e32 v5, v5
	v_lshlrev_b64 v[8:9], v4, 1
	v_lshrrev_b32_e32 v4, 23, v28
	v_and_b32_e32 v7, 0, v5
	v_add3_u32 v26, v27, v26, v4
	v_bfe_u32 v4, v28, 20, 1
	v_add_u32_e32 v4, -1, v4
	v_cmp_eq_u64_e32 vcc, v[6:7], v[8:9]
	v_cndmask_b32_e32 v4, 0, v4, vcc
	v_add_u32_e32 v4, v4, v28
	v_and_b32_e32 v4, 0xfffff, v4
	v_add_co_u32_e32 v54, vcc, v4, v28
	v_add_u32_e32 v5, 6, v26
	v_addc_co_u32_e32 v55, vcc, 0, v29, vcc
	v_cmp_ne_u32_e32 vcc, 0, v5
                                        ; implicit-def: $vgpr4
	s_and_saveexec_b64 s[22:23], vcc
	s_xor_b64 s[22:23], exec, s[22:23]
; %bb.284:                              ;   in Loop: Header=BB2_124 Depth=2
	v_add_u32_e32 v4, 7, v26
	v_cmp_lt_u64_e32 vcc, s[48:49], v[54:55]
	v_cndmask_b32_e32 v4, v5, v4, vcc
	v_cndmask_b32_e64 v5, 0, 1, vcc
	v_lshrrev_b64 v[54:55], v5, v[54:55]
; %bb.285:                              ;   in Loop: Header=BB2_124 Depth=2
	s_andn2_saveexec_b64 s[22:23], s[22:23]
; %bb.286:                              ;   in Loop: Header=BB2_124 Depth=2
	v_bfe_u32 v4, v54, 23, 1
; %bb.287:                              ;   in Loop: Header=BB2_124 Depth=2
	s_or_b64 exec, exec, s[22:23]
	v_lshrrev_b64 v[6:7], 20, v[54:55]
	v_cmp_gt_i32_e32 vcc, 16, v4
	v_cndmask_b32_e32 v7, 0, v7, vcc
	v_cndmask_b32_e32 v6, 7, v6, vcc
	v_cmp_eq_u32_e32 vcc, 0, v4
	v_min_i32_e32 v4, 15, v4
	v_lshlrev_b32_e32 v4, 3, v4
	v_cmp_eq_u64_e64 s[22:23], 0, v[6:7]
	v_and_b32_e32 v4, 0xf8, v4
	v_and_or_b32 v4, v6, 7, v4
	s_and_b64 s[22:23], vcc, s[22:23]
	v_cndmask_b32_e64 v4, v4, 0, s[22:23]
	v_or_b32_e32 v54, v4, v2
.LBB2_288:                              ;   in Loop: Header=BB2_124 Depth=2
	s_or_b64 exec, exec, s[60:61]
.LBB2_289:                              ;   in Loop: Header=BB2_124 Depth=2
	s_or_b64 exec, exec, s[58:59]
                                        ; implicit-def: $vgpr4
.LBB2_290:                              ;   in Loop: Header=BB2_124 Depth=2
	s_andn2_saveexec_b64 s[22:23], s[56:57]
; %bb.291:                              ;   in Loop: Header=BB2_124 Depth=2
	v_or_b32_sdwa v2, v4, s75 dst_sel:DWORD dst_unused:UNUSED_PAD src0_sel:BYTE_3 src1_sel:DWORD
	v_cmp_eq_u64_e32 vcc, 0, v[56:57]
	v_cndmask_b32_e32 v54, v2, v54, vcc
; %bb.292:                              ;   in Loop: Header=BB2_124 Depth=2
	s_or_b64 exec, exec, s[22:23]
	v_cmp_lt_u64_e32 vcc, s[46:47], v[22:23]
	v_mov_b32_e32 v2, 0
	v_mov_b32_e32 v4, 0
	s_and_saveexec_b64 s[22:23], vcc
	s_cbranch_execz .LBB2_298
; %bb.293:                              ;   in Loop: Header=BB2_124 Depth=2
	v_lshrrev_b32_e32 v22, 24, v23
	v_cmp_ne_u32_e32 vcc, s74, v22
	v_bfrev_b32_e32 v4, 1
	s_and_saveexec_b64 s[56:57], vcc
	s_cbranch_execz .LBB2_297
; %bb.294:                              ;   in Loop: Header=BB2_124 Depth=2
	v_bfe_u32 v5, v23, 24, 7
	v_cmp_ne_u32_e32 vcc, s75, v5
	v_mov_b32_e32 v4, 0x7f800001
	s_and_saveexec_b64 s[58:59], vcc
	s_cbranch_execz .LBB2_296
; %bb.295:                              ;   in Loop: Header=BB2_124 Depth=2
	v_and_b32_e32 v4, 7, v22
	v_ffbh_u32_e32 v6, v4
	v_min_u32_e32 v9, 32, v6
	v_subrev_u32_e32 v6, 28, v9
	v_lshlrev_b64 v[6:7], v6, v[22:23]
	v_lshrrev_b32_e32 v8, 3, v5
	v_sub_u32_e32 v7, 29, v9
	v_and_b32_e32 v6, 7, v6
	v_cmp_gt_u32_e32 vcc, 8, v5
	v_cndmask_b32_e32 v5, v8, v7, vcc
	v_cndmask_b32_e32 v4, v4, v6, vcc
	v_lshlrev_b32_e32 v6, 24, v22
	v_lshlrev_b32_e32 v4, 20, v4
	v_and_b32_e32 v6, 0x80000000, v6
	v_lshl_add_u32 v5, v5, 23, v51
	v_or3_b32 v4, v6, v5, v4
.LBB2_296:                              ;   in Loop: Header=BB2_124 Depth=2
	s_or_b64 exec, exec, s[58:59]
.LBB2_297:                              ;   in Loop: Header=BB2_124 Depth=2
	s_or_b64 exec, exec, s[56:57]
.LBB2_298:                              ;   in Loop: Header=BB2_124 Depth=2
	s_or_b64 exec, exec, s[22:23]
	v_cmp_lt_u64_e32 vcc, s[46:47], v[18:19]
	s_and_saveexec_b64 s[22:23], vcc
	s_cbranch_execz .LBB2_304
; %bb.299:                              ;   in Loop: Header=BB2_124 Depth=2
	v_lshrrev_b32_e32 v18, 24, v19
	v_cmp_ne_u32_e32 vcc, s74, v18
	v_bfrev_b32_e32 v2, 1
	s_and_saveexec_b64 s[56:57], vcc
	s_cbranch_execz .LBB2_303
; %bb.300:                              ;   in Loop: Header=BB2_124 Depth=2
	v_bfe_u32 v5, v19, 24, 7
	v_cmp_ne_u32_e32 vcc, s75, v5
	v_mov_b32_e32 v2, 0x7f800001
	s_and_saveexec_b64 s[58:59], vcc
	s_cbranch_execz .LBB2_302
; %bb.301:                              ;   in Loop: Header=BB2_124 Depth=2
	v_and_b32_e32 v2, 7, v18
	v_ffbh_u32_e32 v6, v2
	v_min_u32_e32 v9, 32, v6
	v_subrev_u32_e32 v6, 28, v9
	v_lshlrev_b64 v[6:7], v6, v[18:19]
	v_lshrrev_b32_e32 v8, 3, v5
	v_sub_u32_e32 v7, 29, v9
	v_and_b32_e32 v6, 7, v6
	v_cmp_gt_u32_e32 vcc, 8, v5
	v_cndmask_b32_e32 v5, v8, v7, vcc
	v_cndmask_b32_e32 v2, v2, v6, vcc
	v_lshlrev_b32_e32 v6, 24, v18
	v_lshlrev_b32_e32 v2, 20, v2
	v_and_b32_e32 v6, 0x80000000, v6
	v_lshl_add_u32 v5, v5, 23, v51
	v_or3_b32 v2, v6, v5, v2
.LBB2_302:                              ;   in Loop: Header=BB2_124 Depth=2
	s_or_b64 exec, exec, s[58:59]
.LBB2_303:                              ;   in Loop: Header=BB2_124 Depth=2
	s_or_b64 exec, exec, s[56:57]
.LBB2_304:                              ;   in Loop: Header=BB2_124 Depth=2
	s_or_b64 exec, exec, s[22:23]
	v_add_f32_e32 v4, v4, v2
	v_and_b32_sdwa v2, v4, s74 dst_sel:DWORD dst_unused:UNUSED_PAD src0_sel:BYTE_3 src1_sel:DWORD
	v_and_b32_e32 v6, 0x7f800000, v4
	v_mov_b32_e32 v7, v57
	v_and_b32_e32 v56, 0x7fffff, v4
	v_or_b32_e32 v23, 0x7e, v2
	v_cmp_ne_u64_e32 vcc, s[42:43], v[6:7]
	s_and_saveexec_b64 s[22:23], vcc
	s_xor_b64 s[56:57], exec, s[22:23]
	s_cbranch_execz .LBB2_314
; %bb.305:                              ;   in Loop: Header=BB2_124 Depth=2
	v_and_b32_e32 v6, 0x7fffffff, v4
	v_mov_b32_e32 v7, v57
	v_cmp_gt_u64_e32 vcc, s[44:45], v[6:7]
	s_and_saveexec_b64 s[58:59], vcc
	s_cbranch_execz .LBB2_313
; %bb.306:                              ;   in Loop: Header=BB2_124 Depth=2
	v_cmp_ne_u32_e32 vcc, 0, v4
	v_mov_b32_e32 v23, 0
	s_and_saveexec_b64 s[60:61], vcc
	s_cbranch_execz .LBB2_312
; %bb.307:                              ;   in Loop: Header=BB2_124 Depth=2
	v_bfe_u32 v4, v4, 23, 8
	v_sub_u32_e32 v6, 0x79, v4
	v_cmp_gt_u32_e32 vcc, s76, v4
	v_add_u32_e32 v5, 0xffffff81, v4
	v_cndmask_b32_e32 v6, 0, v6, vcc
	v_cmp_eq_u32_e32 vcc, 0, v4
	v_mov_b32_e32 v4, 0xffffff82
	v_cndmask_b32_e32 v22, v5, v4, vcc
	v_mov_b32_e32 v4, 0x78
	v_cndmask_b32_e32 v23, v6, v4, vcc
	v_add_u32_e32 v4, 20, v23
	v_or_b32_e32 v7, 0x800000, v56
	v_lshlrev_b64 v[4:5], v4, -1
	v_cndmask_b32_e32 v56, v7, v56, vcc
	v_not_b32_e32 v4, v4
	v_and_b32_e32 v6, v56, v4
	v_add_u32_e32 v4, 19, v23
	v_lshrrev_b64 v[18:19], v23, v[56:57]
	v_not_b32_e32 v5, v5
	v_lshlrev_b64 v[8:9], v4, 1
	v_lshrrev_b32_e32 v4, 23, v18
	v_and_b32_e32 v7, 0, v5
	v_add3_u32 v22, v23, v22, v4
	v_bfe_u32 v4, v18, 20, 1
	v_add_u32_e32 v4, -1, v4
	v_cmp_eq_u64_e32 vcc, v[6:7], v[8:9]
	v_cndmask_b32_e32 v4, 0, v4, vcc
	v_add_u32_e32 v4, v4, v18
	v_and_b32_e32 v4, 0xfffff, v4
	v_add_co_u32_e32 v18, vcc, v4, v18
	v_add_u32_e32 v5, 6, v22
	v_addc_co_u32_e32 v19, vcc, 0, v19, vcc
	v_cmp_ne_u32_e32 vcc, 0, v5
                                        ; implicit-def: $vgpr4
	s_and_saveexec_b64 s[22:23], vcc
	s_xor_b64 s[22:23], exec, s[22:23]
; %bb.308:                              ;   in Loop: Header=BB2_124 Depth=2
	v_add_u32_e32 v4, 7, v22
	v_cmp_lt_u64_e32 vcc, s[48:49], v[18:19]
	v_cndmask_b32_e32 v4, v5, v4, vcc
	v_cndmask_b32_e64 v5, 0, 1, vcc
	v_lshrrev_b64 v[18:19], v5, v[18:19]
; %bb.309:                              ;   in Loop: Header=BB2_124 Depth=2
	s_andn2_saveexec_b64 s[22:23], s[22:23]
; %bb.310:                              ;   in Loop: Header=BB2_124 Depth=2
	v_bfe_u32 v4, v18, 23, 1
; %bb.311:                              ;   in Loop: Header=BB2_124 Depth=2
	s_or_b64 exec, exec, s[22:23]
	v_lshrrev_b64 v[6:7], 20, v[18:19]
	v_cmp_gt_i32_e32 vcc, 16, v4
	v_cndmask_b32_e32 v7, 0, v7, vcc
	v_cndmask_b32_e32 v6, 7, v6, vcc
	v_cmp_eq_u32_e32 vcc, 0, v4
	v_min_i32_e32 v4, 15, v4
	v_lshlrev_b32_e32 v4, 3, v4
	v_cmp_eq_u64_e64 s[22:23], 0, v[6:7]
	v_and_b32_e32 v4, 0xf8, v4
	v_and_or_b32 v4, v6, 7, v4
	s_and_b64 s[22:23], vcc, s[22:23]
	v_cndmask_b32_e64 v4, v4, 0, s[22:23]
	v_or_b32_e32 v23, v4, v2
.LBB2_312:                              ;   in Loop: Header=BB2_124 Depth=2
	s_or_b64 exec, exec, s[60:61]
.LBB2_313:                              ;   in Loop: Header=BB2_124 Depth=2
	s_or_b64 exec, exec, s[58:59]
                                        ; implicit-def: $vgpr4
.LBB2_314:                              ;   in Loop: Header=BB2_124 Depth=2
	s_andn2_saveexec_b64 s[22:23], s[56:57]
; %bb.315:                              ;   in Loop: Header=BB2_124 Depth=2
	v_or_b32_sdwa v2, v4, s75 dst_sel:DWORD dst_unused:UNUSED_PAD src0_sel:BYTE_3 src1_sel:DWORD
	v_cmp_eq_u64_e32 vcc, 0, v[56:57]
	v_cndmask_b32_e32 v23, v2, v23, vcc
; %bb.316:                              ;   in Loop: Header=BB2_124 Depth=2
	s_or_b64 exec, exec, s[22:23]
	v_cmp_ne_u16_sdwa vcc, v24, v57 src0_sel:BYTE_0 src1_sel:DWORD
	v_mov_b32_e32 v2, 0
	v_mov_b32_e32 v4, 0
	s_and_saveexec_b64 s[22:23], vcc
	s_cbranch_execz .LBB2_322
; %bb.317:                              ;   in Loop: Header=BB2_124 Depth=2
	v_cmp_ne_u16_sdwa vcc, v24, s74 src0_sel:BYTE_0 src1_sel:DWORD
	v_bfrev_b32_e32 v4, 1
	s_and_saveexec_b64 s[56:57], vcc
	s_cbranch_execz .LBB2_321
; %bb.318:                              ;   in Loop: Header=BB2_124 Depth=2
	v_and_b32_e32 v5, 0x7f, v24
	v_cmp_ne_u32_e32 vcc, s75, v5
	v_mov_b32_e32 v4, 0x7f800001
	s_and_saveexec_b64 s[58:59], vcc
	s_cbranch_execz .LBB2_320
; %bb.319:                              ;   in Loop: Header=BB2_124 Depth=2
	v_and_b32_e32 v4, 7, v24
	v_ffbh_u32_e32 v4, v4
	v_min_u32_e32 v4, 32, v4
	v_lshrrev_b32_e32 v6, 3, v5
	v_subrev_u32_e32 v7, 28, v4
	v_sub_u32_e32 v4, 29, v4
	v_cmp_gt_u32_e32 vcc, 8, v5
	v_cndmask_b32_e32 v6, v6, v4, vcc
	v_cndmask_b32_e32 v4, 0, v7, vcc
	v_lshlrev_b64 v[4:5], v4, v[24:25]
	v_lshlrev_b32_e32 v4, 20, v4
	v_lshlrev_b32_e32 v5, 24, v24
	v_and_b32_e32 v4, 0x700000, v4
	v_and_b32_e32 v5, 0x80000000, v5
	v_lshl_add_u32 v6, v6, 23, v51
	v_or3_b32 v4, v5, v6, v4
.LBB2_320:                              ;   in Loop: Header=BB2_124 Depth=2
	s_or_b64 exec, exec, s[58:59]
.LBB2_321:                              ;   in Loop: Header=BB2_124 Depth=2
	s_or_b64 exec, exec, s[56:57]
.LBB2_322:                              ;   in Loop: Header=BB2_124 Depth=2
	s_or_b64 exec, exec, s[22:23]
	v_cmp_ne_u16_sdwa vcc, v20, v57 src0_sel:BYTE_0 src1_sel:DWORD
	s_and_saveexec_b64 s[22:23], vcc
	s_cbranch_execz .LBB2_328
; %bb.323:                              ;   in Loop: Header=BB2_124 Depth=2
	v_cmp_ne_u16_sdwa vcc, v20, s74 src0_sel:BYTE_0 src1_sel:DWORD
	v_bfrev_b32_e32 v2, 1
	s_and_saveexec_b64 s[56:57], vcc
	s_cbranch_execz .LBB2_327
; %bb.324:                              ;   in Loop: Header=BB2_124 Depth=2
	v_and_b32_e32 v5, 0x7f, v20
	v_cmp_ne_u32_e32 vcc, s75, v5
	v_mov_b32_e32 v2, 0x7f800001
	s_and_saveexec_b64 s[58:59], vcc
	s_cbranch_execz .LBB2_326
; %bb.325:                              ;   in Loop: Header=BB2_124 Depth=2
	v_and_b32_e32 v2, 7, v20
	v_ffbh_u32_e32 v2, v2
	v_min_u32_e32 v2, 32, v2
	v_subrev_u32_e32 v7, 28, v2
	v_cmp_gt_u32_e32 vcc, 8, v5
	v_lshrrev_b32_e32 v6, 3, v5
	v_sub_u32_e32 v2, 29, v2
	v_cndmask_b32_e32 v5, 0, v7, vcc
	v_cndmask_b32_e32 v2, v6, v2, vcc
	v_lshlrev_b64 v[6:7], v5, v[20:21]
	v_lshlrev_b32_e32 v5, 20, v6
	v_lshlrev_b32_e32 v6, 24, v20
	v_and_b32_e32 v5, 0x700000, v5
	v_and_b32_e32 v6, 0x80000000, v6
	v_lshl_add_u32 v2, v2, 23, v51
	v_or3_b32 v2, v6, v2, v5
.LBB2_326:                              ;   in Loop: Header=BB2_124 Depth=2
	s_or_b64 exec, exec, s[58:59]
.LBB2_327:                              ;   in Loop: Header=BB2_124 Depth=2
	s_or_b64 exec, exec, s[56:57]
.LBB2_328:                              ;   in Loop: Header=BB2_124 Depth=2
	s_or_b64 exec, exec, s[22:23]
	v_add_f32_e32 v4, v4, v2
	v_and_b32_sdwa v2, v4, s74 dst_sel:DWORD dst_unused:UNUSED_PAD src0_sel:BYTE_3 src1_sel:DWORD
	v_and_b32_e32 v6, 0x7f800000, v4
	v_mov_b32_e32 v7, v57
	v_and_b32_e32 v56, 0x7fffff, v4
	v_or_b32_e32 v55, 0x7e, v2
	v_cmp_ne_u64_e32 vcc, s[42:43], v[6:7]
	s_and_saveexec_b64 s[22:23], vcc
	s_xor_b64 s[56:57], exec, s[22:23]
	s_cbranch_execz .LBB2_338
; %bb.329:                              ;   in Loop: Header=BB2_124 Depth=2
	v_and_b32_e32 v6, 0x7fffffff, v4
	v_mov_b32_e32 v7, v57
	v_cmp_gt_u64_e32 vcc, s[44:45], v[6:7]
	s_and_saveexec_b64 s[58:59], vcc
	s_cbranch_execz .LBB2_337
; %bb.330:                              ;   in Loop: Header=BB2_124 Depth=2
	v_cmp_ne_u32_e32 vcc, 0, v4
	v_mov_b32_e32 v55, 0
	s_and_saveexec_b64 s[60:61], vcc
	s_cbranch_execz .LBB2_336
; %bb.331:                              ;   in Loop: Header=BB2_124 Depth=2
	v_bfe_u32 v4, v4, 23, 8
	v_sub_u32_e32 v6, 0x79, v4
	v_cmp_gt_u32_e32 vcc, s76, v4
	v_add_u32_e32 v5, 0xffffff81, v4
	v_cndmask_b32_e32 v6, 0, v6, vcc
	v_cmp_eq_u32_e32 vcc, 0, v4
	v_mov_b32_e32 v4, 0xffffff82
	v_cndmask_b32_e32 v22, v5, v4, vcc
	v_mov_b32_e32 v4, 0x78
	v_cndmask_b32_e32 v26, v6, v4, vcc
	v_add_u32_e32 v4, 20, v26
	v_or_b32_e32 v7, 0x800000, v56
	v_lshlrev_b64 v[4:5], v4, -1
	v_cndmask_b32_e32 v56, v7, v56, vcc
	v_not_b32_e32 v4, v4
	v_and_b32_e32 v6, v56, v4
	v_add_u32_e32 v4, 19, v26
	v_lshrrev_b64 v[18:19], v26, v[56:57]
	v_not_b32_e32 v5, v5
	v_lshlrev_b64 v[8:9], v4, 1
	v_lshrrev_b32_e32 v4, 23, v18
	v_and_b32_e32 v7, 0, v5
	v_add3_u32 v22, v26, v22, v4
	v_bfe_u32 v4, v18, 20, 1
	v_add_u32_e32 v4, -1, v4
	v_cmp_eq_u64_e32 vcc, v[6:7], v[8:9]
	v_cndmask_b32_e32 v4, 0, v4, vcc
	v_add_u32_e32 v4, v4, v18
	v_and_b32_e32 v4, 0xfffff, v4
	v_add_co_u32_e32 v18, vcc, v4, v18
	v_add_u32_e32 v5, 6, v22
	v_addc_co_u32_e32 v19, vcc, 0, v19, vcc
	v_cmp_ne_u32_e32 vcc, 0, v5
                                        ; implicit-def: $vgpr4
	s_and_saveexec_b64 s[22:23], vcc
	s_xor_b64 s[22:23], exec, s[22:23]
; %bb.332:                              ;   in Loop: Header=BB2_124 Depth=2
	v_add_u32_e32 v4, 7, v22
	v_cmp_lt_u64_e32 vcc, s[48:49], v[18:19]
	v_cndmask_b32_e32 v4, v5, v4, vcc
	v_cndmask_b32_e64 v5, 0, 1, vcc
	v_lshrrev_b64 v[18:19], v5, v[18:19]
; %bb.333:                              ;   in Loop: Header=BB2_124 Depth=2
	s_andn2_saveexec_b64 s[22:23], s[22:23]
; %bb.334:                              ;   in Loop: Header=BB2_124 Depth=2
	v_bfe_u32 v4, v18, 23, 1
; %bb.335:                              ;   in Loop: Header=BB2_124 Depth=2
	s_or_b64 exec, exec, s[22:23]
	v_lshrrev_b64 v[6:7], 20, v[18:19]
	v_cmp_gt_i32_e32 vcc, 16, v4
	v_cndmask_b32_e32 v7, 0, v7, vcc
	v_cndmask_b32_e32 v6, 7, v6, vcc
	v_cmp_eq_u32_e32 vcc, 0, v4
	v_min_i32_e32 v4, 15, v4
	v_cmp_eq_u64_e64 s[22:23], 0, v[6:7]
	v_lshlrev_b32_e32 v4, 3, v4
	v_and_or_b32 v4, v6, 7, v4
	s_and_b64 s[22:23], vcc, s[22:23]
	v_cndmask_b32_e64 v4, v4, 0, s[22:23]
	v_or_b32_e32 v55, v4, v2
.LBB2_336:                              ;   in Loop: Header=BB2_124 Depth=2
	s_or_b64 exec, exec, s[60:61]
.LBB2_337:                              ;   in Loop: Header=BB2_124 Depth=2
	s_or_b64 exec, exec, s[58:59]
                                        ; implicit-def: $vgpr4
.LBB2_338:                              ;   in Loop: Header=BB2_124 Depth=2
	s_andn2_saveexec_b64 s[22:23], s[56:57]
; %bb.339:                              ;   in Loop: Header=BB2_124 Depth=2
	v_or_b32_sdwa v2, v4, s75 dst_sel:DWORD dst_unused:UNUSED_PAD src0_sel:BYTE_3 src1_sel:DWORD
	v_cmp_eq_u64_e32 vcc, 0, v[56:57]
	v_cndmask_b32_e32 v55, v2, v55, vcc
; %bb.340:                              ;   in Loop: Header=BB2_124 Depth=2
	s_or_b64 exec, exec, s[22:23]
	v_lshrrev_b16_e32 v18, 8, v24
	v_cmp_ne_u16_e32 vcc, 0, v18
	v_mov_b32_e32 v2, 0
	v_mov_b32_e32 v4, 0
	s_and_saveexec_b64 s[22:23], vcc
	s_cbranch_execz .LBB2_346
; %bb.341:                              ;   in Loop: Header=BB2_124 Depth=2
	v_cmp_ne_u16_e32 vcc, s74, v18
	v_bfrev_b32_e32 v4, 1
	s_and_saveexec_b64 s[56:57], vcc
	s_cbranch_execz .LBB2_345
; %bb.342:                              ;   in Loop: Header=BB2_124 Depth=2
	v_and_b32_e32 v5, 0x7f, v18
	v_cmp_ne_u32_e32 vcc, s75, v5
	v_mov_b32_e32 v4, 0x7f800001
	s_and_saveexec_b64 s[58:59], vcc
	s_cbranch_execz .LBB2_344
; %bb.343:                              ;   in Loop: Header=BB2_124 Depth=2
	v_and_b32_e32 v4, 7, v18
	v_ffbh_u32_e32 v6, v4
	v_min_u32_e32 v9, 32, v6
	v_subrev_u32_e32 v6, 28, v9
	v_lshlrev_b64 v[6:7], v6, v[18:19]
	v_lshrrev_b32_e32 v8, 3, v5
	v_sub_u32_e32 v7, 29, v9
	v_and_b32_e32 v6, 7, v6
	v_cmp_gt_u32_e32 vcc, 8, v5
	v_cndmask_b32_e32 v5, v8, v7, vcc
	v_cndmask_b32_e32 v4, v4, v6, vcc
	v_lshlrev_b32_e32 v6, 16, v24
	v_lshlrev_b32_e32 v4, 20, v4
	v_and_b32_e32 v6, 0x80000000, v6
	v_lshl_add_u32 v5, v5, 23, v51
	v_or3_b32 v4, v6, v5, v4
.LBB2_344:                              ;   in Loop: Header=BB2_124 Depth=2
	s_or_b64 exec, exec, s[58:59]
.LBB2_345:                              ;   in Loop: Header=BB2_124 Depth=2
	s_or_b64 exec, exec, s[56:57]
.LBB2_346:                              ;   in Loop: Header=BB2_124 Depth=2
	s_or_b64 exec, exec, s[22:23]
	v_lshrrev_b16_e32 v18, 8, v20
	v_cmp_ne_u16_e32 vcc, 0, v18
	s_and_saveexec_b64 s[22:23], vcc
	s_cbranch_execz .LBB2_352
; %bb.347:                              ;   in Loop: Header=BB2_124 Depth=2
	v_cmp_ne_u16_e32 vcc, s74, v18
	v_bfrev_b32_e32 v2, 1
	s_and_saveexec_b64 s[56:57], vcc
	s_cbranch_execz .LBB2_351
; %bb.348:                              ;   in Loop: Header=BB2_124 Depth=2
	v_and_b32_e32 v5, 0x7f, v18
	v_cmp_ne_u32_e32 vcc, s75, v5
	v_mov_b32_e32 v2, 0x7f800001
	s_and_saveexec_b64 s[58:59], vcc
	s_cbranch_execz .LBB2_350
; %bb.349:                              ;   in Loop: Header=BB2_124 Depth=2
	v_and_b32_e32 v2, 7, v18
	v_ffbh_u32_e32 v6, v2
	v_min_u32_e32 v9, 32, v6
	v_subrev_u32_e32 v6, 28, v9
	v_lshlrev_b64 v[6:7], v6, v[18:19]
	v_lshrrev_b32_e32 v8, 3, v5
	v_sub_u32_e32 v7, 29, v9
	v_and_b32_e32 v6, 7, v6
	v_cmp_gt_u32_e32 vcc, 8, v5
	v_cndmask_b32_e32 v5, v8, v7, vcc
	v_cndmask_b32_e32 v2, v2, v6, vcc
	v_lshlrev_b32_e32 v6, 16, v20
	v_lshlrev_b32_e32 v2, 20, v2
	v_and_b32_e32 v6, 0x80000000, v6
	v_lshl_add_u32 v5, v5, 23, v51
	v_or3_b32 v2, v6, v5, v2
.LBB2_350:                              ;   in Loop: Header=BB2_124 Depth=2
	s_or_b64 exec, exec, s[58:59]
.LBB2_351:                              ;   in Loop: Header=BB2_124 Depth=2
	s_or_b64 exec, exec, s[56:57]
.LBB2_352:                              ;   in Loop: Header=BB2_124 Depth=2
	s_or_b64 exec, exec, s[22:23]
	v_add_f32_e32 v4, v4, v2
	v_and_b32_sdwa v2, v4, s74 dst_sel:DWORD dst_unused:UNUSED_PAD src0_sel:BYTE_3 src1_sel:DWORD
	v_and_b32_e32 v6, 0x7f800000, v4
	v_mov_b32_e32 v7, v57
	v_and_b32_e32 v56, 0x7fffff, v4
	v_or_b32_e32 v42, 0x7e, v2
	v_cmp_ne_u64_e32 vcc, s[42:43], v[6:7]
	s_and_saveexec_b64 s[22:23], vcc
	s_xor_b64 s[56:57], exec, s[22:23]
	s_cbranch_execz .LBB2_362
; %bb.353:                              ;   in Loop: Header=BB2_124 Depth=2
	v_and_b32_e32 v6, 0x7fffffff, v4
	v_mov_b32_e32 v7, v57
	v_cmp_gt_u64_e32 vcc, s[44:45], v[6:7]
	s_and_saveexec_b64 s[58:59], vcc
	s_cbranch_execz .LBB2_361
; %bb.354:                              ;   in Loop: Header=BB2_124 Depth=2
	v_cmp_ne_u32_e32 vcc, 0, v4
	v_mov_b32_e32 v42, 0
	s_and_saveexec_b64 s[60:61], vcc
	s_cbranch_execz .LBB2_360
; %bb.355:                              ;   in Loop: Header=BB2_124 Depth=2
	v_bfe_u32 v4, v4, 23, 8
	v_sub_u32_e32 v6, 0x79, v4
	v_cmp_gt_u32_e32 vcc, s76, v4
	v_add_u32_e32 v5, 0xffffff81, v4
	v_cndmask_b32_e32 v6, 0, v6, vcc
	v_cmp_eq_u32_e32 vcc, 0, v4
	v_mov_b32_e32 v4, 0xffffff82
	v_cndmask_b32_e32 v22, v5, v4, vcc
	v_mov_b32_e32 v4, 0x78
	v_cndmask_b32_e32 v26, v6, v4, vcc
	v_add_u32_e32 v4, 20, v26
	v_or_b32_e32 v7, 0x800000, v56
	v_lshlrev_b64 v[4:5], v4, -1
	v_cndmask_b32_e32 v56, v7, v56, vcc
	v_not_b32_e32 v4, v4
	v_and_b32_e32 v6, v56, v4
	v_add_u32_e32 v4, 19, v26
	v_lshrrev_b64 v[18:19], v26, v[56:57]
	v_not_b32_e32 v5, v5
	v_lshlrev_b64 v[8:9], v4, 1
	v_lshrrev_b32_e32 v4, 23, v18
	v_and_b32_e32 v7, 0, v5
	v_add3_u32 v22, v26, v22, v4
	v_bfe_u32 v4, v18, 20, 1
	v_add_u32_e32 v4, -1, v4
	v_cmp_eq_u64_e32 vcc, v[6:7], v[8:9]
	v_cndmask_b32_e32 v4, 0, v4, vcc
	v_add_u32_e32 v4, v4, v18
	v_and_b32_e32 v4, 0xfffff, v4
	v_add_co_u32_e32 v18, vcc, v4, v18
	v_add_u32_e32 v5, 6, v22
	v_addc_co_u32_e32 v19, vcc, 0, v19, vcc
	v_cmp_ne_u32_e32 vcc, 0, v5
                                        ; implicit-def: $vgpr4
	s_and_saveexec_b64 s[22:23], vcc
	s_xor_b64 s[22:23], exec, s[22:23]
; %bb.356:                              ;   in Loop: Header=BB2_124 Depth=2
	v_add_u32_e32 v4, 7, v22
	v_cmp_lt_u64_e32 vcc, s[48:49], v[18:19]
	v_cndmask_b32_e32 v4, v5, v4, vcc
	v_cndmask_b32_e64 v5, 0, 1, vcc
	v_lshrrev_b64 v[18:19], v5, v[18:19]
; %bb.357:                              ;   in Loop: Header=BB2_124 Depth=2
	s_andn2_saveexec_b64 s[22:23], s[22:23]
; %bb.358:                              ;   in Loop: Header=BB2_124 Depth=2
	v_bfe_u32 v4, v18, 23, 1
; %bb.359:                              ;   in Loop: Header=BB2_124 Depth=2
	s_or_b64 exec, exec, s[22:23]
	v_lshrrev_b64 v[6:7], 20, v[18:19]
	v_cmp_gt_i32_e32 vcc, 16, v4
	v_cndmask_b32_e32 v7, 0, v7, vcc
	v_cndmask_b32_e32 v6, 7, v6, vcc
	v_cmp_eq_u32_e32 vcc, 0, v4
	v_min_i32_e32 v4, 15, v4
	v_cmp_eq_u64_e64 s[22:23], 0, v[6:7]
	v_lshlrev_b32_e32 v4, 3, v4
	v_and_or_b32 v4, v6, 7, v4
	s_and_b64 s[22:23], vcc, s[22:23]
	v_cndmask_b32_e64 v4, v4, 0, s[22:23]
	v_or_b32_e32 v42, v4, v2
.LBB2_360:                              ;   in Loop: Header=BB2_124 Depth=2
	s_or_b64 exec, exec, s[60:61]
.LBB2_361:                              ;   in Loop: Header=BB2_124 Depth=2
	s_or_b64 exec, exec, s[58:59]
                                        ; implicit-def: $vgpr4
.LBB2_362:                              ;   in Loop: Header=BB2_124 Depth=2
	s_andn2_saveexec_b64 s[22:23], s[56:57]
; %bb.363:                              ;   in Loop: Header=BB2_124 Depth=2
	v_or_b32_sdwa v2, v4, s75 dst_sel:DWORD dst_unused:UNUSED_PAD src0_sel:BYTE_3 src1_sel:DWORD
	v_cmp_eq_u64_e32 vcc, 0, v[56:57]
	v_cndmask_b32_e32 v42, v2, v42, vcc
; %bb.364:                              ;   in Loop: Header=BB2_124 Depth=2
	s_or_b64 exec, exec, s[22:23]
	v_lshrrev_b32_e32 v18, 16, v24
	v_cmp_ne_u16_sdwa vcc, v18, v57 src0_sel:BYTE_0 src1_sel:DWORD
	v_mov_b32_e32 v2, 0
	v_mov_b32_e32 v4, 0
	s_and_saveexec_b64 s[22:23], vcc
	s_cbranch_execz .LBB2_370
; %bb.365:                              ;   in Loop: Header=BB2_124 Depth=2
	v_cmp_ne_u16_sdwa vcc, v18, s74 src0_sel:BYTE_0 src1_sel:DWORD
	v_bfrev_b32_e32 v4, 1
	s_and_saveexec_b64 s[56:57], vcc
	s_cbranch_execz .LBB2_369
; %bb.366:                              ;   in Loop: Header=BB2_124 Depth=2
	v_bfe_u32 v5, v24, 16, 7
	v_cmp_ne_u32_e32 vcc, s75, v5
	v_mov_b32_e32 v4, 0x7f800001
	s_and_saveexec_b64 s[58:59], vcc
	s_cbranch_execz .LBB2_368
; %bb.367:                              ;   in Loop: Header=BB2_124 Depth=2
	v_and_b32_e32 v4, 7, v18
	v_ffbh_u32_e32 v6, v4
	v_min_u32_e32 v9, 32, v6
	v_subrev_u32_e32 v6, 28, v9
	v_lshlrev_b64 v[6:7], v6, v[18:19]
	v_lshrrev_b32_e32 v8, 3, v5
	v_sub_u32_e32 v7, 29, v9
	v_and_b32_e32 v6, 7, v6
	v_cmp_gt_u32_e32 vcc, 8, v5
	v_cndmask_b32_e32 v5, v8, v7, vcc
	v_cndmask_b32_e32 v4, v4, v6, vcc
	v_lshlrev_b32_e32 v6, 24, v18
	v_lshlrev_b32_e32 v4, 20, v4
	v_and_b32_e32 v6, 0x80000000, v6
	v_lshl_add_u32 v5, v5, 23, v51
	v_or3_b32 v4, v6, v5, v4
.LBB2_368:                              ;   in Loop: Header=BB2_124 Depth=2
	s_or_b64 exec, exec, s[58:59]
.LBB2_369:                              ;   in Loop: Header=BB2_124 Depth=2
	s_or_b64 exec, exec, s[56:57]
.LBB2_370:                              ;   in Loop: Header=BB2_124 Depth=2
	s_or_b64 exec, exec, s[22:23]
	v_lshrrev_b32_e32 v18, 16, v20
	v_cmp_ne_u16_sdwa vcc, v18, v57 src0_sel:BYTE_0 src1_sel:DWORD
	s_and_saveexec_b64 s[22:23], vcc
	s_cbranch_execz .LBB2_376
; %bb.371:                              ;   in Loop: Header=BB2_124 Depth=2
	v_cmp_ne_u16_sdwa vcc, v18, s74 src0_sel:BYTE_0 src1_sel:DWORD
	v_bfrev_b32_e32 v2, 1
	s_and_saveexec_b64 s[56:57], vcc
	s_cbranch_execz .LBB2_375
; %bb.372:                              ;   in Loop: Header=BB2_124 Depth=2
	v_bfe_u32 v5, v20, 16, 7
	v_cmp_ne_u32_e32 vcc, s75, v5
	v_mov_b32_e32 v2, 0x7f800001
	s_and_saveexec_b64 s[58:59], vcc
	s_cbranch_execz .LBB2_374
; %bb.373:                              ;   in Loop: Header=BB2_124 Depth=2
	v_and_b32_e32 v2, 7, v18
	v_ffbh_u32_e32 v6, v2
	v_min_u32_e32 v9, 32, v6
	v_subrev_u32_e32 v6, 28, v9
	v_lshlrev_b64 v[6:7], v6, v[18:19]
	v_lshrrev_b32_e32 v8, 3, v5
	v_sub_u32_e32 v7, 29, v9
	v_and_b32_e32 v6, 7, v6
	v_cmp_gt_u32_e32 vcc, 8, v5
	v_cndmask_b32_e32 v5, v8, v7, vcc
	v_cndmask_b32_e32 v2, v2, v6, vcc
	v_lshlrev_b32_e32 v6, 8, v20
	v_lshlrev_b32_e32 v2, 20, v2
	v_and_b32_e32 v6, 0x80000000, v6
	v_lshl_add_u32 v5, v5, 23, v51
	v_or3_b32 v2, v6, v5, v2
.LBB2_374:                              ;   in Loop: Header=BB2_124 Depth=2
	s_or_b64 exec, exec, s[58:59]
.LBB2_375:                              ;   in Loop: Header=BB2_124 Depth=2
	s_or_b64 exec, exec, s[56:57]
.LBB2_376:                              ;   in Loop: Header=BB2_124 Depth=2
	s_or_b64 exec, exec, s[22:23]
	v_add_f32_e32 v4, v4, v2
	v_and_b32_sdwa v2, v4, s74 dst_sel:DWORD dst_unused:UNUSED_PAD src0_sel:BYTE_3 src1_sel:DWORD
	v_and_b32_e32 v6, 0x7f800000, v4
	v_mov_b32_e32 v7, v57
	v_and_b32_e32 v56, 0x7fffff, v4
	v_or_b32_e32 v31, 0x7e, v2
	v_cmp_ne_u64_e32 vcc, s[42:43], v[6:7]
	s_and_saveexec_b64 s[22:23], vcc
	s_xor_b64 s[56:57], exec, s[22:23]
	s_cbranch_execz .LBB2_386
; %bb.377:                              ;   in Loop: Header=BB2_124 Depth=2
	v_and_b32_e32 v6, 0x7fffffff, v4
	v_mov_b32_e32 v7, v57
	v_cmp_gt_u64_e32 vcc, s[44:45], v[6:7]
	s_and_saveexec_b64 s[58:59], vcc
	s_cbranch_execz .LBB2_385
; %bb.378:                              ;   in Loop: Header=BB2_124 Depth=2
	v_cmp_ne_u32_e32 vcc, 0, v4
	v_mov_b32_e32 v31, 0
	s_and_saveexec_b64 s[60:61], vcc
	s_cbranch_execz .LBB2_384
; %bb.379:                              ;   in Loop: Header=BB2_124 Depth=2
	v_bfe_u32 v4, v4, 23, 8
	v_sub_u32_e32 v6, 0x79, v4
	v_cmp_gt_u32_e32 vcc, s76, v4
	v_add_u32_e32 v5, 0xffffff81, v4
	v_cndmask_b32_e32 v6, 0, v6, vcc
	v_cmp_eq_u32_e32 vcc, 0, v4
	v_mov_b32_e32 v4, 0xffffff82
	v_cndmask_b32_e32 v22, v5, v4, vcc
	v_mov_b32_e32 v4, 0x78
	v_cndmask_b32_e32 v26, v6, v4, vcc
	v_add_u32_e32 v4, 20, v26
	v_or_b32_e32 v7, 0x800000, v56
	v_lshlrev_b64 v[4:5], v4, -1
	v_cndmask_b32_e32 v56, v7, v56, vcc
	v_not_b32_e32 v4, v4
	v_and_b32_e32 v6, v56, v4
	v_add_u32_e32 v4, 19, v26
	v_lshrrev_b64 v[18:19], v26, v[56:57]
	v_not_b32_e32 v5, v5
	v_lshlrev_b64 v[8:9], v4, 1
	v_lshrrev_b32_e32 v4, 23, v18
	v_and_b32_e32 v7, 0, v5
	v_add3_u32 v22, v26, v22, v4
	v_bfe_u32 v4, v18, 20, 1
	v_add_u32_e32 v4, -1, v4
	v_cmp_eq_u64_e32 vcc, v[6:7], v[8:9]
	v_cndmask_b32_e32 v4, 0, v4, vcc
	v_add_u32_e32 v4, v4, v18
	v_and_b32_e32 v4, 0xfffff, v4
	v_add_co_u32_e32 v18, vcc, v4, v18
	v_add_u32_e32 v5, 6, v22
	v_addc_co_u32_e32 v19, vcc, 0, v19, vcc
	v_cmp_ne_u32_e32 vcc, 0, v5
                                        ; implicit-def: $vgpr4
	s_and_saveexec_b64 s[22:23], vcc
	s_xor_b64 s[22:23], exec, s[22:23]
; %bb.380:                              ;   in Loop: Header=BB2_124 Depth=2
	v_add_u32_e32 v4, 7, v22
	v_cmp_lt_u64_e32 vcc, s[48:49], v[18:19]
	v_cndmask_b32_e32 v4, v5, v4, vcc
	v_cndmask_b32_e64 v5, 0, 1, vcc
	v_lshrrev_b64 v[18:19], v5, v[18:19]
; %bb.381:                              ;   in Loop: Header=BB2_124 Depth=2
	s_andn2_saveexec_b64 s[22:23], s[22:23]
; %bb.382:                              ;   in Loop: Header=BB2_124 Depth=2
	v_bfe_u32 v4, v18, 23, 1
; %bb.383:                              ;   in Loop: Header=BB2_124 Depth=2
	s_or_b64 exec, exec, s[22:23]
	v_lshrrev_b64 v[6:7], 20, v[18:19]
	v_cmp_gt_i32_e32 vcc, 16, v4
	v_cndmask_b32_e32 v7, 0, v7, vcc
	v_cndmask_b32_e32 v6, 7, v6, vcc
	v_cmp_eq_u32_e32 vcc, 0, v4
	v_min_i32_e32 v4, 15, v4
	v_cmp_eq_u64_e64 s[22:23], 0, v[6:7]
	v_lshlrev_b32_e32 v4, 3, v4
	v_and_or_b32 v4, v6, 7, v4
	s_and_b64 s[22:23], vcc, s[22:23]
	v_cndmask_b32_e64 v4, v4, 0, s[22:23]
	v_or_b32_e32 v31, v4, v2
.LBB2_384:                              ;   in Loop: Header=BB2_124 Depth=2
	s_or_b64 exec, exec, s[60:61]
.LBB2_385:                              ;   in Loop: Header=BB2_124 Depth=2
	s_or_b64 exec, exec, s[58:59]
                                        ; implicit-def: $vgpr4
.LBB2_386:                              ;   in Loop: Header=BB2_124 Depth=2
	s_andn2_saveexec_b64 s[22:23], s[56:57]
; %bb.387:                              ;   in Loop: Header=BB2_124 Depth=2
	v_or_b32_sdwa v2, v4, s75 dst_sel:DWORD dst_unused:UNUSED_PAD src0_sel:BYTE_3 src1_sel:DWORD
	v_cmp_eq_u64_e32 vcc, 0, v[56:57]
	v_cndmask_b32_e32 v31, v2, v31, vcc
; %bb.388:                              ;   in Loop: Header=BB2_124 Depth=2
	s_or_b64 exec, exec, s[22:23]
	v_cmp_lt_u32_e32 vcc, s47, v24
	v_mov_b32_e32 v2, 0
	v_mov_b32_e32 v4, 0
	s_and_saveexec_b64 s[22:23], vcc
	s_cbranch_execz .LBB2_394
; %bb.389:                              ;   in Loop: Header=BB2_124 Depth=2
	v_lshrrev_b32_e32 v18, 24, v24
	v_cmp_ne_u32_e32 vcc, s74, v18
	v_bfrev_b32_e32 v4, 1
	s_and_saveexec_b64 s[56:57], vcc
	s_cbranch_execz .LBB2_393
; %bb.390:                              ;   in Loop: Header=BB2_124 Depth=2
	v_bfe_u32 v5, v24, 24, 7
	v_cmp_ne_u32_e32 vcc, s75, v5
	v_mov_b32_e32 v4, 0x7f800001
	s_and_saveexec_b64 s[58:59], vcc
	s_cbranch_execz .LBB2_392
; %bb.391:                              ;   in Loop: Header=BB2_124 Depth=2
	v_and_b32_e32 v4, 7, v18
	v_ffbh_u32_e32 v6, v4
	v_min_u32_e32 v9, 32, v6
	v_subrev_u32_e32 v6, 28, v9
	v_lshlrev_b64 v[6:7], v6, v[18:19]
	v_lshrrev_b32_e32 v8, 3, v5
	v_sub_u32_e32 v7, 29, v9
	v_and_b32_e32 v6, 7, v6
	v_cmp_gt_u32_e32 vcc, 8, v5
	v_cndmask_b32_e32 v5, v8, v7, vcc
	v_cndmask_b32_e32 v4, v4, v6, vcc
	v_lshlrev_b32_e32 v6, 24, v18
	v_lshlrev_b32_e32 v4, 20, v4
	v_and_b32_e32 v6, 0x80000000, v6
	v_lshl_add_u32 v5, v5, 23, v51
	v_or3_b32 v4, v6, v5, v4
.LBB2_392:                              ;   in Loop: Header=BB2_124 Depth=2
	s_or_b64 exec, exec, s[58:59]
.LBB2_393:                              ;   in Loop: Header=BB2_124 Depth=2
	s_or_b64 exec, exec, s[56:57]
.LBB2_394:                              ;   in Loop: Header=BB2_124 Depth=2
	s_or_b64 exec, exec, s[22:23]
	v_cmp_lt_u32_e32 vcc, s47, v20
	s_and_saveexec_b64 s[22:23], vcc
	s_cbranch_execz .LBB2_400
; %bb.395:                              ;   in Loop: Header=BB2_124 Depth=2
	v_lshrrev_b32_e32 v18, 24, v20
	v_cmp_ne_u32_e32 vcc, s74, v18
	v_bfrev_b32_e32 v2, 1
	s_and_saveexec_b64 s[56:57], vcc
	s_cbranch_execz .LBB2_399
; %bb.396:                              ;   in Loop: Header=BB2_124 Depth=2
	v_bfe_u32 v5, v20, 24, 7
	v_cmp_ne_u32_e32 vcc, s75, v5
	v_mov_b32_e32 v2, 0x7f800001
	s_and_saveexec_b64 s[58:59], vcc
	s_cbranch_execz .LBB2_398
; %bb.397:                              ;   in Loop: Header=BB2_124 Depth=2
	v_and_b32_e32 v2, 7, v18
	v_ffbh_u32_e32 v6, v2
	v_min_u32_e32 v9, 32, v6
	v_subrev_u32_e32 v6, 28, v9
	v_lshlrev_b64 v[6:7], v6, v[18:19]
	v_lshrrev_b32_e32 v8, 3, v5
	v_sub_u32_e32 v7, 29, v9
	v_and_b32_e32 v6, 7, v6
	v_cmp_gt_u32_e32 vcc, 8, v5
	v_cndmask_b32_e32 v5, v8, v7, vcc
	v_cndmask_b32_e32 v2, v2, v6, vcc
	v_lshlrev_b32_e32 v6, 24, v18
	v_lshlrev_b32_e32 v2, 20, v2
	v_and_b32_e32 v6, 0x80000000, v6
	v_lshl_add_u32 v5, v5, 23, v51
	v_or3_b32 v2, v6, v5, v2
.LBB2_398:                              ;   in Loop: Header=BB2_124 Depth=2
	s_or_b64 exec, exec, s[58:59]
.LBB2_399:                              ;   in Loop: Header=BB2_124 Depth=2
	s_or_b64 exec, exec, s[56:57]
.LBB2_400:                              ;   in Loop: Header=BB2_124 Depth=2
	s_or_b64 exec, exec, s[22:23]
	v_add_f32_e32 v4, v4, v2
	v_and_b32_sdwa v2, v4, s74 dst_sel:DWORD dst_unused:UNUSED_PAD src0_sel:BYTE_3 src1_sel:DWORD
	v_and_b32_e32 v6, 0x7f800000, v4
	v_mov_b32_e32 v7, v57
	v_and_b32_e32 v56, 0x7fffff, v4
	v_or_b32_e32 v28, 0x7e, v2
	v_cmp_ne_u64_e32 vcc, s[42:43], v[6:7]
	s_and_saveexec_b64 s[22:23], vcc
	s_xor_b64 s[56:57], exec, s[22:23]
	s_cbranch_execz .LBB2_410
; %bb.401:                              ;   in Loop: Header=BB2_124 Depth=2
	v_and_b32_e32 v6, 0x7fffffff, v4
	v_mov_b32_e32 v7, v57
	v_cmp_gt_u64_e32 vcc, s[44:45], v[6:7]
	s_and_saveexec_b64 s[58:59], vcc
	s_cbranch_execz .LBB2_409
; %bb.402:                              ;   in Loop: Header=BB2_124 Depth=2
	v_cmp_ne_u32_e32 vcc, 0, v4
	v_mov_b32_e32 v28, 0
	s_and_saveexec_b64 s[60:61], vcc
	s_cbranch_execz .LBB2_408
; %bb.403:                              ;   in Loop: Header=BB2_124 Depth=2
	v_bfe_u32 v4, v4, 23, 8
	v_sub_u32_e32 v6, 0x79, v4
	v_cmp_gt_u32_e32 vcc, s76, v4
	v_add_u32_e32 v5, 0xffffff81, v4
	v_cndmask_b32_e32 v6, 0, v6, vcc
	v_cmp_eq_u32_e32 vcc, 0, v4
	v_mov_b32_e32 v4, 0xffffff82
	v_cndmask_b32_e32 v22, v5, v4, vcc
	v_mov_b32_e32 v4, 0x78
	v_cndmask_b32_e32 v26, v6, v4, vcc
	v_add_u32_e32 v4, 20, v26
	v_or_b32_e32 v7, 0x800000, v56
	v_lshlrev_b64 v[4:5], v4, -1
	v_cndmask_b32_e32 v56, v7, v56, vcc
	v_not_b32_e32 v4, v4
	v_and_b32_e32 v6, v56, v4
	v_add_u32_e32 v4, 19, v26
	v_lshrrev_b64 v[18:19], v26, v[56:57]
	v_not_b32_e32 v5, v5
	v_lshlrev_b64 v[8:9], v4, 1
	v_lshrrev_b32_e32 v4, 23, v18
	v_and_b32_e32 v7, 0, v5
	v_add3_u32 v22, v26, v22, v4
	v_bfe_u32 v4, v18, 20, 1
	v_add_u32_e32 v4, -1, v4
	v_cmp_eq_u64_e32 vcc, v[6:7], v[8:9]
	v_cndmask_b32_e32 v4, 0, v4, vcc
	v_add_u32_e32 v4, v4, v18
	v_and_b32_e32 v4, 0xfffff, v4
	v_add_co_u32_e32 v18, vcc, v4, v18
	v_add_u32_e32 v5, 6, v22
	v_addc_co_u32_e32 v19, vcc, 0, v19, vcc
	v_cmp_ne_u32_e32 vcc, 0, v5
                                        ; implicit-def: $vgpr4
	s_and_saveexec_b64 s[22:23], vcc
	s_xor_b64 s[22:23], exec, s[22:23]
; %bb.404:                              ;   in Loop: Header=BB2_124 Depth=2
	v_add_u32_e32 v4, 7, v22
	v_cmp_lt_u64_e32 vcc, s[48:49], v[18:19]
	v_cndmask_b32_e32 v4, v5, v4, vcc
	v_cndmask_b32_e64 v5, 0, 1, vcc
	v_lshrrev_b64 v[18:19], v5, v[18:19]
; %bb.405:                              ;   in Loop: Header=BB2_124 Depth=2
	s_andn2_saveexec_b64 s[22:23], s[22:23]
; %bb.406:                              ;   in Loop: Header=BB2_124 Depth=2
	v_bfe_u32 v4, v18, 23, 1
; %bb.407:                              ;   in Loop: Header=BB2_124 Depth=2
	s_or_b64 exec, exec, s[22:23]
	v_lshrrev_b64 v[6:7], 20, v[18:19]
	v_cmp_gt_i32_e32 vcc, 16, v4
	v_cndmask_b32_e32 v7, 0, v7, vcc
	v_cndmask_b32_e32 v6, 7, v6, vcc
	v_cmp_eq_u32_e32 vcc, 0, v4
	v_min_i32_e32 v4, 15, v4
	v_cmp_eq_u64_e64 s[22:23], 0, v[6:7]
	v_lshlrev_b32_e32 v4, 3, v4
	v_and_or_b32 v4, v6, 7, v4
	s_and_b64 s[22:23], vcc, s[22:23]
	v_cndmask_b32_e64 v4, v4, 0, s[22:23]
	v_or_b32_e32 v28, v4, v2
.LBB2_408:                              ;   in Loop: Header=BB2_124 Depth=2
	s_or_b64 exec, exec, s[60:61]
.LBB2_409:                              ;   in Loop: Header=BB2_124 Depth=2
	s_or_b64 exec, exec, s[58:59]
                                        ; implicit-def: $vgpr4
.LBB2_410:                              ;   in Loop: Header=BB2_124 Depth=2
	s_andn2_saveexec_b64 s[22:23], s[56:57]
; %bb.411:                              ;   in Loop: Header=BB2_124 Depth=2
	v_or_b32_sdwa v2, v4, s75 dst_sel:DWORD dst_unused:UNUSED_PAD src0_sel:BYTE_3 src1_sel:DWORD
	v_cmp_eq_u64_e32 vcc, 0, v[56:57]
	v_cndmask_b32_e32 v28, v2, v28, vcc
; %bb.412:                              ;   in Loop: Header=BB2_124 Depth=2
	s_or_b64 exec, exec, s[22:23]
	v_mov_b32_e32 v56, v25
	v_cmp_ne_u16_sdwa vcc, v25, v57 src0_sel:BYTE_0 src1_sel:DWORD
	v_mov_b32_e32 v4, 0
	v_mov_b32_e32 v2, 0
	s_and_saveexec_b64 s[22:23], vcc
	s_cbranch_execz .LBB2_418
; %bb.413:                              ;   in Loop: Header=BB2_124 Depth=2
	v_cmp_ne_u16_sdwa vcc, v25, s74 src0_sel:BYTE_0 src1_sel:DWORD
	v_bfrev_b32_e32 v2, 1
	s_and_saveexec_b64 s[56:57], vcc
	s_cbranch_execz .LBB2_417
; %bb.414:                              ;   in Loop: Header=BB2_124 Depth=2
	v_and_b32_e32 v5, 0x7f, v25
	v_cmp_ne_u32_e32 vcc, s75, v5
	v_mov_b32_e32 v2, 0x7f800001
	s_and_saveexec_b64 s[58:59], vcc
	s_cbranch_execz .LBB2_416
; %bb.415:                              ;   in Loop: Header=BB2_124 Depth=2
	v_and_b32_e32 v2, 7, v25
	v_ffbh_u32_e32 v2, v2
	v_min_u32_e32 v2, 32, v2
	v_subrev_u32_e32 v7, 28, v2
	v_cmp_gt_u32_e32 vcc, 8, v5
	v_lshrrev_b32_e32 v6, 3, v5
	v_sub_u32_e32 v2, 29, v2
	v_cndmask_b32_e32 v5, 0, v7, vcc
	v_cndmask_b32_e32 v2, v6, v2, vcc
	v_lshlrev_b64 v[6:7], v5, v[56:57]
	v_lshlrev_b32_e32 v5, 20, v6
	v_lshlrev_b32_e32 v6, 24, v56
	v_and_b32_e32 v5, 0x700000, v5
	v_and_b32_e32 v6, 0x80000000, v6
	v_lshl_add_u32 v2, v2, 23, v51
	v_or3_b32 v2, v6, v2, v5
.LBB2_416:                              ;   in Loop: Header=BB2_124 Depth=2
	s_or_b64 exec, exec, s[58:59]
.LBB2_417:                              ;   in Loop: Header=BB2_124 Depth=2
	s_or_b64 exec, exec, s[56:57]
.LBB2_418:                              ;   in Loop: Header=BB2_124 Depth=2
	s_or_b64 exec, exec, s[22:23]
	v_cmp_ne_u16_sdwa vcc, v21, v57 src0_sel:BYTE_0 src1_sel:DWORD
	s_and_saveexec_b64 s[22:23], vcc
	s_cbranch_execz .LBB2_424
; %bb.419:                              ;   in Loop: Header=BB2_124 Depth=2
	v_cmp_ne_u16_sdwa vcc, v21, s74 src0_sel:BYTE_0 src1_sel:DWORD
	v_bfrev_b32_e32 v4, 1
	s_and_saveexec_b64 s[56:57], vcc
	s_cbranch_execz .LBB2_423
; %bb.420:                              ;   in Loop: Header=BB2_124 Depth=2
	v_and_b32_e32 v5, 0x7f, v21
	v_cmp_ne_u32_e32 vcc, s75, v5
	v_mov_b32_e32 v4, 0x7f800001
	s_and_saveexec_b64 s[58:59], vcc
	s_cbranch_execz .LBB2_422
; %bb.421:                              ;   in Loop: Header=BB2_124 Depth=2
	v_and_b32_e32 v4, 7, v21
	v_ffbh_u32_e32 v4, v4
	v_min_u32_e32 v4, 32, v4
	v_lshrrev_b32_e32 v8, 3, v5
	v_subrev_u32_e32 v9, 28, v4
	v_sub_u32_e32 v4, 29, v4
	v_cmp_gt_u32_e32 vcc, 8, v5
	v_mov_b32_e32 v6, v21
	v_mov_b32_e32 v7, v57
	v_cndmask_b32_e32 v8, v8, v4, vcc
	v_cndmask_b32_e32 v4, 0, v9, vcc
	v_lshlrev_b64 v[4:5], v4, v[6:7]
	v_lshlrev_b32_e32 v4, 20, v4
	v_lshlrev_b32_e32 v5, 24, v6
	v_and_b32_e32 v4, 0x700000, v4
	v_and_b32_e32 v5, 0x80000000, v5
	v_lshl_add_u32 v6, v8, 23, v51
	v_or3_b32 v4, v5, v6, v4
.LBB2_422:                              ;   in Loop: Header=BB2_124 Depth=2
	s_or_b64 exec, exec, s[58:59]
.LBB2_423:                              ;   in Loop: Header=BB2_124 Depth=2
	s_or_b64 exec, exec, s[56:57]
.LBB2_424:                              ;   in Loop: Header=BB2_124 Depth=2
	s_or_b64 exec, exec, s[22:23]
	v_add_f32_e32 v4, v2, v4
	v_and_b32_sdwa v2, v4, s74 dst_sel:DWORD dst_unused:UNUSED_PAD src0_sel:BYTE_3 src1_sel:DWORD
	v_and_b32_e32 v6, 0x7f800000, v4
	v_mov_b32_e32 v7, v57
	v_and_b32_e32 v18, 0x7fffff, v4
	v_mov_b32_e32 v19, v57
	v_or_b32_e32 v52, 0x7e, v2
	v_cmp_ne_u64_e32 vcc, s[42:43], v[6:7]
	s_and_saveexec_b64 s[22:23], vcc
	s_xor_b64 s[56:57], exec, s[22:23]
	s_cbranch_execz .LBB2_434
; %bb.425:                              ;   in Loop: Header=BB2_124 Depth=2
	v_and_b32_e32 v6, 0x7fffffff, v4
	v_mov_b32_e32 v7, v57
	v_cmp_gt_u64_e32 vcc, s[44:45], v[6:7]
	s_and_saveexec_b64 s[58:59], vcc
	s_cbranch_execz .LBB2_433
; %bb.426:                              ;   in Loop: Header=BB2_124 Depth=2
	v_cmp_ne_u32_e32 vcc, 0, v4
	v_mov_b32_e32 v52, 0
	s_and_saveexec_b64 s[60:61], vcc
	s_cbranch_execz .LBB2_432
; %bb.427:                              ;   in Loop: Header=BB2_124 Depth=2
	v_bfe_u32 v4, v4, 23, 8
	v_sub_u32_e32 v6, 0x79, v4
	v_cmp_gt_u32_e32 vcc, s76, v4
	v_add_u32_e32 v5, 0xffffff81, v4
	v_cndmask_b32_e32 v6, 0, v6, vcc
	v_cmp_eq_u32_e32 vcc, 0, v4
	v_mov_b32_e32 v4, 0xffffff82
	v_cndmask_b32_e32 v22, v5, v4, vcc
	v_mov_b32_e32 v4, 0x78
	v_cndmask_b32_e32 v26, v6, v4, vcc
	v_add_u32_e32 v4, 20, v26
	v_or_b32_e32 v7, 0x800000, v18
	v_lshlrev_b64 v[4:5], v4, -1
	v_cndmask_b32_e32 v18, v7, v18, vcc
	v_not_b32_e32 v4, v4
	v_and_b32_e32 v6, v18, v4
	v_add_u32_e32 v4, 19, v26
	v_lshrrev_b64 v[18:19], v26, v[18:19]
	v_not_b32_e32 v5, v5
	v_lshlrev_b64 v[8:9], v4, 1
	v_lshrrev_b32_e32 v4, 23, v18
	v_and_b32_e32 v7, 0, v5
	v_add3_u32 v22, v26, v22, v4
	v_bfe_u32 v4, v18, 20, 1
	v_add_u32_e32 v4, -1, v4
	v_cmp_eq_u64_e32 vcc, v[6:7], v[8:9]
	v_cndmask_b32_e32 v4, 0, v4, vcc
	v_add_u32_e32 v4, v4, v18
	v_and_b32_e32 v4, 0xfffff, v4
	v_add_co_u32_e32 v18, vcc, v4, v18
	v_add_u32_e32 v5, 6, v22
	v_addc_co_u32_e32 v19, vcc, 0, v19, vcc
	v_cmp_ne_u32_e32 vcc, 0, v5
                                        ; implicit-def: $vgpr4
	s_and_saveexec_b64 s[22:23], vcc
	s_xor_b64 s[22:23], exec, s[22:23]
; %bb.428:                              ;   in Loop: Header=BB2_124 Depth=2
	v_add_u32_e32 v4, 7, v22
	v_cmp_lt_u64_e32 vcc, s[48:49], v[18:19]
	v_cndmask_b32_e32 v4, v5, v4, vcc
	v_cndmask_b32_e64 v5, 0, 1, vcc
	v_lshrrev_b64 v[18:19], v5, v[18:19]
; %bb.429:                              ;   in Loop: Header=BB2_124 Depth=2
	s_andn2_saveexec_b64 s[22:23], s[22:23]
; %bb.430:                              ;   in Loop: Header=BB2_124 Depth=2
	v_bfe_u32 v4, v18, 23, 1
; %bb.431:                              ;   in Loop: Header=BB2_124 Depth=2
	s_or_b64 exec, exec, s[22:23]
	v_lshrrev_b64 v[6:7], 20, v[18:19]
	v_cmp_gt_i32_e32 vcc, 16, v4
	v_cndmask_b32_e32 v7, 0, v7, vcc
	v_cndmask_b32_e32 v6, 7, v6, vcc
	v_cmp_eq_u32_e32 vcc, 0, v4
	v_min_i32_e32 v4, 15, v4
	v_cmp_eq_u64_e64 s[22:23], 0, v[6:7]
	v_lshlrev_b32_e32 v4, 3, v4
	v_and_or_b32 v4, v6, 7, v4
	s_and_b64 s[22:23], vcc, s[22:23]
	v_cndmask_b32_e64 v4, v4, 0, s[22:23]
	v_or_b32_e32 v52, v4, v2
.LBB2_432:                              ;   in Loop: Header=BB2_124 Depth=2
	s_or_b64 exec, exec, s[60:61]
.LBB2_433:                              ;   in Loop: Header=BB2_124 Depth=2
	s_or_b64 exec, exec, s[58:59]
                                        ; implicit-def: $vgpr4
                                        ; implicit-def: $vgpr18_vgpr19
.LBB2_434:                              ;   in Loop: Header=BB2_124 Depth=2
	s_andn2_saveexec_b64 s[22:23], s[56:57]
; %bb.435:                              ;   in Loop: Header=BB2_124 Depth=2
	v_or_b32_sdwa v2, v4, s75 dst_sel:DWORD dst_unused:UNUSED_PAD src0_sel:BYTE_3 src1_sel:DWORD
	v_cmp_eq_u64_e32 vcc, 0, v[18:19]
	v_cndmask_b32_e32 v52, v2, v52, vcc
; %bb.436:                              ;   in Loop: Header=BB2_124 Depth=2
	s_or_b64 exec, exec, s[22:23]
	v_lshrrev_b16_e32 v18, 8, v56
	v_cmp_ne_u16_e32 vcc, 0, v18
	v_mov_b32_e32 v2, 0
	v_mov_b32_e32 v4, 0
	s_and_saveexec_b64 s[22:23], vcc
	s_cbranch_execz .LBB2_442
; %bb.437:                              ;   in Loop: Header=BB2_124 Depth=2
	v_cmp_ne_u16_e32 vcc, s74, v18
	v_bfrev_b32_e32 v4, 1
	s_and_saveexec_b64 s[56:57], vcc
	s_cbranch_execz .LBB2_441
; %bb.438:                              ;   in Loop: Header=BB2_124 Depth=2
	v_and_b32_e32 v5, 0x7f, v18
	v_cmp_ne_u32_e32 vcc, s75, v5
	v_mov_b32_e32 v4, 0x7f800001
	s_and_saveexec_b64 s[58:59], vcc
	s_cbranch_execz .LBB2_440
; %bb.439:                              ;   in Loop: Header=BB2_124 Depth=2
	v_and_b32_e32 v4, 7, v18
	v_ffbh_u32_e32 v6, v4
	v_min_u32_e32 v9, 32, v6
	v_subrev_u32_e32 v6, 28, v9
	v_lshlrev_b64 v[6:7], v6, v[18:19]
	v_lshrrev_b32_e32 v8, 3, v5
	v_sub_u32_e32 v7, 29, v9
	v_and_b32_e32 v6, 7, v6
	v_cmp_gt_u32_e32 vcc, 8, v5
	v_cndmask_b32_e32 v5, v8, v7, vcc
	v_cndmask_b32_e32 v4, v4, v6, vcc
	v_lshlrev_b32_e32 v6, 16, v56
	v_lshlrev_b32_e32 v4, 20, v4
	v_and_b32_e32 v6, 0x80000000, v6
	v_lshl_add_u32 v5, v5, 23, v51
	v_or3_b32 v4, v6, v5, v4
.LBB2_440:                              ;   in Loop: Header=BB2_124 Depth=2
	s_or_b64 exec, exec, s[58:59]
.LBB2_441:                              ;   in Loop: Header=BB2_124 Depth=2
	s_or_b64 exec, exec, s[56:57]
.LBB2_442:                              ;   in Loop: Header=BB2_124 Depth=2
	s_or_b64 exec, exec, s[22:23]
	v_mov_b32_e32 v18, v21
	v_lshrrev_b16_e32 v22, 8, v18
	v_cmp_ne_u16_e32 vcc, 0, v22
	s_and_saveexec_b64 s[22:23], vcc
	s_cbranch_execz .LBB2_448
; %bb.443:                              ;   in Loop: Header=BB2_124 Depth=2
	v_cmp_ne_u16_e32 vcc, s74, v22
	v_bfrev_b32_e32 v2, 1
	s_and_saveexec_b64 s[56:57], vcc
	s_cbranch_execz .LBB2_447
; %bb.444:                              ;   in Loop: Header=BB2_124 Depth=2
	v_and_b32_e32 v5, 0x7f, v22
	v_cmp_ne_u32_e32 vcc, s75, v5
	v_mov_b32_e32 v2, 0x7f800001
	s_and_saveexec_b64 s[58:59], vcc
	s_cbranch_execz .LBB2_446
; %bb.445:                              ;   in Loop: Header=BB2_124 Depth=2
	v_and_b32_e32 v2, 7, v22
	v_ffbh_u32_e32 v6, v2
	v_min_u32_e32 v9, 32, v6
	v_subrev_u32_e32 v6, 28, v9
	v_lshlrev_b64 v[6:7], v6, v[22:23]
	v_lshrrev_b32_e32 v8, 3, v5
	v_sub_u32_e32 v7, 29, v9
	v_and_b32_e32 v6, 7, v6
	v_cmp_gt_u32_e32 vcc, 8, v5
	v_cndmask_b32_e32 v5, v8, v7, vcc
	v_cndmask_b32_e32 v2, v2, v6, vcc
	v_lshlrev_b32_e32 v6, 16, v18
	v_lshlrev_b32_e32 v2, 20, v2
	v_and_b32_e32 v6, 0x80000000, v6
	v_lshl_add_u32 v5, v5, 23, v51
	v_or3_b32 v2, v6, v5, v2
.LBB2_446:                              ;   in Loop: Header=BB2_124 Depth=2
	s_or_b64 exec, exec, s[58:59]
.LBB2_447:                              ;   in Loop: Header=BB2_124 Depth=2
	s_or_b64 exec, exec, s[56:57]
.LBB2_448:                              ;   in Loop: Header=BB2_124 Depth=2
	s_or_b64 exec, exec, s[22:23]
	v_add_f32_e32 v4, v4, v2
	v_and_b32_sdwa v2, v4, s74 dst_sel:DWORD dst_unused:UNUSED_PAD src0_sel:BYTE_3 src1_sel:DWORD
	v_and_b32_e32 v6, 0x7f800000, v4
	v_mov_b32_e32 v7, v57
	v_and_b32_e32 v56, 0x7fffff, v4
	v_or_b32_e32 v22, 0x7e, v2
	v_cmp_ne_u64_e32 vcc, s[42:43], v[6:7]
	s_and_saveexec_b64 s[22:23], vcc
	s_xor_b64 s[56:57], exec, s[22:23]
	s_cbranch_execz .LBB2_458
; %bb.449:                              ;   in Loop: Header=BB2_124 Depth=2
	v_and_b32_e32 v6, 0x7fffffff, v4
	v_mov_b32_e32 v7, v57
	v_cmp_gt_u64_e32 vcc, s[44:45], v[6:7]
	s_and_saveexec_b64 s[58:59], vcc
	s_cbranch_execz .LBB2_457
; %bb.450:                              ;   in Loop: Header=BB2_124 Depth=2
	v_cmp_ne_u32_e32 vcc, 0, v4
	v_mov_b32_e32 v22, 0
	s_and_saveexec_b64 s[60:61], vcc
	s_cbranch_execz .LBB2_456
; %bb.451:                              ;   in Loop: Header=BB2_124 Depth=2
	v_bfe_u32 v4, v4, 23, 8
	v_sub_u32_e32 v6, 0x79, v4
	v_cmp_gt_u32_e32 vcc, s76, v4
	v_add_u32_e32 v5, 0xffffff81, v4
	v_cndmask_b32_e32 v6, 0, v6, vcc
	v_cmp_eq_u32_e32 vcc, 0, v4
	v_mov_b32_e32 v4, 0xffffff82
	v_cndmask_b32_e32 v22, v5, v4, vcc
	v_mov_b32_e32 v4, 0x78
	v_cndmask_b32_e32 v26, v6, v4, vcc
	v_add_u32_e32 v4, 20, v26
	v_or_b32_e32 v7, 0x800000, v56
	v_lshlrev_b64 v[4:5], v4, -1
	v_cndmask_b32_e32 v56, v7, v56, vcc
	v_not_b32_e32 v4, v4
	v_and_b32_e32 v6, v56, v4
	v_add_u32_e32 v4, 19, v26
	v_lshrrev_b64 v[18:19], v26, v[56:57]
	v_not_b32_e32 v5, v5
	v_lshlrev_b64 v[8:9], v4, 1
	v_lshrrev_b32_e32 v4, 23, v18
	v_and_b32_e32 v7, 0, v5
	v_add3_u32 v22, v26, v22, v4
	v_bfe_u32 v4, v18, 20, 1
	v_add_u32_e32 v4, -1, v4
	v_cmp_eq_u64_e32 vcc, v[6:7], v[8:9]
	v_cndmask_b32_e32 v4, 0, v4, vcc
	v_add_u32_e32 v4, v4, v18
	v_and_b32_e32 v4, 0xfffff, v4
	v_add_co_u32_e32 v18, vcc, v4, v18
	v_add_u32_e32 v5, 6, v22
	v_addc_co_u32_e32 v19, vcc, 0, v19, vcc
	v_cmp_ne_u32_e32 vcc, 0, v5
                                        ; implicit-def: $vgpr4
	s_and_saveexec_b64 s[22:23], vcc
	s_xor_b64 s[22:23], exec, s[22:23]
; %bb.452:                              ;   in Loop: Header=BB2_124 Depth=2
	v_add_u32_e32 v4, 7, v22
	v_cmp_lt_u64_e32 vcc, s[48:49], v[18:19]
	v_cndmask_b32_e32 v4, v5, v4, vcc
	v_cndmask_b32_e64 v5, 0, 1, vcc
	v_lshrrev_b64 v[18:19], v5, v[18:19]
; %bb.453:                              ;   in Loop: Header=BB2_124 Depth=2
	s_andn2_saveexec_b64 s[22:23], s[22:23]
; %bb.454:                              ;   in Loop: Header=BB2_124 Depth=2
	v_bfe_u32 v4, v18, 23, 1
; %bb.455:                              ;   in Loop: Header=BB2_124 Depth=2
	s_or_b64 exec, exec, s[22:23]
	v_lshrrev_b64 v[6:7], 20, v[18:19]
	v_cmp_gt_i32_e32 vcc, 16, v4
	v_cndmask_b32_e32 v7, 0, v7, vcc
	v_cndmask_b32_e32 v6, 7, v6, vcc
	v_cmp_eq_u32_e32 vcc, 0, v4
	v_min_i32_e32 v4, 15, v4
	v_cmp_eq_u64_e64 s[22:23], 0, v[6:7]
	v_lshlrev_b32_e32 v4, 3, v4
	v_and_or_b32 v4, v6, 7, v4
	s_and_b64 s[22:23], vcc, s[22:23]
	v_cndmask_b32_e64 v4, v4, 0, s[22:23]
	v_or_b32_e32 v22, v4, v2
.LBB2_456:                              ;   in Loop: Header=BB2_124 Depth=2
	s_or_b64 exec, exec, s[60:61]
.LBB2_457:                              ;   in Loop: Header=BB2_124 Depth=2
	s_or_b64 exec, exec, s[58:59]
                                        ; implicit-def: $vgpr4
.LBB2_458:                              ;   in Loop: Header=BB2_124 Depth=2
	s_andn2_saveexec_b64 s[22:23], s[56:57]
; %bb.459:                              ;   in Loop: Header=BB2_124 Depth=2
	v_or_b32_sdwa v2, v4, s75 dst_sel:DWORD dst_unused:UNUSED_PAD src0_sel:BYTE_3 src1_sel:DWORD
	v_cmp_eq_u64_e32 vcc, 0, v[56:57]
	v_cndmask_b32_e32 v22, v2, v22, vcc
; %bb.460:                              ;   in Loop: Header=BB2_124 Depth=2
	s_or_b64 exec, exec, s[22:23]
	v_lshrrev_b32_e32 v18, 16, v25
	v_cmp_ne_u16_sdwa vcc, v18, v57 src0_sel:BYTE_0 src1_sel:DWORD
	v_mov_b32_e32 v2, 0
	v_mov_b32_e32 v4, 0
	s_and_saveexec_b64 s[22:23], vcc
	s_cbranch_execz .LBB2_466
; %bb.461:                              ;   in Loop: Header=BB2_124 Depth=2
	v_cmp_ne_u16_sdwa vcc, v18, s74 src0_sel:BYTE_0 src1_sel:DWORD
	v_bfrev_b32_e32 v4, 1
	s_and_saveexec_b64 s[56:57], vcc
	s_cbranch_execz .LBB2_465
; %bb.462:                              ;   in Loop: Header=BB2_124 Depth=2
	v_bfe_u32 v5, v25, 16, 7
	v_cmp_ne_u32_e32 vcc, s75, v5
	v_mov_b32_e32 v4, 0x7f800001
	s_and_saveexec_b64 s[58:59], vcc
	s_cbranch_execz .LBB2_464
; %bb.463:                              ;   in Loop: Header=BB2_124 Depth=2
	v_and_b32_e32 v4, 7, v18
	v_ffbh_u32_e32 v6, v4
	v_min_u32_e32 v9, 32, v6
	v_subrev_u32_e32 v6, 28, v9
	v_lshlrev_b64 v[6:7], v6, v[18:19]
	v_lshrrev_b32_e32 v8, 3, v5
	v_sub_u32_e32 v7, 29, v9
	v_and_b32_e32 v6, 7, v6
	v_cmp_gt_u32_e32 vcc, 8, v5
	v_cndmask_b32_e32 v5, v8, v7, vcc
	v_cndmask_b32_e32 v4, v4, v6, vcc
	v_lshlrev_b32_e32 v6, 24, v18
	v_lshlrev_b32_e32 v4, 20, v4
	v_and_b32_e32 v6, 0x80000000, v6
	v_lshl_add_u32 v5, v5, 23, v51
	v_or3_b32 v4, v6, v5, v4
.LBB2_464:                              ;   in Loop: Header=BB2_124 Depth=2
	s_or_b64 exec, exec, s[58:59]
.LBB2_465:                              ;   in Loop: Header=BB2_124 Depth=2
	s_or_b64 exec, exec, s[56:57]
.LBB2_466:                              ;   in Loop: Header=BB2_124 Depth=2
	s_or_b64 exec, exec, s[22:23]
	v_lshrrev_b32_e32 v18, 16, v21
	v_cmp_ne_u16_sdwa vcc, v18, v57 src0_sel:BYTE_0 src1_sel:DWORD
	s_and_saveexec_b64 s[22:23], vcc
	s_cbranch_execz .LBB2_472
; %bb.467:                              ;   in Loop: Header=BB2_124 Depth=2
	v_cmp_ne_u16_sdwa vcc, v18, s74 src0_sel:BYTE_0 src1_sel:DWORD
	v_bfrev_b32_e32 v2, 1
	s_and_saveexec_b64 s[56:57], vcc
	s_cbranch_execz .LBB2_471
; %bb.468:                              ;   in Loop: Header=BB2_124 Depth=2
	v_bfe_u32 v5, v21, 16, 7
	v_cmp_ne_u32_e32 vcc, s75, v5
	v_mov_b32_e32 v2, 0x7f800001
	s_and_saveexec_b64 s[58:59], vcc
	s_cbranch_execz .LBB2_470
; %bb.469:                              ;   in Loop: Header=BB2_124 Depth=2
	v_and_b32_e32 v2, 7, v18
	v_ffbh_u32_e32 v6, v2
	v_min_u32_e32 v9, 32, v6
	v_subrev_u32_e32 v6, 28, v9
	v_lshlrev_b64 v[6:7], v6, v[18:19]
	v_lshrrev_b32_e32 v8, 3, v5
	v_sub_u32_e32 v7, 29, v9
	v_and_b32_e32 v6, 7, v6
	v_cmp_gt_u32_e32 vcc, 8, v5
	v_cndmask_b32_e32 v5, v8, v7, vcc
	v_cndmask_b32_e32 v2, v2, v6, vcc
	v_lshlrev_b32_e32 v6, 8, v21
	v_lshlrev_b32_e32 v2, 20, v2
	v_and_b32_e32 v6, 0x80000000, v6
	v_lshl_add_u32 v5, v5, 23, v51
	v_or3_b32 v2, v6, v5, v2
.LBB2_470:                              ;   in Loop: Header=BB2_124 Depth=2
	s_or_b64 exec, exec, s[58:59]
.LBB2_471:                              ;   in Loop: Header=BB2_124 Depth=2
	s_or_b64 exec, exec, s[56:57]
.LBB2_472:                              ;   in Loop: Header=BB2_124 Depth=2
	s_or_b64 exec, exec, s[22:23]
	v_add_f32_e32 v4, v4, v2
	v_and_b32_sdwa v2, v4, s74 dst_sel:DWORD dst_unused:UNUSED_PAD src0_sel:BYTE_3 src1_sel:DWORD
	v_and_b32_e32 v6, 0x7f800000, v4
	v_mov_b32_e32 v7, v57
	v_and_b32_e32 v56, 0x7fffff, v4
	v_or_b32_e32 v46, 0x7e, v2
	v_cmp_ne_u64_e32 vcc, s[42:43], v[6:7]
	s_and_saveexec_b64 s[22:23], vcc
	s_xor_b64 s[56:57], exec, s[22:23]
	s_cbranch_execz .LBB2_482
; %bb.473:                              ;   in Loop: Header=BB2_124 Depth=2
	v_and_b32_e32 v6, 0x7fffffff, v4
	v_mov_b32_e32 v7, v57
	v_cmp_gt_u64_e32 vcc, s[44:45], v[6:7]
	s_and_saveexec_b64 s[58:59], vcc
	s_cbranch_execz .LBB2_481
; %bb.474:                              ;   in Loop: Header=BB2_124 Depth=2
	v_cmp_ne_u32_e32 vcc, 0, v4
	v_mov_b32_e32 v46, 0
	s_and_saveexec_b64 s[60:61], vcc
	s_cbranch_execz .LBB2_480
; %bb.475:                              ;   in Loop: Header=BB2_124 Depth=2
	v_bfe_u32 v4, v4, 23, 8
	v_sub_u32_e32 v6, 0x79, v4
	v_cmp_gt_u32_e32 vcc, s76, v4
	v_add_u32_e32 v5, 0xffffff81, v4
	v_cndmask_b32_e32 v6, 0, v6, vcc
	v_cmp_eq_u32_e32 vcc, 0, v4
	v_mov_b32_e32 v4, 0xffffff82
	v_cndmask_b32_e32 v26, v5, v4, vcc
	v_mov_b32_e32 v4, 0x78
	v_cndmask_b32_e32 v27, v6, v4, vcc
	v_add_u32_e32 v4, 20, v27
	v_or_b32_e32 v7, 0x800000, v56
	v_lshlrev_b64 v[4:5], v4, -1
	v_cndmask_b32_e32 v56, v7, v56, vcc
	v_not_b32_e32 v4, v4
	v_and_b32_e32 v6, v56, v4
	v_add_u32_e32 v4, 19, v27
	v_lshrrev_b64 v[18:19], v27, v[56:57]
	v_not_b32_e32 v5, v5
	v_lshlrev_b64 v[8:9], v4, 1
	v_lshrrev_b32_e32 v4, 23, v18
	v_and_b32_e32 v7, 0, v5
	v_add3_u32 v26, v27, v26, v4
	v_bfe_u32 v4, v18, 20, 1
	v_add_u32_e32 v4, -1, v4
	v_cmp_eq_u64_e32 vcc, v[6:7], v[8:9]
	v_cndmask_b32_e32 v4, 0, v4, vcc
	v_add_u32_e32 v4, v4, v18
	v_and_b32_e32 v4, 0xfffff, v4
	v_add_co_u32_e32 v18, vcc, v4, v18
	v_add_u32_e32 v5, 6, v26
	v_addc_co_u32_e32 v19, vcc, 0, v19, vcc
	v_cmp_ne_u32_e32 vcc, 0, v5
                                        ; implicit-def: $vgpr4
	s_and_saveexec_b64 s[22:23], vcc
	s_xor_b64 s[22:23], exec, s[22:23]
; %bb.476:                              ;   in Loop: Header=BB2_124 Depth=2
	v_add_u32_e32 v4, 7, v26
	v_cmp_lt_u64_e32 vcc, s[48:49], v[18:19]
	v_cndmask_b32_e32 v4, v5, v4, vcc
	v_cndmask_b32_e64 v5, 0, 1, vcc
	v_lshrrev_b64 v[18:19], v5, v[18:19]
; %bb.477:                              ;   in Loop: Header=BB2_124 Depth=2
	s_andn2_saveexec_b64 s[22:23], s[22:23]
; %bb.478:                              ;   in Loop: Header=BB2_124 Depth=2
	v_bfe_u32 v4, v18, 23, 1
; %bb.479:                              ;   in Loop: Header=BB2_124 Depth=2
	s_or_b64 exec, exec, s[22:23]
	v_lshrrev_b64 v[6:7], 20, v[18:19]
	v_cmp_gt_i32_e32 vcc, 16, v4
	v_cndmask_b32_e32 v7, 0, v7, vcc
	v_cndmask_b32_e32 v6, 7, v6, vcc
	v_cmp_eq_u32_e32 vcc, 0, v4
	v_min_i32_e32 v4, 15, v4
	v_lshlrev_b32_e32 v4, 3, v4
	v_cmp_eq_u64_e64 s[22:23], 0, v[6:7]
	v_and_b32_e32 v4, 0xf8, v4
	v_and_or_b32 v4, v6, 7, v4
	s_and_b64 s[22:23], vcc, s[22:23]
	v_cndmask_b32_e64 v4, v4, 0, s[22:23]
	v_or_b32_e32 v46, v4, v2
.LBB2_480:                              ;   in Loop: Header=BB2_124 Depth=2
	s_or_b64 exec, exec, s[60:61]
.LBB2_481:                              ;   in Loop: Header=BB2_124 Depth=2
	s_or_b64 exec, exec, s[58:59]
                                        ; implicit-def: $vgpr4
.LBB2_482:                              ;   in Loop: Header=BB2_124 Depth=2
	s_andn2_saveexec_b64 s[22:23], s[56:57]
; %bb.483:                              ;   in Loop: Header=BB2_124 Depth=2
	v_or_b32_sdwa v2, v4, s75 dst_sel:DWORD dst_unused:UNUSED_PAD src0_sel:BYTE_3 src1_sel:DWORD
	v_cmp_eq_u64_e32 vcc, 0, v[56:57]
	v_cndmask_b32_e32 v46, v2, v46, vcc
; %bb.484:                              ;   in Loop: Header=BB2_124 Depth=2
	s_or_b64 exec, exec, s[22:23]
	v_cmp_lt_u64_e32 vcc, s[46:47], v[24:25]
	v_mov_b32_e32 v2, 0
	v_mov_b32_e32 v4, 0
	s_and_saveexec_b64 s[22:23], vcc
	s_cbranch_execz .LBB2_490
; %bb.485:                              ;   in Loop: Header=BB2_124 Depth=2
	v_lshrrev_b32_e32 v18, 24, v25
	v_cmp_ne_u32_e32 vcc, s74, v18
	v_bfrev_b32_e32 v4, 1
	s_and_saveexec_b64 s[56:57], vcc
	s_cbranch_execz .LBB2_489
; %bb.486:                              ;   in Loop: Header=BB2_124 Depth=2
	v_bfe_u32 v5, v25, 24, 7
	v_cmp_ne_u32_e32 vcc, s75, v5
	v_mov_b32_e32 v4, 0x7f800001
	s_and_saveexec_b64 s[58:59], vcc
	s_cbranch_execz .LBB2_488
; %bb.487:                              ;   in Loop: Header=BB2_124 Depth=2
	v_and_b32_e32 v4, 7, v18
	v_ffbh_u32_e32 v6, v4
	v_min_u32_e32 v9, 32, v6
	v_subrev_u32_e32 v6, 28, v9
	v_lshlrev_b64 v[6:7], v6, v[18:19]
	v_lshrrev_b32_e32 v8, 3, v5
	v_sub_u32_e32 v7, 29, v9
	v_and_b32_e32 v6, 7, v6
	v_cmp_gt_u32_e32 vcc, 8, v5
	v_cndmask_b32_e32 v5, v8, v7, vcc
	v_cndmask_b32_e32 v4, v4, v6, vcc
	v_lshlrev_b32_e32 v6, 24, v18
	v_lshlrev_b32_e32 v4, 20, v4
	v_and_b32_e32 v6, 0x80000000, v6
	v_lshl_add_u32 v5, v5, 23, v51
	v_or3_b32 v4, v6, v5, v4
.LBB2_488:                              ;   in Loop: Header=BB2_124 Depth=2
	s_or_b64 exec, exec, s[58:59]
.LBB2_489:                              ;   in Loop: Header=BB2_124 Depth=2
	s_or_b64 exec, exec, s[56:57]
.LBB2_490:                              ;   in Loop: Header=BB2_124 Depth=2
	s_or_b64 exec, exec, s[22:23]
	v_cmp_lt_u64_e32 vcc, s[46:47], v[20:21]
	s_and_saveexec_b64 s[22:23], vcc
	s_cbranch_execz .LBB2_496
; %bb.491:                              ;   in Loop: Header=BB2_124 Depth=2
	v_lshrrev_b32_e32 v18, 24, v21
	v_cmp_ne_u32_e32 vcc, s74, v18
	v_bfrev_b32_e32 v2, 1
	s_and_saveexec_b64 s[56:57], vcc
	s_cbranch_execz .LBB2_495
; %bb.492:                              ;   in Loop: Header=BB2_124 Depth=2
	v_bfe_u32 v5, v21, 24, 7
	v_cmp_ne_u32_e32 vcc, s75, v5
	v_mov_b32_e32 v2, 0x7f800001
	s_and_saveexec_b64 s[58:59], vcc
	s_cbranch_execz .LBB2_494
; %bb.493:                              ;   in Loop: Header=BB2_124 Depth=2
	v_and_b32_e32 v2, 7, v18
	v_ffbh_u32_e32 v6, v2
	v_min_u32_e32 v9, 32, v6
	v_subrev_u32_e32 v6, 28, v9
	v_lshlrev_b64 v[6:7], v6, v[18:19]
	v_lshrrev_b32_e32 v8, 3, v5
	v_sub_u32_e32 v7, 29, v9
	v_and_b32_e32 v6, 7, v6
	v_cmp_gt_u32_e32 vcc, 8, v5
	v_cndmask_b32_e32 v5, v8, v7, vcc
	v_cndmask_b32_e32 v2, v2, v6, vcc
	v_lshlrev_b32_e32 v6, 24, v18
	v_lshlrev_b32_e32 v2, 20, v2
	v_and_b32_e32 v6, 0x80000000, v6
	v_lshl_add_u32 v5, v5, 23, v51
	v_or3_b32 v2, v6, v5, v2
.LBB2_494:                              ;   in Loop: Header=BB2_124 Depth=2
	s_or_b64 exec, exec, s[58:59]
.LBB2_495:                              ;   in Loop: Header=BB2_124 Depth=2
	s_or_b64 exec, exec, s[56:57]
.LBB2_496:                              ;   in Loop: Header=BB2_124 Depth=2
	s_or_b64 exec, exec, s[22:23]
	v_add_f32_e32 v4, v4, v2
	v_and_b32_sdwa v2, v4, s74 dst_sel:DWORD dst_unused:UNUSED_PAD src0_sel:BYTE_3 src1_sel:DWORD
	v_and_b32_e32 v6, 0x7f800000, v4
	v_mov_b32_e32 v7, v57
	v_and_b32_e32 v56, 0x7fffff, v4
	v_or_b32_e32 v21, 0x7e, v2
	v_cmp_ne_u64_e32 vcc, s[42:43], v[6:7]
	s_and_saveexec_b64 s[22:23], vcc
	s_xor_b64 s[56:57], exec, s[22:23]
	s_cbranch_execz .LBB2_506
; %bb.497:                              ;   in Loop: Header=BB2_124 Depth=2
	v_and_b32_e32 v6, 0x7fffffff, v4
	v_mov_b32_e32 v7, v57
	v_cmp_gt_u64_e32 vcc, s[44:45], v[6:7]
	s_and_saveexec_b64 s[58:59], vcc
	s_cbranch_execz .LBB2_505
; %bb.498:                              ;   in Loop: Header=BB2_124 Depth=2
	v_cmp_ne_u32_e32 vcc, 0, v4
	v_mov_b32_e32 v21, 0
	s_and_saveexec_b64 s[60:61], vcc
	s_cbranch_execz .LBB2_504
; %bb.499:                              ;   in Loop: Header=BB2_124 Depth=2
	v_bfe_u32 v4, v4, 23, 8
	v_sub_u32_e32 v6, 0x79, v4
	v_cmp_gt_u32_e32 vcc, s76, v4
	v_add_u32_e32 v5, 0xffffff81, v4
	v_cndmask_b32_e32 v6, 0, v6, vcc
	v_cmp_eq_u32_e32 vcc, 0, v4
	v_mov_b32_e32 v4, 0xffffff82
	v_cndmask_b32_e32 v20, v5, v4, vcc
	v_mov_b32_e32 v4, 0x78
	v_cndmask_b32_e32 v21, v6, v4, vcc
	v_add_u32_e32 v4, 20, v21
	v_or_b32_e32 v7, 0x800000, v56
	v_lshlrev_b64 v[4:5], v4, -1
	v_cndmask_b32_e32 v56, v7, v56, vcc
	v_not_b32_e32 v4, v4
	v_and_b32_e32 v6, v56, v4
	v_add_u32_e32 v4, 19, v21
	v_lshrrev_b64 v[18:19], v21, v[56:57]
	v_not_b32_e32 v5, v5
	v_lshlrev_b64 v[8:9], v4, 1
	v_lshrrev_b32_e32 v4, 23, v18
	v_and_b32_e32 v7, 0, v5
	v_add3_u32 v20, v21, v20, v4
	v_bfe_u32 v4, v18, 20, 1
	v_add_u32_e32 v4, -1, v4
	v_cmp_eq_u64_e32 vcc, v[6:7], v[8:9]
	v_cndmask_b32_e32 v4, 0, v4, vcc
	v_add_u32_e32 v4, v4, v18
	v_and_b32_e32 v4, 0xfffff, v4
	v_add_co_u32_e32 v18, vcc, v4, v18
	v_add_u32_e32 v5, 6, v20
	v_addc_co_u32_e32 v19, vcc, 0, v19, vcc
	v_cmp_ne_u32_e32 vcc, 0, v5
                                        ; implicit-def: $vgpr4
	s_and_saveexec_b64 s[22:23], vcc
	s_xor_b64 s[22:23], exec, s[22:23]
; %bb.500:                              ;   in Loop: Header=BB2_124 Depth=2
	v_add_u32_e32 v4, 7, v20
	v_cmp_lt_u64_e32 vcc, s[48:49], v[18:19]
	v_cndmask_b32_e32 v4, v5, v4, vcc
	v_cndmask_b32_e64 v5, 0, 1, vcc
	v_lshrrev_b64 v[18:19], v5, v[18:19]
; %bb.501:                              ;   in Loop: Header=BB2_124 Depth=2
	s_andn2_saveexec_b64 s[22:23], s[22:23]
; %bb.502:                              ;   in Loop: Header=BB2_124 Depth=2
	v_bfe_u32 v4, v18, 23, 1
; %bb.503:                              ;   in Loop: Header=BB2_124 Depth=2
	s_or_b64 exec, exec, s[22:23]
	v_lshrrev_b64 v[6:7], 20, v[18:19]
	v_cmp_gt_i32_e32 vcc, 16, v4
	v_cndmask_b32_e32 v7, 0, v7, vcc
	v_cndmask_b32_e32 v6, 7, v6, vcc
	v_cmp_eq_u32_e32 vcc, 0, v4
	v_min_i32_e32 v4, 15, v4
	v_lshlrev_b32_e32 v4, 3, v4
	v_cmp_eq_u64_e64 s[22:23], 0, v[6:7]
	v_and_b32_e32 v4, 0xf8, v4
	v_and_or_b32 v4, v6, 7, v4
	s_and_b64 s[22:23], vcc, s[22:23]
	v_cndmask_b32_e64 v4, v4, 0, s[22:23]
	v_or_b32_e32 v21, v4, v2
.LBB2_504:                              ;   in Loop: Header=BB2_124 Depth=2
	s_or_b64 exec, exec, s[60:61]
.LBB2_505:                              ;   in Loop: Header=BB2_124 Depth=2
	s_or_b64 exec, exec, s[58:59]
                                        ; implicit-def: $vgpr4
.LBB2_506:                              ;   in Loop: Header=BB2_124 Depth=2
	s_andn2_saveexec_b64 s[22:23], s[56:57]
; %bb.507:                              ;   in Loop: Header=BB2_124 Depth=2
	v_or_b32_sdwa v2, v4, s75 dst_sel:DWORD dst_unused:UNUSED_PAD src0_sel:BYTE_3 src1_sel:DWORD
	v_cmp_eq_u64_e32 vcc, 0, v[56:57]
	v_cndmask_b32_e32 v21, v2, v21, vcc
; %bb.508:                              ;   in Loop: Header=BB2_124 Depth=2
	s_or_b64 exec, exec, s[22:23]
	v_cmp_ne_u16_sdwa vcc, v14, v57 src0_sel:BYTE_0 src1_sel:DWORD
	v_mov_b32_e32 v2, 0
	v_mov_b32_e32 v4, 0
	s_and_saveexec_b64 s[22:23], vcc
	s_cbranch_execz .LBB2_514
; %bb.509:                              ;   in Loop: Header=BB2_124 Depth=2
	v_cmp_ne_u16_sdwa vcc, v14, s74 src0_sel:BYTE_0 src1_sel:DWORD
	v_bfrev_b32_e32 v4, 1
	s_and_saveexec_b64 s[56:57], vcc
	s_cbranch_execz .LBB2_513
; %bb.510:                              ;   in Loop: Header=BB2_124 Depth=2
	v_and_b32_e32 v5, 0x7f, v14
	v_cmp_ne_u32_e32 vcc, s75, v5
	v_mov_b32_e32 v4, 0x7f800001
	s_and_saveexec_b64 s[58:59], vcc
	s_cbranch_execz .LBB2_512
; %bb.511:                              ;   in Loop: Header=BB2_124 Depth=2
	v_and_b32_e32 v4, 7, v14
	v_ffbh_u32_e32 v4, v4
	v_min_u32_e32 v4, 32, v4
	v_lshrrev_b32_e32 v6, 3, v5
	v_subrev_u32_e32 v7, 28, v4
	v_sub_u32_e32 v4, 29, v4
	v_cmp_gt_u32_e32 vcc, 8, v5
	v_cndmask_b32_e32 v6, v6, v4, vcc
	v_cndmask_b32_e32 v4, 0, v7, vcc
	v_lshlrev_b64 v[4:5], v4, v[14:15]
	v_lshlrev_b32_e32 v4, 20, v4
	v_lshlrev_b32_e32 v5, 24, v14
	v_and_b32_e32 v4, 0x700000, v4
	v_and_b32_e32 v5, 0x80000000, v5
	v_lshl_add_u32 v6, v6, 23, v51
	v_or3_b32 v4, v5, v6, v4
.LBB2_512:                              ;   in Loop: Header=BB2_124 Depth=2
	s_or_b64 exec, exec, s[58:59]
.LBB2_513:                              ;   in Loop: Header=BB2_124 Depth=2
	s_or_b64 exec, exec, s[56:57]
.LBB2_514:                              ;   in Loop: Header=BB2_124 Depth=2
	s_or_b64 exec, exec, s[22:23]
	v_cmp_ne_u16_sdwa vcc, v10, v57 src0_sel:BYTE_0 src1_sel:DWORD
	s_and_saveexec_b64 s[22:23], vcc
	s_cbranch_execz .LBB2_520
; %bb.515:                              ;   in Loop: Header=BB2_124 Depth=2
	v_cmp_ne_u16_sdwa vcc, v10, s74 src0_sel:BYTE_0 src1_sel:DWORD
	v_bfrev_b32_e32 v2, 1
	s_and_saveexec_b64 s[56:57], vcc
	s_cbranch_execz .LBB2_519
; %bb.516:                              ;   in Loop: Header=BB2_124 Depth=2
	v_and_b32_e32 v5, 0x7f, v10
	v_cmp_ne_u32_e32 vcc, s75, v5
	v_mov_b32_e32 v2, 0x7f800001
	s_and_saveexec_b64 s[58:59], vcc
	s_cbranch_execz .LBB2_518
; %bb.517:                              ;   in Loop: Header=BB2_124 Depth=2
	v_and_b32_e32 v2, 7, v10
	v_ffbh_u32_e32 v2, v2
	v_min_u32_e32 v2, 32, v2
	v_subrev_u32_e32 v7, 28, v2
	v_cmp_gt_u32_e32 vcc, 8, v5
	v_lshrrev_b32_e32 v6, 3, v5
	v_sub_u32_e32 v2, 29, v2
	v_cndmask_b32_e32 v5, 0, v7, vcc
	v_cndmask_b32_e32 v2, v6, v2, vcc
	v_lshlrev_b64 v[6:7], v5, v[10:11]
	v_lshlrev_b32_e32 v5, 20, v6
	v_lshlrev_b32_e32 v6, 24, v10
	v_and_b32_e32 v5, 0x700000, v5
	v_and_b32_e32 v6, 0x80000000, v6
	v_lshl_add_u32 v2, v2, 23, v51
	v_or3_b32 v2, v6, v2, v5
.LBB2_518:                              ;   in Loop: Header=BB2_124 Depth=2
	s_or_b64 exec, exec, s[58:59]
.LBB2_519:                              ;   in Loop: Header=BB2_124 Depth=2
	s_or_b64 exec, exec, s[56:57]
.LBB2_520:                              ;   in Loop: Header=BB2_124 Depth=2
	s_or_b64 exec, exec, s[22:23]
	v_add_f32_e32 v4, v4, v2
	v_and_b32_sdwa v2, v4, s74 dst_sel:DWORD dst_unused:UNUSED_PAD src0_sel:BYTE_3 src1_sel:DWORD
	v_and_b32_e32 v6, 0x7f800000, v4
	v_mov_b32_e32 v7, v57
	v_and_b32_e32 v56, 0x7fffff, v4
	v_or_b32_e32 v24, 0x7e, v2
	v_cmp_ne_u64_e32 vcc, s[42:43], v[6:7]
	s_and_saveexec_b64 s[22:23], vcc
	s_xor_b64 s[56:57], exec, s[22:23]
	s_cbranch_execz .LBB2_530
; %bb.521:                              ;   in Loop: Header=BB2_124 Depth=2
	v_and_b32_e32 v6, 0x7fffffff, v4
	v_mov_b32_e32 v7, v57
	v_cmp_gt_u64_e32 vcc, s[44:45], v[6:7]
	s_and_saveexec_b64 s[58:59], vcc
	s_cbranch_execz .LBB2_529
; %bb.522:                              ;   in Loop: Header=BB2_124 Depth=2
	v_cmp_ne_u32_e32 vcc, 0, v4
	v_mov_b32_e32 v24, 0
	s_and_saveexec_b64 s[60:61], vcc
	s_cbranch_execz .LBB2_528
; %bb.523:                              ;   in Loop: Header=BB2_124 Depth=2
	v_bfe_u32 v4, v4, 23, 8
	v_sub_u32_e32 v6, 0x79, v4
	v_cmp_gt_u32_e32 vcc, s76, v4
	v_add_u32_e32 v5, 0xffffff81, v4
	v_cndmask_b32_e32 v6, 0, v6, vcc
	v_cmp_eq_u32_e32 vcc, 0, v4
	v_mov_b32_e32 v4, 0xffffff82
	v_cndmask_b32_e32 v20, v5, v4, vcc
	v_mov_b32_e32 v4, 0x78
	v_cndmask_b32_e32 v24, v6, v4, vcc
	v_add_u32_e32 v4, 20, v24
	v_or_b32_e32 v7, 0x800000, v56
	v_lshlrev_b64 v[4:5], v4, -1
	v_cndmask_b32_e32 v56, v7, v56, vcc
	v_not_b32_e32 v4, v4
	v_and_b32_e32 v6, v56, v4
	v_add_u32_e32 v4, 19, v24
	v_lshrrev_b64 v[18:19], v24, v[56:57]
	v_not_b32_e32 v5, v5
	v_lshlrev_b64 v[8:9], v4, 1
	v_lshrrev_b32_e32 v4, 23, v18
	v_and_b32_e32 v7, 0, v5
	v_add3_u32 v20, v24, v20, v4
	v_bfe_u32 v4, v18, 20, 1
	v_add_u32_e32 v4, -1, v4
	v_cmp_eq_u64_e32 vcc, v[6:7], v[8:9]
	v_cndmask_b32_e32 v4, 0, v4, vcc
	v_add_u32_e32 v4, v4, v18
	v_and_b32_e32 v4, 0xfffff, v4
	v_add_co_u32_e32 v18, vcc, v4, v18
	v_add_u32_e32 v5, 6, v20
	v_addc_co_u32_e32 v19, vcc, 0, v19, vcc
	v_cmp_ne_u32_e32 vcc, 0, v5
                                        ; implicit-def: $vgpr4
	s_and_saveexec_b64 s[22:23], vcc
	s_xor_b64 s[22:23], exec, s[22:23]
; %bb.524:                              ;   in Loop: Header=BB2_124 Depth=2
	v_add_u32_e32 v4, 7, v20
	v_cmp_lt_u64_e32 vcc, s[48:49], v[18:19]
	v_cndmask_b32_e32 v4, v5, v4, vcc
	v_cndmask_b32_e64 v5, 0, 1, vcc
	v_lshrrev_b64 v[18:19], v5, v[18:19]
; %bb.525:                              ;   in Loop: Header=BB2_124 Depth=2
	s_andn2_saveexec_b64 s[22:23], s[22:23]
; %bb.526:                              ;   in Loop: Header=BB2_124 Depth=2
	v_bfe_u32 v4, v18, 23, 1
; %bb.527:                              ;   in Loop: Header=BB2_124 Depth=2
	s_or_b64 exec, exec, s[22:23]
	v_lshrrev_b64 v[6:7], 20, v[18:19]
	v_cmp_gt_i32_e32 vcc, 16, v4
	v_cndmask_b32_e32 v7, 0, v7, vcc
	v_cndmask_b32_e32 v6, 7, v6, vcc
	v_cmp_eq_u32_e32 vcc, 0, v4
	v_min_i32_e32 v4, 15, v4
	v_cmp_eq_u64_e64 s[22:23], 0, v[6:7]
	v_lshlrev_b32_e32 v4, 3, v4
	v_and_or_b32 v4, v6, 7, v4
	s_and_b64 s[22:23], vcc, s[22:23]
	v_cndmask_b32_e64 v4, v4, 0, s[22:23]
	v_or_b32_e32 v24, v4, v2
.LBB2_528:                              ;   in Loop: Header=BB2_124 Depth=2
	s_or_b64 exec, exec, s[60:61]
.LBB2_529:                              ;   in Loop: Header=BB2_124 Depth=2
	s_or_b64 exec, exec, s[58:59]
                                        ; implicit-def: $vgpr4
.LBB2_530:                              ;   in Loop: Header=BB2_124 Depth=2
	s_andn2_saveexec_b64 s[22:23], s[56:57]
; %bb.531:                              ;   in Loop: Header=BB2_124 Depth=2
	v_or_b32_sdwa v2, v4, s75 dst_sel:DWORD dst_unused:UNUSED_PAD src0_sel:BYTE_3 src1_sel:DWORD
	v_cmp_eq_u64_e32 vcc, 0, v[56:57]
	v_cndmask_b32_e32 v24, v2, v24, vcc
; %bb.532:                              ;   in Loop: Header=BB2_124 Depth=2
	s_or_b64 exec, exec, s[22:23]
	v_lshrrev_b16_e32 v18, 8, v14
	v_cmp_ne_u16_e32 vcc, 0, v18
	v_mov_b32_e32 v2, 0
	v_mov_b32_e32 v4, 0
	s_and_saveexec_b64 s[22:23], vcc
	s_cbranch_execz .LBB2_538
; %bb.533:                              ;   in Loop: Header=BB2_124 Depth=2
	v_cmp_ne_u16_e32 vcc, s74, v18
	v_bfrev_b32_e32 v4, 1
	s_and_saveexec_b64 s[56:57], vcc
	s_cbranch_execz .LBB2_537
; %bb.534:                              ;   in Loop: Header=BB2_124 Depth=2
	v_and_b32_e32 v5, 0x7f, v18
	v_cmp_ne_u32_e32 vcc, s75, v5
	v_mov_b32_e32 v4, 0x7f800001
	s_and_saveexec_b64 s[58:59], vcc
	s_cbranch_execz .LBB2_536
; %bb.535:                              ;   in Loop: Header=BB2_124 Depth=2
	v_and_b32_e32 v4, 7, v18
	v_ffbh_u32_e32 v6, v4
	v_min_u32_e32 v9, 32, v6
	v_subrev_u32_e32 v6, 28, v9
	v_lshlrev_b64 v[6:7], v6, v[18:19]
	v_lshrrev_b32_e32 v8, 3, v5
	v_sub_u32_e32 v7, 29, v9
	v_and_b32_e32 v6, 7, v6
	v_cmp_gt_u32_e32 vcc, 8, v5
	v_cndmask_b32_e32 v5, v8, v7, vcc
	v_cndmask_b32_e32 v4, v4, v6, vcc
	v_lshlrev_b32_e32 v6, 16, v14
	v_lshlrev_b32_e32 v4, 20, v4
	v_and_b32_e32 v6, 0x80000000, v6
	v_lshl_add_u32 v5, v5, 23, v51
	v_or3_b32 v4, v6, v5, v4
.LBB2_536:                              ;   in Loop: Header=BB2_124 Depth=2
	s_or_b64 exec, exec, s[58:59]
.LBB2_537:                              ;   in Loop: Header=BB2_124 Depth=2
	s_or_b64 exec, exec, s[56:57]
.LBB2_538:                              ;   in Loop: Header=BB2_124 Depth=2
	s_or_b64 exec, exec, s[22:23]
	v_lshrrev_b16_e32 v18, 8, v10
	v_cmp_ne_u16_e32 vcc, 0, v18
	s_and_saveexec_b64 s[22:23], vcc
	s_cbranch_execz .LBB2_544
; %bb.539:                              ;   in Loop: Header=BB2_124 Depth=2
	v_cmp_ne_u16_e32 vcc, s74, v18
	v_bfrev_b32_e32 v2, 1
	s_and_saveexec_b64 s[56:57], vcc
	s_cbranch_execz .LBB2_543
; %bb.540:                              ;   in Loop: Header=BB2_124 Depth=2
	v_and_b32_e32 v5, 0x7f, v18
	v_cmp_ne_u32_e32 vcc, s75, v5
	v_mov_b32_e32 v2, 0x7f800001
	s_and_saveexec_b64 s[58:59], vcc
	s_cbranch_execz .LBB2_542
; %bb.541:                              ;   in Loop: Header=BB2_124 Depth=2
	v_and_b32_e32 v2, 7, v18
	v_ffbh_u32_e32 v6, v2
	v_min_u32_e32 v9, 32, v6
	v_subrev_u32_e32 v6, 28, v9
	v_lshlrev_b64 v[6:7], v6, v[18:19]
	v_lshrrev_b32_e32 v8, 3, v5
	v_sub_u32_e32 v7, 29, v9
	v_and_b32_e32 v6, 7, v6
	v_cmp_gt_u32_e32 vcc, 8, v5
	v_cndmask_b32_e32 v5, v8, v7, vcc
	v_cndmask_b32_e32 v2, v2, v6, vcc
	v_lshlrev_b32_e32 v6, 16, v10
	v_lshlrev_b32_e32 v2, 20, v2
	v_and_b32_e32 v6, 0x80000000, v6
	v_lshl_add_u32 v5, v5, 23, v51
	v_or3_b32 v2, v6, v5, v2
.LBB2_542:                              ;   in Loop: Header=BB2_124 Depth=2
	s_or_b64 exec, exec, s[58:59]
.LBB2_543:                              ;   in Loop: Header=BB2_124 Depth=2
	s_or_b64 exec, exec, s[56:57]
.LBB2_544:                              ;   in Loop: Header=BB2_124 Depth=2
	s_or_b64 exec, exec, s[22:23]
	v_add_f32_e32 v4, v4, v2
	v_and_b32_sdwa v2, v4, s74 dst_sel:DWORD dst_unused:UNUSED_PAD src0_sel:BYTE_3 src1_sel:DWORD
	v_and_b32_e32 v6, 0x7f800000, v4
	v_mov_b32_e32 v7, v57
	v_and_b32_e32 v56, 0x7fffff, v4
	v_or_b32_e32 v25, 0x7e, v2
	v_cmp_ne_u64_e32 vcc, s[42:43], v[6:7]
	s_and_saveexec_b64 s[22:23], vcc
	s_xor_b64 s[56:57], exec, s[22:23]
	s_cbranch_execz .LBB2_554
; %bb.545:                              ;   in Loop: Header=BB2_124 Depth=2
	v_and_b32_e32 v6, 0x7fffffff, v4
	v_mov_b32_e32 v7, v57
	v_cmp_gt_u64_e32 vcc, s[44:45], v[6:7]
	s_and_saveexec_b64 s[58:59], vcc
	s_cbranch_execz .LBB2_553
; %bb.546:                              ;   in Loop: Header=BB2_124 Depth=2
	v_cmp_ne_u32_e32 vcc, 0, v4
	v_mov_b32_e32 v25, 0
	s_and_saveexec_b64 s[60:61], vcc
	s_cbranch_execz .LBB2_552
; %bb.547:                              ;   in Loop: Header=BB2_124 Depth=2
	v_bfe_u32 v4, v4, 23, 8
	v_sub_u32_e32 v6, 0x79, v4
	v_cmp_gt_u32_e32 vcc, s76, v4
	v_add_u32_e32 v5, 0xffffff81, v4
	v_cndmask_b32_e32 v6, 0, v6, vcc
	v_cmp_eq_u32_e32 vcc, 0, v4
	v_mov_b32_e32 v4, 0xffffff82
	v_cndmask_b32_e32 v20, v5, v4, vcc
	v_mov_b32_e32 v4, 0x78
	v_cndmask_b32_e32 v25, v6, v4, vcc
	v_add_u32_e32 v4, 20, v25
	v_or_b32_e32 v7, 0x800000, v56
	v_lshlrev_b64 v[4:5], v4, -1
	v_cndmask_b32_e32 v56, v7, v56, vcc
	v_not_b32_e32 v4, v4
	v_and_b32_e32 v6, v56, v4
	v_add_u32_e32 v4, 19, v25
	v_lshrrev_b64 v[18:19], v25, v[56:57]
	v_not_b32_e32 v5, v5
	v_lshlrev_b64 v[8:9], v4, 1
	v_lshrrev_b32_e32 v4, 23, v18
	v_and_b32_e32 v7, 0, v5
	v_add3_u32 v20, v25, v20, v4
	v_bfe_u32 v4, v18, 20, 1
	v_add_u32_e32 v4, -1, v4
	v_cmp_eq_u64_e32 vcc, v[6:7], v[8:9]
	v_cndmask_b32_e32 v4, 0, v4, vcc
	v_add_u32_e32 v4, v4, v18
	v_and_b32_e32 v4, 0xfffff, v4
	v_add_co_u32_e32 v18, vcc, v4, v18
	v_add_u32_e32 v5, 6, v20
	v_addc_co_u32_e32 v19, vcc, 0, v19, vcc
	v_cmp_ne_u32_e32 vcc, 0, v5
                                        ; implicit-def: $vgpr4
	s_and_saveexec_b64 s[22:23], vcc
	s_xor_b64 s[22:23], exec, s[22:23]
; %bb.548:                              ;   in Loop: Header=BB2_124 Depth=2
	v_add_u32_e32 v4, 7, v20
	v_cmp_lt_u64_e32 vcc, s[48:49], v[18:19]
	v_cndmask_b32_e32 v4, v5, v4, vcc
	v_cndmask_b32_e64 v5, 0, 1, vcc
	v_lshrrev_b64 v[18:19], v5, v[18:19]
; %bb.549:                              ;   in Loop: Header=BB2_124 Depth=2
	s_andn2_saveexec_b64 s[22:23], s[22:23]
; %bb.550:                              ;   in Loop: Header=BB2_124 Depth=2
	v_bfe_u32 v4, v18, 23, 1
; %bb.551:                              ;   in Loop: Header=BB2_124 Depth=2
	s_or_b64 exec, exec, s[22:23]
	v_lshrrev_b64 v[6:7], 20, v[18:19]
	v_cmp_gt_i32_e32 vcc, 16, v4
	v_cndmask_b32_e32 v7, 0, v7, vcc
	v_cndmask_b32_e32 v6, 7, v6, vcc
	v_cmp_eq_u32_e32 vcc, 0, v4
	v_min_i32_e32 v4, 15, v4
	v_cmp_eq_u64_e64 s[22:23], 0, v[6:7]
	v_lshlrev_b32_e32 v4, 3, v4
	v_and_or_b32 v4, v6, 7, v4
	s_and_b64 s[22:23], vcc, s[22:23]
	v_cndmask_b32_e64 v4, v4, 0, s[22:23]
	v_or_b32_e32 v25, v4, v2
.LBB2_552:                              ;   in Loop: Header=BB2_124 Depth=2
	s_or_b64 exec, exec, s[60:61]
.LBB2_553:                              ;   in Loop: Header=BB2_124 Depth=2
	s_or_b64 exec, exec, s[58:59]
                                        ; implicit-def: $vgpr4
.LBB2_554:                              ;   in Loop: Header=BB2_124 Depth=2
	s_andn2_saveexec_b64 s[22:23], s[56:57]
; %bb.555:                              ;   in Loop: Header=BB2_124 Depth=2
	v_or_b32_sdwa v2, v4, s75 dst_sel:DWORD dst_unused:UNUSED_PAD src0_sel:BYTE_3 src1_sel:DWORD
	v_cmp_eq_u64_e32 vcc, 0, v[56:57]
	v_cndmask_b32_e32 v25, v2, v25, vcc
; %bb.556:                              ;   in Loop: Header=BB2_124 Depth=2
	s_or_b64 exec, exec, s[22:23]
	v_lshrrev_b32_e32 v18, 16, v14
	v_cmp_ne_u16_sdwa vcc, v18, v57 src0_sel:BYTE_0 src1_sel:DWORD
	v_mov_b32_e32 v2, 0
	v_mov_b32_e32 v4, 0
	s_and_saveexec_b64 s[22:23], vcc
	s_cbranch_execz .LBB2_562
; %bb.557:                              ;   in Loop: Header=BB2_124 Depth=2
	v_cmp_ne_u16_sdwa vcc, v18, s74 src0_sel:BYTE_0 src1_sel:DWORD
	v_bfrev_b32_e32 v4, 1
	s_and_saveexec_b64 s[56:57], vcc
	s_cbranch_execz .LBB2_561
; %bb.558:                              ;   in Loop: Header=BB2_124 Depth=2
	v_bfe_u32 v5, v14, 16, 7
	v_cmp_ne_u32_e32 vcc, s75, v5
	v_mov_b32_e32 v4, 0x7f800001
	s_and_saveexec_b64 s[58:59], vcc
	s_cbranch_execz .LBB2_560
; %bb.559:                              ;   in Loop: Header=BB2_124 Depth=2
	v_and_b32_e32 v4, 7, v18
	v_ffbh_u32_e32 v6, v4
	v_min_u32_e32 v9, 32, v6
	v_subrev_u32_e32 v6, 28, v9
	v_lshlrev_b64 v[6:7], v6, v[18:19]
	v_lshrrev_b32_e32 v8, 3, v5
	v_sub_u32_e32 v7, 29, v9
	v_and_b32_e32 v6, 7, v6
	v_cmp_gt_u32_e32 vcc, 8, v5
	v_cndmask_b32_e32 v5, v8, v7, vcc
	v_cndmask_b32_e32 v4, v4, v6, vcc
	v_lshlrev_b32_e32 v6, 24, v18
	v_lshlrev_b32_e32 v4, 20, v4
	v_and_b32_e32 v6, 0x80000000, v6
	v_lshl_add_u32 v5, v5, 23, v51
	v_or3_b32 v4, v6, v5, v4
.LBB2_560:                              ;   in Loop: Header=BB2_124 Depth=2
	s_or_b64 exec, exec, s[58:59]
.LBB2_561:                              ;   in Loop: Header=BB2_124 Depth=2
	s_or_b64 exec, exec, s[56:57]
.LBB2_562:                              ;   in Loop: Header=BB2_124 Depth=2
	s_or_b64 exec, exec, s[22:23]
	v_lshrrev_b32_e32 v18, 16, v10
	v_cmp_ne_u16_sdwa vcc, v18, v57 src0_sel:BYTE_0 src1_sel:DWORD
	s_and_saveexec_b64 s[22:23], vcc
	s_cbranch_execz .LBB2_568
; %bb.563:                              ;   in Loop: Header=BB2_124 Depth=2
	v_cmp_ne_u16_sdwa vcc, v18, s74 src0_sel:BYTE_0 src1_sel:DWORD
	v_bfrev_b32_e32 v2, 1
	s_and_saveexec_b64 s[56:57], vcc
	s_cbranch_execz .LBB2_567
; %bb.564:                              ;   in Loop: Header=BB2_124 Depth=2
	v_bfe_u32 v5, v10, 16, 7
	v_cmp_ne_u32_e32 vcc, s75, v5
	v_mov_b32_e32 v2, 0x7f800001
	s_and_saveexec_b64 s[58:59], vcc
	s_cbranch_execz .LBB2_566
; %bb.565:                              ;   in Loop: Header=BB2_124 Depth=2
	v_and_b32_e32 v2, 7, v18
	v_ffbh_u32_e32 v6, v2
	v_min_u32_e32 v9, 32, v6
	v_subrev_u32_e32 v6, 28, v9
	v_lshlrev_b64 v[6:7], v6, v[18:19]
	v_lshrrev_b32_e32 v8, 3, v5
	v_sub_u32_e32 v7, 29, v9
	v_and_b32_e32 v6, 7, v6
	v_cmp_gt_u32_e32 vcc, 8, v5
	v_cndmask_b32_e32 v5, v8, v7, vcc
	v_cndmask_b32_e32 v2, v2, v6, vcc
	v_lshlrev_b32_e32 v6, 8, v10
	v_lshlrev_b32_e32 v2, 20, v2
	v_and_b32_e32 v6, 0x80000000, v6
	v_lshl_add_u32 v5, v5, 23, v51
	v_or3_b32 v2, v6, v5, v2
.LBB2_566:                              ;   in Loop: Header=BB2_124 Depth=2
	s_or_b64 exec, exec, s[58:59]
.LBB2_567:                              ;   in Loop: Header=BB2_124 Depth=2
	s_or_b64 exec, exec, s[56:57]
.LBB2_568:                              ;   in Loop: Header=BB2_124 Depth=2
	s_or_b64 exec, exec, s[22:23]
	v_add_f32_e32 v5, v4, v2
	v_and_b32_sdwa v4, v5, s74 dst_sel:DWORD dst_unused:UNUSED_PAD src0_sel:BYTE_3 src1_sel:DWORD
	v_and_b32_e32 v6, 0x7f800000, v5
	v_mov_b32_e32 v7, v57
	v_and_b32_e32 v56, 0x7fffff, v5
	v_or_b32_e32 v2, 0x7e, v4
	v_cmp_ne_u64_e32 vcc, s[42:43], v[6:7]
	s_and_saveexec_b64 s[22:23], vcc
	s_xor_b64 s[56:57], exec, s[22:23]
	s_cbranch_execz .LBB2_578
; %bb.569:                              ;   in Loop: Header=BB2_124 Depth=2
	v_and_b32_e32 v6, 0x7fffffff, v5
	v_mov_b32_e32 v7, v57
	v_cmp_gt_u64_e32 vcc, s[44:45], v[6:7]
	s_and_saveexec_b64 s[58:59], vcc
	s_cbranch_execz .LBB2_577
; %bb.570:                              ;   in Loop: Header=BB2_124 Depth=2
	v_cmp_ne_u32_e32 vcc, 0, v5
	v_mov_b32_e32 v2, 0
	s_and_saveexec_b64 s[60:61], vcc
	s_cbranch_execz .LBB2_576
; %bb.571:                              ;   in Loop: Header=BB2_124 Depth=2
	v_bfe_u32 v2, v5, 23, 8
	v_sub_u32_e32 v6, 0x79, v2
	v_cmp_gt_u32_e32 vcc, s76, v2
	v_add_u32_e32 v5, 0xffffff81, v2
	v_cndmask_b32_e32 v6, 0, v6, vcc
	v_cmp_eq_u32_e32 vcc, 0, v2
	v_mov_b32_e32 v2, 0xffffff82
	v_cndmask_b32_e32 v2, v5, v2, vcc
	v_mov_b32_e32 v5, 0x78
	v_or_b32_e32 v7, 0x800000, v56
	v_cndmask_b32_e32 v5, v6, v5, vcc
	v_cndmask_b32_e32 v56, v7, v56, vcc
	v_add_u32_e32 v6, 20, v5
	v_lshlrev_b64 v[6:7], v6, -1
	v_lshrrev_b64 v[18:19], v5, v[56:57]
	v_not_b32_e32 v7, v7
	v_not_b32_e32 v6, v6
	v_add_u32_e32 v8, 19, v5
	v_lshrrev_b32_e32 v20, 23, v18
	v_and_b32_e32 v7, 0, v7
	v_and_b32_e32 v6, v56, v6
	v_lshlrev_b64 v[8:9], v8, 1
	v_add3_u32 v20, v5, v2, v20
	v_bfe_u32 v2, v18, 20, 1
	v_add_u32_e32 v2, -1, v2
	v_cmp_eq_u64_e32 vcc, v[6:7], v[8:9]
	v_cndmask_b32_e32 v2, 0, v2, vcc
	v_add_u32_e32 v2, v2, v18
	v_and_b32_e32 v2, 0xfffff, v2
	v_add_co_u32_e32 v18, vcc, v2, v18
	v_add_u32_e32 v5, 6, v20
	v_addc_co_u32_e32 v19, vcc, 0, v19, vcc
	v_cmp_ne_u32_e32 vcc, 0, v5
                                        ; implicit-def: $vgpr2
	s_and_saveexec_b64 s[22:23], vcc
	s_xor_b64 s[22:23], exec, s[22:23]
; %bb.572:                              ;   in Loop: Header=BB2_124 Depth=2
	v_add_u32_e32 v2, 7, v20
	v_cmp_lt_u64_e32 vcc, s[48:49], v[18:19]
	v_cndmask_b32_e32 v2, v5, v2, vcc
	v_cndmask_b32_e64 v5, 0, 1, vcc
	v_lshrrev_b64 v[18:19], v5, v[18:19]
; %bb.573:                              ;   in Loop: Header=BB2_124 Depth=2
	s_andn2_saveexec_b64 s[22:23], s[22:23]
; %bb.574:                              ;   in Loop: Header=BB2_124 Depth=2
	v_bfe_u32 v2, v18, 23, 1
; %bb.575:                              ;   in Loop: Header=BB2_124 Depth=2
	s_or_b64 exec, exec, s[22:23]
	v_lshrrev_b64 v[6:7], 20, v[18:19]
	v_cmp_gt_i32_e32 vcc, 16, v2
	v_cndmask_b32_e32 v7, 0, v7, vcc
	v_cndmask_b32_e32 v6, 7, v6, vcc
	v_cmp_eq_u32_e32 vcc, 0, v2
	v_min_i32_e32 v2, 15, v2
	v_cmp_eq_u64_e64 s[22:23], 0, v[6:7]
	v_lshlrev_b32_e32 v2, 3, v2
	v_and_or_b32 v2, v6, 7, v2
	s_and_b64 s[22:23], vcc, s[22:23]
	v_cndmask_b32_e64 v2, v2, 0, s[22:23]
	v_or_b32_e32 v2, v2, v4
.LBB2_576:                              ;   in Loop: Header=BB2_124 Depth=2
	s_or_b64 exec, exec, s[60:61]
.LBB2_577:                              ;   in Loop: Header=BB2_124 Depth=2
	s_or_b64 exec, exec, s[58:59]
                                        ; implicit-def: $vgpr5
.LBB2_578:                              ;   in Loop: Header=BB2_124 Depth=2
	s_andn2_saveexec_b64 s[22:23], s[56:57]
; %bb.579:                              ;   in Loop: Header=BB2_124 Depth=2
	v_or_b32_sdwa v4, v5, s75 dst_sel:DWORD dst_unused:UNUSED_PAD src0_sel:BYTE_3 src1_sel:DWORD
	v_cmp_eq_u64_e32 vcc, 0, v[56:57]
	v_cndmask_b32_e32 v2, v4, v2, vcc
; %bb.580:                              ;   in Loop: Header=BB2_124 Depth=2
	s_or_b64 exec, exec, s[22:23]
	v_cmp_lt_u32_e32 vcc, s47, v14
	v_mov_b32_e32 v4, 0
	v_mov_b32_e32 v5, 0
	s_and_saveexec_b64 s[22:23], vcc
	s_cbranch_execz .LBB2_586
; %bb.581:                              ;   in Loop: Header=BB2_124 Depth=2
	v_lshrrev_b32_e32 v18, 24, v14
	v_cmp_ne_u32_e32 vcc, s74, v18
	v_bfrev_b32_e32 v5, 1
	s_and_saveexec_b64 s[56:57], vcc
	s_cbranch_execz .LBB2_585
; %bb.582:                              ;   in Loop: Header=BB2_124 Depth=2
	v_bfe_u32 v19, v14, 24, 7
	v_cmp_ne_u32_e32 vcc, s75, v19
	v_mov_b32_e32 v5, 0x7f800001
	s_and_saveexec_b64 s[58:59], vcc
	s_cbranch_execz .LBB2_584
; %bb.583:                              ;   in Loop: Header=BB2_124 Depth=2
	v_and_b32_e32 v5, 7, v18
	v_ffbh_u32_e32 v6, v5
	v_min_u32_e32 v9, 32, v6
	v_subrev_u32_e32 v6, 28, v9
	v_lshlrev_b64 v[6:7], v6, v[18:19]
	v_lshrrev_b32_e32 v8, 3, v19
	v_sub_u32_e32 v7, 29, v9
	v_and_b32_e32 v6, 7, v6
	v_cmp_gt_u32_e32 vcc, 8, v19
	v_cndmask_b32_e32 v7, v8, v7, vcc
	v_cndmask_b32_e32 v5, v5, v6, vcc
	v_lshlrev_b32_e32 v6, 24, v18
	v_lshlrev_b32_e32 v5, 20, v5
	v_and_b32_e32 v6, 0x80000000, v6
	v_lshl_add_u32 v7, v7, 23, v51
	v_or3_b32 v5, v6, v7, v5
.LBB2_584:                              ;   in Loop: Header=BB2_124 Depth=2
	s_or_b64 exec, exec, s[58:59]
.LBB2_585:                              ;   in Loop: Header=BB2_124 Depth=2
	s_or_b64 exec, exec, s[56:57]
.LBB2_586:                              ;   in Loop: Header=BB2_124 Depth=2
	s_or_b64 exec, exec, s[22:23]
	v_cmp_lt_u32_e32 vcc, s47, v10
	s_and_saveexec_b64 s[22:23], vcc
	s_cbranch_execz .LBB2_592
; %bb.587:                              ;   in Loop: Header=BB2_124 Depth=2
	v_lshrrev_b32_e32 v18, 24, v10
	v_cmp_ne_u32_e32 vcc, s74, v18
	v_bfrev_b32_e32 v4, 1
	s_and_saveexec_b64 s[56:57], vcc
	s_cbranch_execz .LBB2_591
; %bb.588:                              ;   in Loop: Header=BB2_124 Depth=2
	v_bfe_u32 v19, v10, 24, 7
	v_cmp_ne_u32_e32 vcc, s75, v19
	v_mov_b32_e32 v4, 0x7f800001
	s_and_saveexec_b64 s[58:59], vcc
	s_cbranch_execz .LBB2_590
; %bb.589:                              ;   in Loop: Header=BB2_124 Depth=2
	v_and_b32_e32 v4, 7, v18
	v_ffbh_u32_e32 v6, v4
	v_min_u32_e32 v9, 32, v6
	v_subrev_u32_e32 v6, 28, v9
	v_lshlrev_b64 v[6:7], v6, v[18:19]
	v_lshrrev_b32_e32 v8, 3, v19
	v_sub_u32_e32 v7, 29, v9
	v_and_b32_e32 v6, 7, v6
	v_cmp_gt_u32_e32 vcc, 8, v19
	v_cndmask_b32_e32 v7, v8, v7, vcc
	v_cndmask_b32_e32 v4, v4, v6, vcc
	v_lshlrev_b32_e32 v6, 24, v18
	v_lshlrev_b32_e32 v4, 20, v4
	v_and_b32_e32 v6, 0x80000000, v6
	v_lshl_add_u32 v7, v7, 23, v51
	v_or3_b32 v4, v6, v7, v4
.LBB2_590:                              ;   in Loop: Header=BB2_124 Depth=2
	s_or_b64 exec, exec, s[58:59]
.LBB2_591:                              ;   in Loop: Header=BB2_124 Depth=2
	s_or_b64 exec, exec, s[56:57]
.LBB2_592:                              ;   in Loop: Header=BB2_124 Depth=2
	s_or_b64 exec, exec, s[22:23]
	v_add_f32_e32 v5, v5, v4
	v_and_b32_sdwa v4, v5, s74 dst_sel:DWORD dst_unused:UNUSED_PAD src0_sel:BYTE_3 src1_sel:DWORD
	v_and_b32_e32 v6, 0x7f800000, v5
	v_mov_b32_e32 v7, v57
	v_and_b32_e32 v56, 0x7fffff, v5
	v_or_b32_e32 v26, 0x7e, v4
	v_cmp_ne_u64_e32 vcc, s[42:43], v[6:7]
	s_and_saveexec_b64 s[22:23], vcc
	s_xor_b64 s[56:57], exec, s[22:23]
	s_cbranch_execz .LBB2_602
; %bb.593:                              ;   in Loop: Header=BB2_124 Depth=2
	v_and_b32_e32 v6, 0x7fffffff, v5
	v_mov_b32_e32 v7, v57
	v_cmp_gt_u64_e32 vcc, s[44:45], v[6:7]
	s_and_saveexec_b64 s[58:59], vcc
	s_cbranch_execz .LBB2_601
; %bb.594:                              ;   in Loop: Header=BB2_124 Depth=2
	v_cmp_ne_u32_e32 vcc, 0, v5
	v_mov_b32_e32 v26, 0
	s_and_saveexec_b64 s[60:61], vcc
	s_cbranch_execz .LBB2_600
; %bb.595:                              ;   in Loop: Header=BB2_124 Depth=2
	v_bfe_u32 v5, v5, 23, 8
	v_sub_u32_e32 v7, 0x79, v5
	v_cmp_gt_u32_e32 vcc, s76, v5
	v_add_u32_e32 v6, 0xffffff81, v5
	v_cndmask_b32_e32 v7, 0, v7, vcc
	v_cmp_eq_u32_e32 vcc, 0, v5
	v_mov_b32_e32 v5, 0xffffff82
	v_cndmask_b32_e32 v5, v6, v5, vcc
	v_mov_b32_e32 v6, 0x78
	v_or_b32_e32 v8, 0x800000, v56
	v_cndmask_b32_e32 v20, v7, v6, vcc
	v_cndmask_b32_e32 v56, v8, v56, vcc
	v_add_u32_e32 v6, 20, v20
	v_lshlrev_b64 v[6:7], v6, -1
	v_lshrrev_b64 v[18:19], v20, v[56:57]
	v_not_b32_e32 v7, v7
	v_not_b32_e32 v6, v6
	v_add_u32_e32 v8, 19, v20
	v_lshrrev_b32_e32 v26, 23, v18
	v_and_b32_e32 v7, 0, v7
	v_and_b32_e32 v6, v56, v6
	v_lshlrev_b64 v[8:9], v8, 1
	v_add3_u32 v26, v20, v5, v26
	v_bfe_u32 v5, v18, 20, 1
	v_add_u32_e32 v5, -1, v5
	v_cmp_eq_u64_e32 vcc, v[6:7], v[8:9]
	v_cndmask_b32_e32 v5, 0, v5, vcc
	v_add_u32_e32 v5, v5, v18
	v_and_b32_e32 v5, 0xfffff, v5
	v_add_co_u32_e32 v18, vcc, v5, v18
	v_add_u32_e32 v20, 6, v26
	v_addc_co_u32_e32 v19, vcc, 0, v19, vcc
	v_cmp_ne_u32_e32 vcc, 0, v20
                                        ; implicit-def: $vgpr5
	s_and_saveexec_b64 s[22:23], vcc
	s_xor_b64 s[22:23], exec, s[22:23]
; %bb.596:                              ;   in Loop: Header=BB2_124 Depth=2
	v_cmp_lt_u64_e32 vcc, s[48:49], v[18:19]
	v_add_u32_e32 v5, 7, v26
	v_cndmask_b32_e64 v6, 0, 1, vcc
	v_cndmask_b32_e32 v5, v20, v5, vcc
	v_lshrrev_b64 v[18:19], v6, v[18:19]
; %bb.597:                              ;   in Loop: Header=BB2_124 Depth=2
	s_andn2_saveexec_b64 s[22:23], s[22:23]
; %bb.598:                              ;   in Loop: Header=BB2_124 Depth=2
	v_bfe_u32 v5, v18, 23, 1
; %bb.599:                              ;   in Loop: Header=BB2_124 Depth=2
	s_or_b64 exec, exec, s[22:23]
	v_lshrrev_b64 v[6:7], 20, v[18:19]
	v_cmp_gt_i32_e32 vcc, 16, v5
	v_cndmask_b32_e32 v7, 0, v7, vcc
	v_cndmask_b32_e32 v6, 7, v6, vcc
	v_cmp_eq_u32_e32 vcc, 0, v5
	v_min_i32_e32 v5, 15, v5
	v_cmp_eq_u64_e64 s[22:23], 0, v[6:7]
	v_lshlrev_b32_e32 v5, 3, v5
	v_and_or_b32 v5, v6, 7, v5
	s_and_b64 s[22:23], vcc, s[22:23]
	v_cndmask_b32_e64 v5, v5, 0, s[22:23]
	v_or_b32_e32 v26, v5, v4
.LBB2_600:                              ;   in Loop: Header=BB2_124 Depth=2
	s_or_b64 exec, exec, s[60:61]
.LBB2_601:                              ;   in Loop: Header=BB2_124 Depth=2
	s_or_b64 exec, exec, s[58:59]
                                        ; implicit-def: $vgpr5
.LBB2_602:                              ;   in Loop: Header=BB2_124 Depth=2
	s_andn2_saveexec_b64 s[22:23], s[56:57]
; %bb.603:                              ;   in Loop: Header=BB2_124 Depth=2
	v_or_b32_sdwa v4, v5, s75 dst_sel:DWORD dst_unused:UNUSED_PAD src0_sel:BYTE_3 src1_sel:DWORD
	v_cmp_eq_u64_e32 vcc, 0, v[56:57]
	v_cndmask_b32_e32 v26, v4, v26, vcc
; %bb.604:                              ;   in Loop: Header=BB2_124 Depth=2
	s_or_b64 exec, exec, s[22:23]
	v_mov_b32_e32 v56, v15
	v_cmp_ne_u16_sdwa vcc, v15, v57 src0_sel:BYTE_0 src1_sel:DWORD
	v_mov_b32_e32 v5, 0
	v_mov_b32_e32 v4, 0
	s_and_saveexec_b64 s[22:23], vcc
	s_cbranch_execz .LBB2_610
; %bb.605:                              ;   in Loop: Header=BB2_124 Depth=2
	v_cmp_ne_u16_sdwa vcc, v15, s74 src0_sel:BYTE_0 src1_sel:DWORD
	v_bfrev_b32_e32 v4, 1
	s_and_saveexec_b64 s[56:57], vcc
	s_cbranch_execz .LBB2_609
; %bb.606:                              ;   in Loop: Header=BB2_124 Depth=2
	v_and_b32_e32 v18, 0x7f, v15
	v_cmp_ne_u32_e32 vcc, s75, v18
	v_mov_b32_e32 v4, 0x7f800001
	s_and_saveexec_b64 s[58:59], vcc
	s_cbranch_execz .LBB2_608
; %bb.607:                              ;   in Loop: Header=BB2_124 Depth=2
	v_and_b32_e32 v4, 7, v15
	v_ffbh_u32_e32 v4, v4
	v_min_u32_e32 v4, 32, v4
	v_lshrrev_b32_e32 v6, 3, v18
	v_subrev_u32_e32 v7, 28, v4
	v_sub_u32_e32 v4, 29, v4
	v_cmp_gt_u32_e32 vcc, 8, v18
	v_cndmask_b32_e32 v4, v6, v4, vcc
	v_cndmask_b32_e32 v6, 0, v7, vcc
	v_lshlrev_b64 v[6:7], v6, v[56:57]
	v_lshlrev_b32_e32 v6, 20, v6
	v_lshlrev_b32_e32 v7, 24, v56
	v_and_b32_e32 v6, 0x700000, v6
	v_and_b32_e32 v7, 0x80000000, v7
	v_lshl_add_u32 v4, v4, 23, v51
	v_or3_b32 v4, v7, v4, v6
.LBB2_608:                              ;   in Loop: Header=BB2_124 Depth=2
	s_or_b64 exec, exec, s[58:59]
.LBB2_609:                              ;   in Loop: Header=BB2_124 Depth=2
	s_or_b64 exec, exec, s[56:57]
.LBB2_610:                              ;   in Loop: Header=BB2_124 Depth=2
	s_or_b64 exec, exec, s[22:23]
	v_cmp_ne_u16_sdwa vcc, v11, v57 src0_sel:BYTE_0 src1_sel:DWORD
	s_and_saveexec_b64 s[22:23], vcc
	s_cbranch_execz .LBB2_616
; %bb.611:                              ;   in Loop: Header=BB2_124 Depth=2
	v_cmp_ne_u16_sdwa vcc, v11, s74 src0_sel:BYTE_0 src1_sel:DWORD
	v_bfrev_b32_e32 v5, 1
	s_and_saveexec_b64 s[56:57], vcc
	s_cbranch_execz .LBB2_615
; %bb.612:                              ;   in Loop: Header=BB2_124 Depth=2
	v_and_b32_e32 v18, 0x7f, v11
	v_cmp_ne_u32_e32 vcc, s75, v18
	v_mov_b32_e32 v5, 0x7f800001
	s_and_saveexec_b64 s[58:59], vcc
	s_cbranch_execz .LBB2_614
; %bb.613:                              ;   in Loop: Header=BB2_124 Depth=2
	v_and_b32_e32 v5, 7, v11
	v_ffbh_u32_e32 v5, v5
	v_min_u32_e32 v5, 32, v5
	v_lshrrev_b32_e32 v8, 3, v18
	v_subrev_u32_e32 v9, 28, v5
	v_sub_u32_e32 v5, 29, v5
	v_cmp_gt_u32_e32 vcc, 8, v18
	v_mov_b32_e32 v6, v11
	v_mov_b32_e32 v7, v57
	v_cndmask_b32_e32 v5, v8, v5, vcc
	v_cndmask_b32_e32 v8, 0, v9, vcc
	v_lshlrev_b64 v[8:9], v8, v[6:7]
	v_lshlrev_b32_e32 v7, 20, v8
	v_lshlrev_b32_e32 v6, 24, v6
	v_and_b32_e32 v7, 0x700000, v7
	v_and_b32_e32 v6, 0x80000000, v6
	v_lshl_add_u32 v5, v5, 23, v51
	v_or3_b32 v5, v6, v5, v7
.LBB2_614:                              ;   in Loop: Header=BB2_124 Depth=2
	s_or_b64 exec, exec, s[58:59]
.LBB2_615:                              ;   in Loop: Header=BB2_124 Depth=2
	s_or_b64 exec, exec, s[56:57]
.LBB2_616:                              ;   in Loop: Header=BB2_124 Depth=2
	s_or_b64 exec, exec, s[22:23]
	v_add_f32_e32 v5, v4, v5
	v_and_b32_sdwa v4, v5, s74 dst_sel:DWORD dst_unused:UNUSED_PAD src0_sel:BYTE_3 src1_sel:DWORD
	v_and_b32_e32 v6, 0x7f800000, v5
	v_mov_b32_e32 v7, v57
	v_and_b32_e32 v18, 0x7fffff, v5
	v_mov_b32_e32 v19, v57
	v_or_b32_e32 v27, 0x7e, v4
	v_cmp_ne_u64_e32 vcc, s[42:43], v[6:7]
	s_and_saveexec_b64 s[22:23], vcc
	s_xor_b64 s[56:57], exec, s[22:23]
	s_cbranch_execz .LBB2_626
; %bb.617:                              ;   in Loop: Header=BB2_124 Depth=2
	v_and_b32_e32 v6, 0x7fffffff, v5
	v_mov_b32_e32 v7, v57
	v_cmp_gt_u64_e32 vcc, s[44:45], v[6:7]
	s_and_saveexec_b64 s[58:59], vcc
	s_cbranch_execz .LBB2_625
; %bb.618:                              ;   in Loop: Header=BB2_124 Depth=2
	v_cmp_ne_u32_e32 vcc, 0, v5
	v_mov_b32_e32 v27, 0
	s_and_saveexec_b64 s[60:61], vcc
	s_cbranch_execz .LBB2_624
; %bb.619:                              ;   in Loop: Header=BB2_124 Depth=2
	v_bfe_u32 v5, v5, 23, 8
	v_sub_u32_e32 v7, 0x79, v5
	v_cmp_gt_u32_e32 vcc, s76, v5
	v_add_u32_e32 v6, 0xffffff81, v5
	v_cndmask_b32_e32 v7, 0, v7, vcc
	v_cmp_eq_u32_e32 vcc, 0, v5
	v_mov_b32_e32 v5, 0xffffff82
	v_cndmask_b32_e32 v5, v6, v5, vcc
	v_mov_b32_e32 v6, 0x78
	v_cndmask_b32_e32 v20, v7, v6, vcc
	v_add_u32_e32 v6, 20, v20
	v_or_b32_e32 v8, 0x800000, v18
	v_lshlrev_b64 v[6:7], v6, -1
	v_cndmask_b32_e32 v18, v8, v18, vcc
	v_not_b32_e32 v6, v6
	v_and_b32_e32 v6, v18, v6
	v_lshrrev_b64 v[18:19], v20, v[18:19]
	v_not_b32_e32 v7, v7
	v_add_u32_e32 v8, 19, v20
	v_lshrrev_b32_e32 v27, 23, v18
	v_and_b32_e32 v7, 0, v7
	v_lshlrev_b64 v[8:9], v8, 1
	v_add3_u32 v27, v20, v5, v27
	v_bfe_u32 v5, v18, 20, 1
	v_add_u32_e32 v5, -1, v5
	v_cmp_eq_u64_e32 vcc, v[6:7], v[8:9]
	v_cndmask_b32_e32 v5, 0, v5, vcc
	v_add_u32_e32 v5, v5, v18
	v_and_b32_e32 v5, 0xfffff, v5
	v_add_co_u32_e32 v18, vcc, v5, v18
	v_add_u32_e32 v20, 6, v27
	v_addc_co_u32_e32 v19, vcc, 0, v19, vcc
	v_cmp_ne_u32_e32 vcc, 0, v20
                                        ; implicit-def: $vgpr5
	s_and_saveexec_b64 s[22:23], vcc
	s_xor_b64 s[22:23], exec, s[22:23]
; %bb.620:                              ;   in Loop: Header=BB2_124 Depth=2
	v_cmp_lt_u64_e32 vcc, s[48:49], v[18:19]
	v_add_u32_e32 v5, 7, v27
	v_cndmask_b32_e64 v6, 0, 1, vcc
	v_cndmask_b32_e32 v5, v20, v5, vcc
	v_lshrrev_b64 v[18:19], v6, v[18:19]
; %bb.621:                              ;   in Loop: Header=BB2_124 Depth=2
	s_andn2_saveexec_b64 s[22:23], s[22:23]
; %bb.622:                              ;   in Loop: Header=BB2_124 Depth=2
	v_bfe_u32 v5, v18, 23, 1
; %bb.623:                              ;   in Loop: Header=BB2_124 Depth=2
	s_or_b64 exec, exec, s[22:23]
	v_lshrrev_b64 v[6:7], 20, v[18:19]
	v_cmp_gt_i32_e32 vcc, 16, v5
	v_cndmask_b32_e32 v7, 0, v7, vcc
	v_cndmask_b32_e32 v6, 7, v6, vcc
	v_cmp_eq_u32_e32 vcc, 0, v5
	v_min_i32_e32 v5, 15, v5
	v_cmp_eq_u64_e64 s[22:23], 0, v[6:7]
	v_lshlrev_b32_e32 v5, 3, v5
	v_and_or_b32 v5, v6, 7, v5
	s_and_b64 s[22:23], vcc, s[22:23]
	v_cndmask_b32_e64 v5, v5, 0, s[22:23]
	v_or_b32_e32 v27, v5, v4
.LBB2_624:                              ;   in Loop: Header=BB2_124 Depth=2
	s_or_b64 exec, exec, s[60:61]
.LBB2_625:                              ;   in Loop: Header=BB2_124 Depth=2
	s_or_b64 exec, exec, s[58:59]
                                        ; implicit-def: $vgpr5
                                        ; implicit-def: $vgpr18_vgpr19
.LBB2_626:                              ;   in Loop: Header=BB2_124 Depth=2
	s_andn2_saveexec_b64 s[22:23], s[56:57]
; %bb.627:                              ;   in Loop: Header=BB2_124 Depth=2
	v_or_b32_sdwa v4, v5, s75 dst_sel:DWORD dst_unused:UNUSED_PAD src0_sel:BYTE_3 src1_sel:DWORD
	v_cmp_eq_u64_e32 vcc, 0, v[18:19]
	v_cndmask_b32_e32 v27, v4, v27, vcc
; %bb.628:                              ;   in Loop: Header=BB2_124 Depth=2
	s_or_b64 exec, exec, s[22:23]
	v_lshrrev_b16_e32 v18, 8, v56
	v_cmp_ne_u16_e32 vcc, 0, v18
	v_mov_b32_e32 v4, 0
	v_mov_b32_e32 v5, 0
	s_and_saveexec_b64 s[22:23], vcc
	s_cbranch_execz .LBB2_634
; %bb.629:                              ;   in Loop: Header=BB2_124 Depth=2
	v_cmp_ne_u16_e32 vcc, s74, v18
	v_bfrev_b32_e32 v5, 1
	s_and_saveexec_b64 s[56:57], vcc
	s_cbranch_execz .LBB2_633
; %bb.630:                              ;   in Loop: Header=BB2_124 Depth=2
	v_and_b32_e32 v19, 0x7f, v18
	v_cmp_ne_u32_e32 vcc, s75, v19
	v_mov_b32_e32 v5, 0x7f800001
	s_and_saveexec_b64 s[58:59], vcc
	s_cbranch_execz .LBB2_632
; %bb.631:                              ;   in Loop: Header=BB2_124 Depth=2
	v_and_b32_e32 v5, 7, v18
	v_ffbh_u32_e32 v6, v5
	v_min_u32_e32 v9, 32, v6
	v_subrev_u32_e32 v6, 28, v9
	v_lshlrev_b64 v[6:7], v6, v[18:19]
	v_lshrrev_b32_e32 v8, 3, v19
	v_sub_u32_e32 v7, 29, v9
	v_and_b32_e32 v6, 7, v6
	v_cmp_gt_u32_e32 vcc, 8, v19
	v_cndmask_b32_e32 v7, v8, v7, vcc
	v_cndmask_b32_e32 v5, v5, v6, vcc
	v_lshlrev_b32_e32 v6, 16, v56
	v_lshlrev_b32_e32 v5, 20, v5
	v_and_b32_e32 v6, 0x80000000, v6
	v_lshl_add_u32 v7, v7, 23, v51
	v_or3_b32 v5, v6, v7, v5
.LBB2_632:                              ;   in Loop: Header=BB2_124 Depth=2
	s_or_b64 exec, exec, s[58:59]
.LBB2_633:                              ;   in Loop: Header=BB2_124 Depth=2
	s_or_b64 exec, exec, s[56:57]
.LBB2_634:                              ;   in Loop: Header=BB2_124 Depth=2
	s_or_b64 exec, exec, s[22:23]
	v_mov_b32_e32 v18, v11
	v_lshrrev_b16_e32 v20, 8, v18
	v_cmp_ne_u16_e32 vcc, 0, v20
	s_and_saveexec_b64 s[22:23], vcc
	s_cbranch_execz .LBB2_640
; %bb.635:                              ;   in Loop: Header=BB2_124 Depth=2
	v_cmp_ne_u16_e32 vcc, s74, v20
	v_bfrev_b32_e32 v4, 1
	s_and_saveexec_b64 s[56:57], vcc
	s_cbranch_execz .LBB2_639
; %bb.636:                              ;   in Loop: Header=BB2_124 Depth=2
	v_and_b32_e32 v19, 0x7f, v20
	v_cmp_ne_u32_e32 vcc, s75, v19
	v_mov_b32_e32 v4, 0x7f800001
	s_and_saveexec_b64 s[58:59], vcc
	s_cbranch_execz .LBB2_638
; %bb.637:                              ;   in Loop: Header=BB2_124 Depth=2
	v_and_b32_e32 v4, 7, v20
	v_ffbh_u32_e32 v6, v4
	v_min_u32_e32 v9, 32, v6
	v_subrev_u32_e32 v6, 28, v9
	v_lshlrev_b64 v[6:7], v6, v[20:21]
	v_lshrrev_b32_e32 v8, 3, v19
	v_sub_u32_e32 v7, 29, v9
	v_and_b32_e32 v6, 7, v6
	v_cmp_gt_u32_e32 vcc, 8, v19
	v_cndmask_b32_e32 v7, v8, v7, vcc
	v_cndmask_b32_e32 v4, v4, v6, vcc
	v_lshlrev_b32_e32 v6, 16, v18
	v_lshlrev_b32_e32 v4, 20, v4
	v_and_b32_e32 v6, 0x80000000, v6
	v_lshl_add_u32 v7, v7, 23, v51
	v_or3_b32 v4, v6, v7, v4
.LBB2_638:                              ;   in Loop: Header=BB2_124 Depth=2
	s_or_b64 exec, exec, s[58:59]
.LBB2_639:                              ;   in Loop: Header=BB2_124 Depth=2
	s_or_b64 exec, exec, s[56:57]
.LBB2_640:                              ;   in Loop: Header=BB2_124 Depth=2
	s_or_b64 exec, exec, s[22:23]
	v_add_f32_e32 v5, v5, v4
	v_and_b32_sdwa v4, v5, s74 dst_sel:DWORD dst_unused:UNUSED_PAD src0_sel:BYTE_3 src1_sel:DWORD
	v_and_b32_e32 v6, 0x7f800000, v5
	v_mov_b32_e32 v7, v57
	v_and_b32_e32 v56, 0x7fffff, v5
	v_or_b32_e32 v20, 0x7e, v4
	v_cmp_ne_u64_e32 vcc, s[42:43], v[6:7]
	s_and_saveexec_b64 s[22:23], vcc
	s_xor_b64 s[56:57], exec, s[22:23]
	s_cbranch_execz .LBB2_650
; %bb.641:                              ;   in Loop: Header=BB2_124 Depth=2
	v_and_b32_e32 v6, 0x7fffffff, v5
	v_mov_b32_e32 v7, v57
	v_cmp_gt_u64_e32 vcc, s[44:45], v[6:7]
	s_and_saveexec_b64 s[58:59], vcc
	s_cbranch_execz .LBB2_649
; %bb.642:                              ;   in Loop: Header=BB2_124 Depth=2
	v_cmp_ne_u32_e32 vcc, 0, v5
	v_mov_b32_e32 v20, 0
	s_and_saveexec_b64 s[60:61], vcc
	s_cbranch_execz .LBB2_648
; %bb.643:                              ;   in Loop: Header=BB2_124 Depth=2
	v_bfe_u32 v5, v5, 23, 8
	v_sub_u32_e32 v7, 0x79, v5
	v_cmp_gt_u32_e32 vcc, s76, v5
	v_add_u32_e32 v6, 0xffffff81, v5
	v_cndmask_b32_e32 v7, 0, v7, vcc
	v_cmp_eq_u32_e32 vcc, 0, v5
	v_mov_b32_e32 v5, 0xffffff82
	v_cndmask_b32_e32 v5, v6, v5, vcc
	v_mov_b32_e32 v6, 0x78
	v_or_b32_e32 v8, 0x800000, v56
	v_cndmask_b32_e32 v20, v7, v6, vcc
	v_cndmask_b32_e32 v56, v8, v56, vcc
	v_add_u32_e32 v6, 20, v20
	v_lshlrev_b64 v[6:7], v6, -1
	v_lshrrev_b64 v[18:19], v20, v[56:57]
	v_not_b32_e32 v7, v7
	v_not_b32_e32 v6, v6
	v_add_u32_e32 v8, 19, v20
	v_lshrrev_b32_e32 v29, 23, v18
	v_and_b32_e32 v7, 0, v7
	v_and_b32_e32 v6, v56, v6
	v_lshlrev_b64 v[8:9], v8, 1
	v_add3_u32 v30, v20, v5, v29
	v_bfe_u32 v5, v18, 20, 1
	v_add_u32_e32 v5, -1, v5
	v_cmp_eq_u64_e32 vcc, v[6:7], v[8:9]
	v_cndmask_b32_e32 v5, 0, v5, vcc
	v_add_u32_e32 v5, v5, v18
	v_and_b32_e32 v5, 0xfffff, v5
	v_add_co_u32_e32 v18, vcc, v5, v18
	v_add_u32_e32 v20, 6, v30
	v_addc_co_u32_e32 v19, vcc, 0, v19, vcc
	v_cmp_ne_u32_e32 vcc, 0, v20
                                        ; implicit-def: $vgpr5
	s_and_saveexec_b64 s[22:23], vcc
	s_xor_b64 s[22:23], exec, s[22:23]
; %bb.644:                              ;   in Loop: Header=BB2_124 Depth=2
	v_cmp_lt_u64_e32 vcc, s[48:49], v[18:19]
	v_add_u32_e32 v5, 7, v30
	v_cndmask_b32_e64 v6, 0, 1, vcc
	v_cndmask_b32_e32 v5, v20, v5, vcc
	v_lshrrev_b64 v[18:19], v6, v[18:19]
; %bb.645:                              ;   in Loop: Header=BB2_124 Depth=2
	s_andn2_saveexec_b64 s[22:23], s[22:23]
; %bb.646:                              ;   in Loop: Header=BB2_124 Depth=2
	v_bfe_u32 v5, v18, 23, 1
; %bb.647:                              ;   in Loop: Header=BB2_124 Depth=2
	s_or_b64 exec, exec, s[22:23]
	v_lshrrev_b64 v[6:7], 20, v[18:19]
	v_cmp_gt_i32_e32 vcc, 16, v5
	v_cndmask_b32_e32 v7, 0, v7, vcc
	v_cndmask_b32_e32 v6, 7, v6, vcc
	v_cmp_eq_u32_e32 vcc, 0, v5
	v_min_i32_e32 v5, 15, v5
	v_cmp_eq_u64_e64 s[22:23], 0, v[6:7]
	v_lshlrev_b32_e32 v5, 3, v5
	v_and_or_b32 v5, v6, 7, v5
	s_and_b64 s[22:23], vcc, s[22:23]
	v_cndmask_b32_e64 v5, v5, 0, s[22:23]
	v_or_b32_e32 v20, v5, v4
.LBB2_648:                              ;   in Loop: Header=BB2_124 Depth=2
	s_or_b64 exec, exec, s[60:61]
.LBB2_649:                              ;   in Loop: Header=BB2_124 Depth=2
	s_or_b64 exec, exec, s[58:59]
                                        ; implicit-def: $vgpr5
.LBB2_650:                              ;   in Loop: Header=BB2_124 Depth=2
	s_andn2_saveexec_b64 s[22:23], s[56:57]
; %bb.651:                              ;   in Loop: Header=BB2_124 Depth=2
	v_or_b32_sdwa v4, v5, s75 dst_sel:DWORD dst_unused:UNUSED_PAD src0_sel:BYTE_3 src1_sel:DWORD
	v_cmp_eq_u64_e32 vcc, 0, v[56:57]
	v_cndmask_b32_e32 v20, v4, v20, vcc
; %bb.652:                              ;   in Loop: Header=BB2_124 Depth=2
	s_or_b64 exec, exec, s[22:23]
	v_lshrrev_b32_e32 v18, 16, v15
	v_cmp_ne_u16_sdwa vcc, v18, v57 src0_sel:BYTE_0 src1_sel:DWORD
	v_mov_b32_e32 v4, 0
	v_mov_b32_e32 v5, 0
	s_and_saveexec_b64 s[22:23], vcc
	s_cbranch_execz .LBB2_658
; %bb.653:                              ;   in Loop: Header=BB2_124 Depth=2
	v_cmp_ne_u16_sdwa vcc, v18, s74 src0_sel:BYTE_0 src1_sel:DWORD
	v_bfrev_b32_e32 v5, 1
	s_and_saveexec_b64 s[56:57], vcc
	s_cbranch_execz .LBB2_657
; %bb.654:                              ;   in Loop: Header=BB2_124 Depth=2
	v_bfe_u32 v19, v15, 16, 7
	v_cmp_ne_u32_e32 vcc, s75, v19
	v_mov_b32_e32 v5, 0x7f800001
	s_and_saveexec_b64 s[58:59], vcc
	s_cbranch_execz .LBB2_656
; %bb.655:                              ;   in Loop: Header=BB2_124 Depth=2
	v_and_b32_e32 v5, 7, v18
	v_ffbh_u32_e32 v6, v5
	v_min_u32_e32 v9, 32, v6
	v_subrev_u32_e32 v6, 28, v9
	v_lshlrev_b64 v[6:7], v6, v[18:19]
	v_lshrrev_b32_e32 v8, 3, v19
	v_sub_u32_e32 v7, 29, v9
	v_and_b32_e32 v6, 7, v6
	v_cmp_gt_u32_e32 vcc, 8, v19
	v_cndmask_b32_e32 v7, v8, v7, vcc
	v_cndmask_b32_e32 v5, v5, v6, vcc
	v_lshlrev_b32_e32 v6, 24, v18
	v_lshlrev_b32_e32 v5, 20, v5
	v_and_b32_e32 v6, 0x80000000, v6
	v_lshl_add_u32 v7, v7, 23, v51
	v_or3_b32 v5, v6, v7, v5
.LBB2_656:                              ;   in Loop: Header=BB2_124 Depth=2
	s_or_b64 exec, exec, s[58:59]
.LBB2_657:                              ;   in Loop: Header=BB2_124 Depth=2
	s_or_b64 exec, exec, s[56:57]
.LBB2_658:                              ;   in Loop: Header=BB2_124 Depth=2
	s_or_b64 exec, exec, s[22:23]
	v_lshrrev_b32_e32 v18, 16, v11
	v_cmp_ne_u16_sdwa vcc, v18, v57 src0_sel:BYTE_0 src1_sel:DWORD
	s_and_saveexec_b64 s[22:23], vcc
	s_cbranch_execz .LBB2_664
; %bb.659:                              ;   in Loop: Header=BB2_124 Depth=2
	v_cmp_ne_u16_sdwa vcc, v18, s74 src0_sel:BYTE_0 src1_sel:DWORD
	v_bfrev_b32_e32 v4, 1
	s_and_saveexec_b64 s[56:57], vcc
	s_cbranch_execz .LBB2_663
; %bb.660:                              ;   in Loop: Header=BB2_124 Depth=2
	v_bfe_u32 v19, v11, 16, 7
	v_cmp_ne_u32_e32 vcc, s75, v19
	v_mov_b32_e32 v4, 0x7f800001
	s_and_saveexec_b64 s[58:59], vcc
	s_cbranch_execz .LBB2_662
; %bb.661:                              ;   in Loop: Header=BB2_124 Depth=2
	v_and_b32_e32 v4, 7, v18
	v_ffbh_u32_e32 v6, v4
	v_min_u32_e32 v9, 32, v6
	v_subrev_u32_e32 v6, 28, v9
	v_lshlrev_b64 v[6:7], v6, v[18:19]
	v_lshrrev_b32_e32 v8, 3, v19
	v_sub_u32_e32 v7, 29, v9
	v_and_b32_e32 v6, 7, v6
	v_cmp_gt_u32_e32 vcc, 8, v19
	v_cndmask_b32_e32 v7, v8, v7, vcc
	v_cndmask_b32_e32 v4, v4, v6, vcc
	v_lshlrev_b32_e32 v6, 8, v11
	v_lshlrev_b32_e32 v4, 20, v4
	v_and_b32_e32 v6, 0x80000000, v6
	v_lshl_add_u32 v7, v7, 23, v51
	v_or3_b32 v4, v6, v7, v4
.LBB2_662:                              ;   in Loop: Header=BB2_124 Depth=2
	s_or_b64 exec, exec, s[58:59]
.LBB2_663:                              ;   in Loop: Header=BB2_124 Depth=2
	s_or_b64 exec, exec, s[56:57]
.LBB2_664:                              ;   in Loop: Header=BB2_124 Depth=2
	s_or_b64 exec, exec, s[22:23]
	v_add_f32_e32 v5, v5, v4
	v_and_b32_sdwa v4, v5, s74 dst_sel:DWORD dst_unused:UNUSED_PAD src0_sel:BYTE_3 src1_sel:DWORD
	v_and_b32_e32 v6, 0x7f800000, v5
	v_mov_b32_e32 v7, v57
	v_and_b32_e32 v56, 0x7fffff, v5
	v_or_b32_e32 v18, 0x7e, v4
	v_cmp_ne_u64_e32 vcc, s[42:43], v[6:7]
	s_and_saveexec_b64 s[22:23], vcc
	s_xor_b64 s[56:57], exec, s[22:23]
	s_cbranch_execz .LBB2_674
; %bb.665:                              ;   in Loop: Header=BB2_124 Depth=2
	v_and_b32_e32 v6, 0x7fffffff, v5
	v_mov_b32_e32 v7, v57
	v_cmp_gt_u64_e32 vcc, s[44:45], v[6:7]
	s_and_saveexec_b64 s[58:59], vcc
	s_cbranch_execz .LBB2_673
; %bb.666:                              ;   in Loop: Header=BB2_124 Depth=2
	v_cmp_ne_u32_e32 vcc, 0, v5
	v_mov_b32_e32 v18, 0
	s_and_saveexec_b64 s[60:61], vcc
	s_cbranch_execz .LBB2_672
; %bb.667:                              ;   in Loop: Header=BB2_124 Depth=2
	v_bfe_u32 v5, v5, 23, 8
	v_sub_u32_e32 v7, 0x79, v5
	v_cmp_gt_u32_e32 vcc, s76, v5
	v_add_u32_e32 v6, 0xffffff81, v5
	v_cndmask_b32_e32 v7, 0, v7, vcc
	v_cmp_eq_u32_e32 vcc, 0, v5
	v_mov_b32_e32 v5, 0xffffff82
	v_cndmask_b32_e32 v5, v6, v5, vcc
	v_mov_b32_e32 v6, 0x78
	v_or_b32_e32 v8, 0x800000, v56
	v_cndmask_b32_e32 v29, v7, v6, vcc
	v_cndmask_b32_e32 v56, v8, v56, vcc
	v_add_u32_e32 v6, 20, v29
	v_lshlrev_b64 v[6:7], v6, -1
	v_lshrrev_b64 v[18:19], v29, v[56:57]
	v_not_b32_e32 v7, v7
	v_not_b32_e32 v6, v6
	v_add_u32_e32 v8, 19, v29
	v_lshrrev_b32_e32 v30, 23, v18
	v_and_b32_e32 v7, 0, v7
	v_and_b32_e32 v6, v56, v6
	v_lshlrev_b64 v[8:9], v8, 1
	v_add3_u32 v48, v29, v5, v30
	v_bfe_u32 v5, v18, 20, 1
	v_add_u32_e32 v5, -1, v5
	v_cmp_eq_u64_e32 vcc, v[6:7], v[8:9]
	v_cndmask_b32_e32 v5, 0, v5, vcc
	v_add_u32_e32 v5, v5, v18
	v_and_b32_e32 v5, 0xfffff, v5
	v_add_co_u32_e32 v18, vcc, v5, v18
	v_add_u32_e32 v30, 6, v48
	v_addc_co_u32_e32 v19, vcc, 0, v19, vcc
	v_cmp_ne_u32_e32 vcc, 0, v30
                                        ; implicit-def: $vgpr5
	s_and_saveexec_b64 s[22:23], vcc
	s_xor_b64 s[22:23], exec, s[22:23]
; %bb.668:                              ;   in Loop: Header=BB2_124 Depth=2
	v_cmp_lt_u64_e32 vcc, s[48:49], v[18:19]
	v_add_u32_e32 v5, 7, v48
	v_cndmask_b32_e64 v6, 0, 1, vcc
	v_cndmask_b32_e32 v5, v30, v5, vcc
	v_lshrrev_b64 v[18:19], v6, v[18:19]
; %bb.669:                              ;   in Loop: Header=BB2_124 Depth=2
	s_andn2_saveexec_b64 s[22:23], s[22:23]
; %bb.670:                              ;   in Loop: Header=BB2_124 Depth=2
	v_bfe_u32 v5, v18, 23, 1
; %bb.671:                              ;   in Loop: Header=BB2_124 Depth=2
	s_or_b64 exec, exec, s[22:23]
	v_lshrrev_b64 v[6:7], 20, v[18:19]
	v_cmp_gt_i32_e32 vcc, 16, v5
	v_cndmask_b32_e32 v7, 0, v7, vcc
	v_cndmask_b32_e32 v6, 7, v6, vcc
	v_cmp_eq_u32_e32 vcc, 0, v5
	v_min_i32_e32 v5, 15, v5
	v_lshlrev_b32_e32 v5, 3, v5
	v_cmp_eq_u64_e64 s[22:23], 0, v[6:7]
	v_and_b32_e32 v5, 0xf8, v5
	v_and_or_b32 v5, v6, 7, v5
	s_and_b64 s[22:23], vcc, s[22:23]
	v_cndmask_b32_e64 v5, v5, 0, s[22:23]
	v_or_b32_e32 v18, v5, v4
.LBB2_672:                              ;   in Loop: Header=BB2_124 Depth=2
	s_or_b64 exec, exec, s[60:61]
.LBB2_673:                              ;   in Loop: Header=BB2_124 Depth=2
	s_or_b64 exec, exec, s[58:59]
                                        ; implicit-def: $vgpr5
.LBB2_674:                              ;   in Loop: Header=BB2_124 Depth=2
	s_andn2_saveexec_b64 s[22:23], s[56:57]
; %bb.675:                              ;   in Loop: Header=BB2_124 Depth=2
	v_or_b32_sdwa v4, v5, s75 dst_sel:DWORD dst_unused:UNUSED_PAD src0_sel:BYTE_3 src1_sel:DWORD
	v_cmp_eq_u64_e32 vcc, 0, v[56:57]
	v_cndmask_b32_e32 v18, v4, v18, vcc
; %bb.676:                              ;   in Loop: Header=BB2_124 Depth=2
	s_or_b64 exec, exec, s[22:23]
	v_cmp_lt_u64_e32 vcc, s[46:47], v[14:15]
	v_mov_b32_e32 v4, 0
	v_mov_b32_e32 v5, 0
	s_and_saveexec_b64 s[22:23], vcc
	s_cbranch_execz .LBB2_682
; %bb.677:                              ;   in Loop: Header=BB2_124 Depth=2
	v_lshrrev_b32_e32 v14, 24, v15
	v_cmp_ne_u32_e32 vcc, s74, v14
	v_bfrev_b32_e32 v5, 1
	s_and_saveexec_b64 s[56:57], vcc
	s_cbranch_execz .LBB2_681
; %bb.678:                              ;   in Loop: Header=BB2_124 Depth=2
	v_bfe_u32 v15, v15, 24, 7
	v_cmp_ne_u32_e32 vcc, s75, v15
	v_mov_b32_e32 v5, 0x7f800001
	s_and_saveexec_b64 s[58:59], vcc
	s_cbranch_execz .LBB2_680
; %bb.679:                              ;   in Loop: Header=BB2_124 Depth=2
	v_and_b32_e32 v5, 7, v14
	v_ffbh_u32_e32 v6, v5
	v_min_u32_e32 v9, 32, v6
	v_subrev_u32_e32 v6, 28, v9
	v_lshlrev_b64 v[6:7], v6, v[14:15]
	v_lshrrev_b32_e32 v8, 3, v15
	v_sub_u32_e32 v7, 29, v9
	v_and_b32_e32 v6, 7, v6
	v_cmp_gt_u32_e32 vcc, 8, v15
	v_cndmask_b32_e32 v7, v8, v7, vcc
	v_cndmask_b32_e32 v5, v5, v6, vcc
	v_lshlrev_b32_e32 v6, 24, v14
	v_lshlrev_b32_e32 v5, 20, v5
	v_and_b32_e32 v6, 0x80000000, v6
	v_lshl_add_u32 v7, v7, 23, v51
	v_or3_b32 v5, v6, v7, v5
.LBB2_680:                              ;   in Loop: Header=BB2_124 Depth=2
	s_or_b64 exec, exec, s[58:59]
.LBB2_681:                              ;   in Loop: Header=BB2_124 Depth=2
	s_or_b64 exec, exec, s[56:57]
.LBB2_682:                              ;   in Loop: Header=BB2_124 Depth=2
	s_or_b64 exec, exec, s[22:23]
	v_cmp_lt_u64_e32 vcc, s[46:47], v[10:11]
	s_and_saveexec_b64 s[22:23], vcc
	s_cbranch_execz .LBB2_688
; %bb.683:                              ;   in Loop: Header=BB2_124 Depth=2
	v_lshrrev_b32_e32 v10, 24, v11
	v_cmp_ne_u32_e32 vcc, s74, v10
	v_bfrev_b32_e32 v4, 1
	s_and_saveexec_b64 s[56:57], vcc
	s_cbranch_execz .LBB2_687
; %bb.684:                              ;   in Loop: Header=BB2_124 Depth=2
	v_bfe_u32 v11, v11, 24, 7
	v_cmp_ne_u32_e32 vcc, s75, v11
	v_mov_b32_e32 v4, 0x7f800001
	s_and_saveexec_b64 s[58:59], vcc
	s_cbranch_execz .LBB2_686
; %bb.685:                              ;   in Loop: Header=BB2_124 Depth=2
	v_and_b32_e32 v4, 7, v10
	v_ffbh_u32_e32 v6, v4
	v_min_u32_e32 v9, 32, v6
	v_subrev_u32_e32 v6, 28, v9
	v_lshlrev_b64 v[6:7], v6, v[10:11]
	v_lshrrev_b32_e32 v8, 3, v11
	v_sub_u32_e32 v7, 29, v9
	v_and_b32_e32 v6, 7, v6
	v_cmp_gt_u32_e32 vcc, 8, v11
	v_cndmask_b32_e32 v7, v8, v7, vcc
	v_cndmask_b32_e32 v4, v4, v6, vcc
	v_lshlrev_b32_e32 v6, 24, v10
	v_lshlrev_b32_e32 v4, 20, v4
	v_and_b32_e32 v6, 0x80000000, v6
	v_lshl_add_u32 v7, v7, 23, v51
	v_or3_b32 v4, v6, v7, v4
.LBB2_686:                              ;   in Loop: Header=BB2_124 Depth=2
	s_or_b64 exec, exec, s[58:59]
.LBB2_687:                              ;   in Loop: Header=BB2_124 Depth=2
	s_or_b64 exec, exec, s[56:57]
.LBB2_688:                              ;   in Loop: Header=BB2_124 Depth=2
	s_or_b64 exec, exec, s[22:23]
	v_add_f32_e32 v5, v5, v4
	v_and_b32_sdwa v4, v5, s74 dst_sel:DWORD dst_unused:UNUSED_PAD src0_sel:BYTE_3 src1_sel:DWORD
	v_and_b32_e32 v6, 0x7f800000, v5
	v_mov_b32_e32 v7, v57
	v_and_b32_e32 v56, 0x7fffff, v5
	v_or_b32_e32 v15, 0x7e, v4
	v_cmp_ne_u64_e32 vcc, s[42:43], v[6:7]
	s_and_saveexec_b64 s[22:23], vcc
	s_xor_b64 s[56:57], exec, s[22:23]
	s_cbranch_execz .LBB2_698
; %bb.689:                              ;   in Loop: Header=BB2_124 Depth=2
	v_and_b32_e32 v6, 0x7fffffff, v5
	v_mov_b32_e32 v7, v57
	v_cmp_gt_u64_e32 vcc, s[44:45], v[6:7]
	s_and_saveexec_b64 s[58:59], vcc
	s_cbranch_execz .LBB2_697
; %bb.690:                              ;   in Loop: Header=BB2_124 Depth=2
	v_cmp_ne_u32_e32 vcc, 0, v5
	v_mov_b32_e32 v15, 0
	s_and_saveexec_b64 s[60:61], vcc
	s_cbranch_execz .LBB2_696
; %bb.691:                              ;   in Loop: Header=BB2_124 Depth=2
	v_bfe_u32 v5, v5, 23, 8
	v_sub_u32_e32 v7, 0x79, v5
	v_cmp_gt_u32_e32 vcc, s76, v5
	v_add_u32_e32 v6, 0xffffff81, v5
	v_cndmask_b32_e32 v7, 0, v7, vcc
	v_cmp_eq_u32_e32 vcc, 0, v5
	v_mov_b32_e32 v5, 0xffffff82
	v_cndmask_b32_e32 v5, v6, v5, vcc
	v_mov_b32_e32 v6, 0x78
	v_or_b32_e32 v8, 0x800000, v56
	v_cndmask_b32_e32 v14, v7, v6, vcc
	v_cndmask_b32_e32 v56, v8, v56, vcc
	v_add_u32_e32 v6, 20, v14
	v_lshlrev_b64 v[6:7], v6, -1
	v_lshrrev_b64 v[10:11], v14, v[56:57]
	v_not_b32_e32 v7, v7
	v_not_b32_e32 v6, v6
	v_add_u32_e32 v8, 19, v14
	v_lshrrev_b32_e32 v15, 23, v10
	v_and_b32_e32 v7, 0, v7
	v_and_b32_e32 v6, v56, v6
	v_lshlrev_b64 v[8:9], v8, 1
	v_add3_u32 v15, v14, v5, v15
	v_bfe_u32 v5, v10, 20, 1
	v_add_u32_e32 v5, -1, v5
	v_cmp_eq_u64_e32 vcc, v[6:7], v[8:9]
	v_cndmask_b32_e32 v5, 0, v5, vcc
	v_add_u32_e32 v5, v5, v10
	v_and_b32_e32 v5, 0xfffff, v5
	v_add_co_u32_e32 v10, vcc, v5, v10
	v_add_u32_e32 v14, 6, v15
	v_addc_co_u32_e32 v11, vcc, 0, v11, vcc
	v_cmp_ne_u32_e32 vcc, 0, v14
                                        ; implicit-def: $vgpr5
	s_and_saveexec_b64 s[22:23], vcc
	s_xor_b64 s[22:23], exec, s[22:23]
; %bb.692:                              ;   in Loop: Header=BB2_124 Depth=2
	v_cmp_lt_u64_e32 vcc, s[48:49], v[10:11]
	v_add_u32_e32 v5, 7, v15
	v_cndmask_b32_e64 v6, 0, 1, vcc
	v_cndmask_b32_e32 v5, v14, v5, vcc
	v_lshrrev_b64 v[10:11], v6, v[10:11]
; %bb.693:                              ;   in Loop: Header=BB2_124 Depth=2
	s_andn2_saveexec_b64 s[22:23], s[22:23]
; %bb.694:                              ;   in Loop: Header=BB2_124 Depth=2
	v_bfe_u32 v5, v10, 23, 1
; %bb.695:                              ;   in Loop: Header=BB2_124 Depth=2
	s_or_b64 exec, exec, s[22:23]
	v_lshrrev_b64 v[6:7], 20, v[10:11]
	v_cmp_gt_i32_e32 vcc, 16, v5
	v_cndmask_b32_e32 v7, 0, v7, vcc
	v_cndmask_b32_e32 v6, 7, v6, vcc
	v_cmp_eq_u32_e32 vcc, 0, v5
	v_min_i32_e32 v5, 15, v5
	v_lshlrev_b32_e32 v5, 3, v5
	v_cmp_eq_u64_e64 s[22:23], 0, v[6:7]
	v_and_b32_e32 v5, 0xf8, v5
	v_and_or_b32 v5, v6, 7, v5
	s_and_b64 s[22:23], vcc, s[22:23]
	v_cndmask_b32_e64 v5, v5, 0, s[22:23]
	v_or_b32_e32 v15, v5, v4
.LBB2_696:                              ;   in Loop: Header=BB2_124 Depth=2
	s_or_b64 exec, exec, s[60:61]
.LBB2_697:                              ;   in Loop: Header=BB2_124 Depth=2
	s_or_b64 exec, exec, s[58:59]
                                        ; implicit-def: $vgpr5
.LBB2_698:                              ;   in Loop: Header=BB2_124 Depth=2
	s_andn2_saveexec_b64 s[22:23], s[56:57]
; %bb.699:                              ;   in Loop: Header=BB2_124 Depth=2
	v_or_b32_sdwa v4, v5, s75 dst_sel:DWORD dst_unused:UNUSED_PAD src0_sel:BYTE_3 src1_sel:DWORD
	v_cmp_eq_u64_e32 vcc, 0, v[56:57]
	v_cndmask_b32_e32 v15, v4, v15, vcc
; %bb.700:                              ;   in Loop: Header=BB2_124 Depth=2
	s_or_b64 exec, exec, s[22:23]
	v_cmp_ne_u16_sdwa vcc, v16, v57 src0_sel:BYTE_0 src1_sel:DWORD
	v_mov_b32_e32 v4, 0
	v_mov_b32_e32 v5, 0
	s_and_saveexec_b64 s[22:23], vcc
	s_cbranch_execz .LBB2_706
; %bb.701:                              ;   in Loop: Header=BB2_124 Depth=2
	v_cmp_ne_u16_sdwa vcc, v16, s74 src0_sel:BYTE_0 src1_sel:DWORD
	v_bfrev_b32_e32 v5, 1
	s_and_saveexec_b64 s[56:57], vcc
	s_cbranch_execz .LBB2_705
; %bb.702:                              ;   in Loop: Header=BB2_124 Depth=2
	v_and_b32_e32 v10, 0x7f, v16
	v_cmp_ne_u32_e32 vcc, s75, v10
	v_mov_b32_e32 v5, 0x7f800001
	s_and_saveexec_b64 s[58:59], vcc
	s_cbranch_execz .LBB2_704
; %bb.703:                              ;   in Loop: Header=BB2_124 Depth=2
	v_and_b32_e32 v5, 7, v16
	v_ffbh_u32_e32 v5, v5
	v_min_u32_e32 v5, 32, v5
	v_lshrrev_b32_e32 v6, 3, v10
	v_subrev_u32_e32 v7, 28, v5
	v_sub_u32_e32 v5, 29, v5
	v_cmp_gt_u32_e32 vcc, 8, v10
	v_cndmask_b32_e32 v5, v6, v5, vcc
	v_cndmask_b32_e32 v6, 0, v7, vcc
	v_lshlrev_b64 v[6:7], v6, v[16:17]
	v_lshlrev_b32_e32 v6, 20, v6
	v_lshlrev_b32_e32 v7, 24, v16
	v_and_b32_e32 v6, 0x700000, v6
	v_and_b32_e32 v7, 0x80000000, v7
	v_lshl_add_u32 v5, v5, 23, v51
	v_or3_b32 v5, v7, v5, v6
.LBB2_704:                              ;   in Loop: Header=BB2_124 Depth=2
	s_or_b64 exec, exec, s[58:59]
.LBB2_705:                              ;   in Loop: Header=BB2_124 Depth=2
	s_or_b64 exec, exec, s[56:57]
.LBB2_706:                              ;   in Loop: Header=BB2_124 Depth=2
	s_or_b64 exec, exec, s[22:23]
	v_cmp_ne_u16_sdwa vcc, v12, v57 src0_sel:BYTE_0 src1_sel:DWORD
	s_and_saveexec_b64 s[22:23], vcc
	s_cbranch_execz .LBB2_712
; %bb.707:                              ;   in Loop: Header=BB2_124 Depth=2
	v_cmp_ne_u16_sdwa vcc, v12, s74 src0_sel:BYTE_0 src1_sel:DWORD
	v_bfrev_b32_e32 v4, 1
	s_and_saveexec_b64 s[56:57], vcc
	s_cbranch_execz .LBB2_711
; %bb.708:                              ;   in Loop: Header=BB2_124 Depth=2
	v_and_b32_e32 v10, 0x7f, v12
	v_cmp_ne_u32_e32 vcc, s75, v10
	v_mov_b32_e32 v4, 0x7f800001
	s_and_saveexec_b64 s[58:59], vcc
	s_cbranch_execz .LBB2_710
; %bb.709:                              ;   in Loop: Header=BB2_124 Depth=2
	v_and_b32_e32 v4, 7, v12
	v_ffbh_u32_e32 v4, v4
	v_min_u32_e32 v4, 32, v4
	v_lshrrev_b32_e32 v6, 3, v10
	v_subrev_u32_e32 v7, 28, v4
	v_sub_u32_e32 v4, 29, v4
	v_cmp_gt_u32_e32 vcc, 8, v10
	v_cndmask_b32_e32 v4, v6, v4, vcc
	v_cndmask_b32_e32 v6, 0, v7, vcc
	v_lshlrev_b64 v[6:7], v6, v[12:13]
	v_lshlrev_b32_e32 v6, 20, v6
	v_lshlrev_b32_e32 v7, 24, v12
	v_and_b32_e32 v6, 0x700000, v6
	v_and_b32_e32 v7, 0x80000000, v7
	v_lshl_add_u32 v4, v4, 23, v51
	v_or3_b32 v4, v7, v4, v6
.LBB2_710:                              ;   in Loop: Header=BB2_124 Depth=2
	s_or_b64 exec, exec, s[58:59]
.LBB2_711:                              ;   in Loop: Header=BB2_124 Depth=2
	s_or_b64 exec, exec, s[56:57]
.LBB2_712:                              ;   in Loop: Header=BB2_124 Depth=2
	s_or_b64 exec, exec, s[22:23]
	v_add_f32_e32 v5, v5, v4
	v_and_b32_sdwa v4, v5, s74 dst_sel:DWORD dst_unused:UNUSED_PAD src0_sel:BYTE_3 src1_sel:DWORD
	v_and_b32_e32 v6, 0x7f800000, v5
	v_mov_b32_e32 v7, v57
	v_and_b32_e32 v56, 0x7fffff, v5
	v_or_b32_e32 v19, 0x7e, v4
	v_cmp_ne_u64_e32 vcc, s[42:43], v[6:7]
	s_and_saveexec_b64 s[22:23], vcc
	s_xor_b64 s[56:57], exec, s[22:23]
	s_cbranch_execz .LBB2_722
; %bb.713:                              ;   in Loop: Header=BB2_124 Depth=2
	v_and_b32_e32 v6, 0x7fffffff, v5
	v_mov_b32_e32 v7, v57
	v_cmp_gt_u64_e32 vcc, s[44:45], v[6:7]
	s_and_saveexec_b64 s[58:59], vcc
	s_cbranch_execz .LBB2_721
; %bb.714:                              ;   in Loop: Header=BB2_124 Depth=2
	v_cmp_ne_u32_e32 vcc, 0, v5
	v_mov_b32_e32 v19, 0
	s_and_saveexec_b64 s[60:61], vcc
	s_cbranch_execz .LBB2_720
; %bb.715:                              ;   in Loop: Header=BB2_124 Depth=2
	v_bfe_u32 v5, v5, 23, 8
	v_sub_u32_e32 v7, 0x79, v5
	v_cmp_gt_u32_e32 vcc, s76, v5
	v_add_u32_e32 v6, 0xffffff81, v5
	v_cndmask_b32_e32 v7, 0, v7, vcc
	v_cmp_eq_u32_e32 vcc, 0, v5
	v_mov_b32_e32 v5, 0xffffff82
	v_cndmask_b32_e32 v5, v6, v5, vcc
	v_mov_b32_e32 v6, 0x78
	v_or_b32_e32 v8, 0x800000, v56
	v_cndmask_b32_e32 v14, v7, v6, vcc
	v_cndmask_b32_e32 v56, v8, v56, vcc
	v_add_u32_e32 v6, 20, v14
	v_lshlrev_b64 v[6:7], v6, -1
	v_lshrrev_b64 v[10:11], v14, v[56:57]
	v_not_b32_e32 v7, v7
	v_not_b32_e32 v6, v6
	v_add_u32_e32 v8, 19, v14
	v_lshrrev_b32_e32 v19, 23, v10
	v_and_b32_e32 v7, 0, v7
	v_and_b32_e32 v6, v56, v6
	v_lshlrev_b64 v[8:9], v8, 1
	v_add3_u32 v19, v14, v5, v19
	v_bfe_u32 v5, v10, 20, 1
	v_add_u32_e32 v5, -1, v5
	v_cmp_eq_u64_e32 vcc, v[6:7], v[8:9]
	v_cndmask_b32_e32 v5, 0, v5, vcc
	v_add_u32_e32 v5, v5, v10
	v_and_b32_e32 v5, 0xfffff, v5
	v_add_co_u32_e32 v10, vcc, v5, v10
	v_add_u32_e32 v14, 6, v19
	v_addc_co_u32_e32 v11, vcc, 0, v11, vcc
	v_cmp_ne_u32_e32 vcc, 0, v14
                                        ; implicit-def: $vgpr5
	s_and_saveexec_b64 s[22:23], vcc
	s_xor_b64 s[22:23], exec, s[22:23]
; %bb.716:                              ;   in Loop: Header=BB2_124 Depth=2
	v_cmp_lt_u64_e32 vcc, s[48:49], v[10:11]
	v_add_u32_e32 v5, 7, v19
	v_cndmask_b32_e64 v6, 0, 1, vcc
	v_cndmask_b32_e32 v5, v14, v5, vcc
	v_lshrrev_b64 v[10:11], v6, v[10:11]
; %bb.717:                              ;   in Loop: Header=BB2_124 Depth=2
	s_andn2_saveexec_b64 s[22:23], s[22:23]
; %bb.718:                              ;   in Loop: Header=BB2_124 Depth=2
	v_bfe_u32 v5, v10, 23, 1
; %bb.719:                              ;   in Loop: Header=BB2_124 Depth=2
	s_or_b64 exec, exec, s[22:23]
	v_lshrrev_b64 v[6:7], 20, v[10:11]
	v_cmp_gt_i32_e32 vcc, 16, v5
	v_cndmask_b32_e32 v7, 0, v7, vcc
	v_cndmask_b32_e32 v6, 7, v6, vcc
	v_cmp_eq_u32_e32 vcc, 0, v5
	v_min_i32_e32 v5, 15, v5
	v_cmp_eq_u64_e64 s[22:23], 0, v[6:7]
	v_lshlrev_b32_e32 v5, 3, v5
	v_and_or_b32 v5, v6, 7, v5
	s_and_b64 s[22:23], vcc, s[22:23]
	v_cndmask_b32_e64 v5, v5, 0, s[22:23]
	v_or_b32_e32 v19, v5, v4
.LBB2_720:                              ;   in Loop: Header=BB2_124 Depth=2
	s_or_b64 exec, exec, s[60:61]
.LBB2_721:                              ;   in Loop: Header=BB2_124 Depth=2
	s_or_b64 exec, exec, s[58:59]
                                        ; implicit-def: $vgpr5
.LBB2_722:                              ;   in Loop: Header=BB2_124 Depth=2
	s_andn2_saveexec_b64 s[22:23], s[56:57]
; %bb.723:                              ;   in Loop: Header=BB2_124 Depth=2
	v_or_b32_sdwa v4, v5, s75 dst_sel:DWORD dst_unused:UNUSED_PAD src0_sel:BYTE_3 src1_sel:DWORD
	v_cmp_eq_u64_e32 vcc, 0, v[56:57]
	v_cndmask_b32_e32 v19, v4, v19, vcc
; %bb.724:                              ;   in Loop: Header=BB2_124 Depth=2
	s_or_b64 exec, exec, s[22:23]
	v_lshrrev_b16_e32 v10, 8, v16
	v_cmp_ne_u16_e32 vcc, 0, v10
	v_mov_b32_e32 v4, 0
	v_mov_b32_e32 v5, 0
	s_and_saveexec_b64 s[22:23], vcc
	s_cbranch_execz .LBB2_730
; %bb.725:                              ;   in Loop: Header=BB2_124 Depth=2
	v_cmp_ne_u16_e32 vcc, s74, v10
	v_bfrev_b32_e32 v5, 1
	s_and_saveexec_b64 s[56:57], vcc
	s_cbranch_execz .LBB2_729
; %bb.726:                              ;   in Loop: Header=BB2_124 Depth=2
	v_and_b32_e32 v11, 0x7f, v10
	v_cmp_ne_u32_e32 vcc, s75, v11
	v_mov_b32_e32 v5, 0x7f800001
	s_and_saveexec_b64 s[58:59], vcc
	s_cbranch_execz .LBB2_728
; %bb.727:                              ;   in Loop: Header=BB2_124 Depth=2
	v_and_b32_e32 v5, 7, v10
	v_ffbh_u32_e32 v6, v5
	v_min_u32_e32 v9, 32, v6
	v_subrev_u32_e32 v6, 28, v9
	v_lshlrev_b64 v[6:7], v6, v[10:11]
	v_lshrrev_b32_e32 v8, 3, v11
	v_sub_u32_e32 v7, 29, v9
	v_and_b32_e32 v6, 7, v6
	v_cmp_gt_u32_e32 vcc, 8, v11
	v_cndmask_b32_e32 v7, v8, v7, vcc
	v_cndmask_b32_e32 v5, v5, v6, vcc
	v_lshlrev_b32_e32 v6, 16, v16
	v_lshlrev_b32_e32 v5, 20, v5
	v_and_b32_e32 v6, 0x80000000, v6
	v_lshl_add_u32 v7, v7, 23, v51
	v_or3_b32 v5, v6, v7, v5
.LBB2_728:                              ;   in Loop: Header=BB2_124 Depth=2
	s_or_b64 exec, exec, s[58:59]
.LBB2_729:                              ;   in Loop: Header=BB2_124 Depth=2
	s_or_b64 exec, exec, s[56:57]
.LBB2_730:                              ;   in Loop: Header=BB2_124 Depth=2
	s_or_b64 exec, exec, s[22:23]
	v_lshrrev_b16_e32 v10, 8, v12
	v_cmp_ne_u16_e32 vcc, 0, v10
	s_and_saveexec_b64 s[22:23], vcc
	s_cbranch_execz .LBB2_736
; %bb.731:                              ;   in Loop: Header=BB2_124 Depth=2
	v_cmp_ne_u16_e32 vcc, s74, v10
	v_bfrev_b32_e32 v4, 1
	s_and_saveexec_b64 s[56:57], vcc
	s_cbranch_execz .LBB2_735
; %bb.732:                              ;   in Loop: Header=BB2_124 Depth=2
	v_and_b32_e32 v11, 0x7f, v10
	v_cmp_ne_u32_e32 vcc, s75, v11
	v_mov_b32_e32 v4, 0x7f800001
	s_and_saveexec_b64 s[58:59], vcc
	s_cbranch_execz .LBB2_734
; %bb.733:                              ;   in Loop: Header=BB2_124 Depth=2
	v_and_b32_e32 v4, 7, v10
	v_ffbh_u32_e32 v6, v4
	v_min_u32_e32 v9, 32, v6
	v_subrev_u32_e32 v6, 28, v9
	v_lshlrev_b64 v[6:7], v6, v[10:11]
	v_lshrrev_b32_e32 v8, 3, v11
	v_sub_u32_e32 v7, 29, v9
	v_and_b32_e32 v6, 7, v6
	v_cmp_gt_u32_e32 vcc, 8, v11
	v_cndmask_b32_e32 v7, v8, v7, vcc
	v_cndmask_b32_e32 v4, v4, v6, vcc
	v_lshlrev_b32_e32 v6, 16, v12
	v_lshlrev_b32_e32 v4, 20, v4
	v_and_b32_e32 v6, 0x80000000, v6
	v_lshl_add_u32 v7, v7, 23, v51
	v_or3_b32 v4, v6, v7, v4
.LBB2_734:                              ;   in Loop: Header=BB2_124 Depth=2
	s_or_b64 exec, exec, s[58:59]
.LBB2_735:                              ;   in Loop: Header=BB2_124 Depth=2
	s_or_b64 exec, exec, s[56:57]
.LBB2_736:                              ;   in Loop: Header=BB2_124 Depth=2
	s_or_b64 exec, exec, s[22:23]
	v_add_f32_e32 v5, v5, v4
	v_and_b32_sdwa v4, v5, s74 dst_sel:DWORD dst_unused:UNUSED_PAD src0_sel:BYTE_3 src1_sel:DWORD
	v_and_b32_e32 v6, 0x7f800000, v5
	v_mov_b32_e32 v7, v57
	v_and_b32_e32 v56, 0x7fffff, v5
	v_or_b32_e32 v53, 0x7e, v4
	v_cmp_ne_u64_e32 vcc, s[42:43], v[6:7]
	s_and_saveexec_b64 s[22:23], vcc
	s_xor_b64 s[56:57], exec, s[22:23]
	s_cbranch_execz .LBB2_746
; %bb.737:                              ;   in Loop: Header=BB2_124 Depth=2
	v_and_b32_e32 v6, 0x7fffffff, v5
	v_mov_b32_e32 v7, v57
	v_cmp_gt_u64_e32 vcc, s[44:45], v[6:7]
	s_and_saveexec_b64 s[58:59], vcc
	s_cbranch_execz .LBB2_745
; %bb.738:                              ;   in Loop: Header=BB2_124 Depth=2
	v_cmp_ne_u32_e32 vcc, 0, v5
	v_mov_b32_e32 v53, 0
	s_and_saveexec_b64 s[60:61], vcc
	s_cbranch_execz .LBB2_744
; %bb.739:                              ;   in Loop: Header=BB2_124 Depth=2
	v_bfe_u32 v5, v5, 23, 8
	v_sub_u32_e32 v7, 0x79, v5
	v_cmp_gt_u32_e32 vcc, s76, v5
	v_add_u32_e32 v6, 0xffffff81, v5
	v_cndmask_b32_e32 v7, 0, v7, vcc
	v_cmp_eq_u32_e32 vcc, 0, v5
	v_mov_b32_e32 v5, 0xffffff82
	v_cndmask_b32_e32 v5, v6, v5, vcc
	v_mov_b32_e32 v6, 0x78
	v_or_b32_e32 v8, 0x800000, v56
	v_cndmask_b32_e32 v14, v7, v6, vcc
	v_cndmask_b32_e32 v56, v8, v56, vcc
	v_add_u32_e32 v6, 20, v14
	v_lshlrev_b64 v[6:7], v6, -1
	v_lshrrev_b64 v[10:11], v14, v[56:57]
	v_not_b32_e32 v7, v7
	v_not_b32_e32 v6, v6
	v_add_u32_e32 v8, 19, v14
	v_lshrrev_b32_e32 v29, 23, v10
	v_and_b32_e32 v7, 0, v7
	v_and_b32_e32 v6, v56, v6
	v_lshlrev_b64 v[8:9], v8, 1
	v_add3_u32 v30, v14, v5, v29
	v_bfe_u32 v5, v10, 20, 1
	v_add_u32_e32 v5, -1, v5
	v_cmp_eq_u64_e32 vcc, v[6:7], v[8:9]
	v_cndmask_b32_e32 v5, 0, v5, vcc
	v_add_u32_e32 v5, v5, v10
	v_and_b32_e32 v5, 0xfffff, v5
	v_add_co_u32_e32 v10, vcc, v5, v10
	v_add_u32_e32 v14, 6, v30
	v_addc_co_u32_e32 v11, vcc, 0, v11, vcc
	v_cmp_ne_u32_e32 vcc, 0, v14
                                        ; implicit-def: $vgpr5
	s_and_saveexec_b64 s[22:23], vcc
	s_xor_b64 s[22:23], exec, s[22:23]
; %bb.740:                              ;   in Loop: Header=BB2_124 Depth=2
	v_cmp_lt_u64_e32 vcc, s[48:49], v[10:11]
	v_add_u32_e32 v5, 7, v30
	v_cndmask_b32_e64 v6, 0, 1, vcc
	v_cndmask_b32_e32 v5, v14, v5, vcc
	v_lshrrev_b64 v[10:11], v6, v[10:11]
; %bb.741:                              ;   in Loop: Header=BB2_124 Depth=2
	s_andn2_saveexec_b64 s[22:23], s[22:23]
; %bb.742:                              ;   in Loop: Header=BB2_124 Depth=2
	v_bfe_u32 v5, v10, 23, 1
; %bb.743:                              ;   in Loop: Header=BB2_124 Depth=2
	s_or_b64 exec, exec, s[22:23]
	v_lshrrev_b64 v[6:7], 20, v[10:11]
	v_cmp_gt_i32_e32 vcc, 16, v5
	v_cndmask_b32_e32 v7, 0, v7, vcc
	v_cndmask_b32_e32 v6, 7, v6, vcc
	v_cmp_eq_u32_e32 vcc, 0, v5
	v_min_i32_e32 v5, 15, v5
	v_cmp_eq_u64_e64 s[22:23], 0, v[6:7]
	v_lshlrev_b32_e32 v5, 3, v5
	v_and_or_b32 v5, v6, 7, v5
	s_and_b64 s[22:23], vcc, s[22:23]
	v_cndmask_b32_e64 v5, v5, 0, s[22:23]
	v_or_b32_e32 v53, v5, v4
.LBB2_744:                              ;   in Loop: Header=BB2_124 Depth=2
	s_or_b64 exec, exec, s[60:61]
.LBB2_745:                              ;   in Loop: Header=BB2_124 Depth=2
	s_or_b64 exec, exec, s[58:59]
                                        ; implicit-def: $vgpr5
.LBB2_746:                              ;   in Loop: Header=BB2_124 Depth=2
	s_andn2_saveexec_b64 s[22:23], s[56:57]
; %bb.747:                              ;   in Loop: Header=BB2_124 Depth=2
	v_or_b32_sdwa v4, v5, s75 dst_sel:DWORD dst_unused:UNUSED_PAD src0_sel:BYTE_3 src1_sel:DWORD
	v_cmp_eq_u64_e32 vcc, 0, v[56:57]
	v_cndmask_b32_e32 v53, v4, v53, vcc
; %bb.748:                              ;   in Loop: Header=BB2_124 Depth=2
	s_or_b64 exec, exec, s[22:23]
	v_lshrrev_b32_e32 v10, 16, v16
	v_cmp_ne_u16_sdwa vcc, v10, v57 src0_sel:BYTE_0 src1_sel:DWORD
	v_mov_b32_e32 v4, 0
	v_mov_b32_e32 v5, 0
	s_and_saveexec_b64 s[22:23], vcc
	s_cbranch_execz .LBB2_754
; %bb.749:                              ;   in Loop: Header=BB2_124 Depth=2
	v_cmp_ne_u16_sdwa vcc, v10, s74 src0_sel:BYTE_0 src1_sel:DWORD
	v_bfrev_b32_e32 v5, 1
	s_and_saveexec_b64 s[56:57], vcc
	s_cbranch_execz .LBB2_753
; %bb.750:                              ;   in Loop: Header=BB2_124 Depth=2
	v_bfe_u32 v11, v16, 16, 7
	v_cmp_ne_u32_e32 vcc, s75, v11
	v_mov_b32_e32 v5, 0x7f800001
	s_and_saveexec_b64 s[58:59], vcc
	s_cbranch_execz .LBB2_752
; %bb.751:                              ;   in Loop: Header=BB2_124 Depth=2
	v_and_b32_e32 v5, 7, v10
	v_ffbh_u32_e32 v6, v5
	v_min_u32_e32 v9, 32, v6
	v_subrev_u32_e32 v6, 28, v9
	v_lshlrev_b64 v[6:7], v6, v[10:11]
	v_lshrrev_b32_e32 v8, 3, v11
	v_sub_u32_e32 v7, 29, v9
	v_and_b32_e32 v6, 7, v6
	v_cmp_gt_u32_e32 vcc, 8, v11
	v_cndmask_b32_e32 v7, v8, v7, vcc
	v_cndmask_b32_e32 v5, v5, v6, vcc
	v_lshlrev_b32_e32 v6, 24, v10
	v_lshlrev_b32_e32 v5, 20, v5
	v_and_b32_e32 v6, 0x80000000, v6
	v_lshl_add_u32 v7, v7, 23, v51
	v_or3_b32 v5, v6, v7, v5
.LBB2_752:                              ;   in Loop: Header=BB2_124 Depth=2
	s_or_b64 exec, exec, s[58:59]
.LBB2_753:                              ;   in Loop: Header=BB2_124 Depth=2
	s_or_b64 exec, exec, s[56:57]
.LBB2_754:                              ;   in Loop: Header=BB2_124 Depth=2
	s_or_b64 exec, exec, s[22:23]
	v_lshrrev_b32_e32 v10, 16, v12
	v_cmp_ne_u16_sdwa vcc, v10, v57 src0_sel:BYTE_0 src1_sel:DWORD
	s_and_saveexec_b64 s[22:23], vcc
	s_cbranch_execz .LBB2_760
; %bb.755:                              ;   in Loop: Header=BB2_124 Depth=2
	v_cmp_ne_u16_sdwa vcc, v10, s74 src0_sel:BYTE_0 src1_sel:DWORD
	v_bfrev_b32_e32 v4, 1
	s_and_saveexec_b64 s[56:57], vcc
	s_cbranch_execz .LBB2_759
; %bb.756:                              ;   in Loop: Header=BB2_124 Depth=2
	v_bfe_u32 v11, v12, 16, 7
	v_cmp_ne_u32_e32 vcc, s75, v11
	v_mov_b32_e32 v4, 0x7f800001
	s_and_saveexec_b64 s[58:59], vcc
	s_cbranch_execz .LBB2_758
; %bb.757:                              ;   in Loop: Header=BB2_124 Depth=2
	v_and_b32_e32 v4, 7, v10
	v_ffbh_u32_e32 v6, v4
	v_min_u32_e32 v9, 32, v6
	v_subrev_u32_e32 v6, 28, v9
	v_lshlrev_b64 v[6:7], v6, v[10:11]
	v_lshrrev_b32_e32 v8, 3, v11
	v_sub_u32_e32 v7, 29, v9
	v_and_b32_e32 v6, 7, v6
	v_cmp_gt_u32_e32 vcc, 8, v11
	v_cndmask_b32_e32 v7, v8, v7, vcc
	v_cndmask_b32_e32 v4, v4, v6, vcc
	v_lshlrev_b32_e32 v6, 8, v12
	v_lshlrev_b32_e32 v4, 20, v4
	v_and_b32_e32 v6, 0x80000000, v6
	v_lshl_add_u32 v7, v7, 23, v51
	v_or3_b32 v4, v6, v7, v4
.LBB2_758:                              ;   in Loop: Header=BB2_124 Depth=2
	s_or_b64 exec, exec, s[58:59]
.LBB2_759:                              ;   in Loop: Header=BB2_124 Depth=2
	s_or_b64 exec, exec, s[56:57]
.LBB2_760:                              ;   in Loop: Header=BB2_124 Depth=2
	s_or_b64 exec, exec, s[22:23]
	v_add_f32_e32 v5, v5, v4
	v_and_b32_sdwa v4, v5, s74 dst_sel:DWORD dst_unused:UNUSED_PAD src0_sel:BYTE_3 src1_sel:DWORD
	v_and_b32_e32 v6, 0x7f800000, v5
	v_mov_b32_e32 v7, v57
	v_and_b32_e32 v56, 0x7fffff, v5
	v_or_b32_e32 v30, 0x7e, v4
	v_cmp_ne_u64_e32 vcc, s[42:43], v[6:7]
	s_and_saveexec_b64 s[22:23], vcc
	s_xor_b64 s[56:57], exec, s[22:23]
	s_cbranch_execz .LBB2_770
; %bb.761:                              ;   in Loop: Header=BB2_124 Depth=2
	v_and_b32_e32 v6, 0x7fffffff, v5
	v_mov_b32_e32 v7, v57
	v_cmp_gt_u64_e32 vcc, s[44:45], v[6:7]
	s_and_saveexec_b64 s[58:59], vcc
	s_cbranch_execz .LBB2_769
; %bb.762:                              ;   in Loop: Header=BB2_124 Depth=2
	v_cmp_ne_u32_e32 vcc, 0, v5
	v_mov_b32_e32 v30, 0
	s_and_saveexec_b64 s[60:61], vcc
	s_cbranch_execz .LBB2_768
; %bb.763:                              ;   in Loop: Header=BB2_124 Depth=2
	v_bfe_u32 v5, v5, 23, 8
	v_sub_u32_e32 v7, 0x79, v5
	v_cmp_gt_u32_e32 vcc, s76, v5
	v_add_u32_e32 v6, 0xffffff81, v5
	v_cndmask_b32_e32 v7, 0, v7, vcc
	v_cmp_eq_u32_e32 vcc, 0, v5
	v_mov_b32_e32 v5, 0xffffff82
	v_cndmask_b32_e32 v5, v6, v5, vcc
	v_mov_b32_e32 v6, 0x78
	v_or_b32_e32 v8, 0x800000, v56
	v_cndmask_b32_e32 v14, v7, v6, vcc
	v_cndmask_b32_e32 v56, v8, v56, vcc
	v_add_u32_e32 v6, 20, v14
	v_lshlrev_b64 v[6:7], v6, -1
	v_lshrrev_b64 v[10:11], v14, v[56:57]
	v_not_b32_e32 v7, v7
	v_not_b32_e32 v6, v6
	v_add_u32_e32 v8, 19, v14
	v_lshrrev_b32_e32 v29, 23, v10
	v_and_b32_e32 v7, 0, v7
	v_and_b32_e32 v6, v56, v6
	v_lshlrev_b64 v[8:9], v8, 1
	v_add3_u32 v30, v14, v5, v29
	v_bfe_u32 v5, v10, 20, 1
	v_add_u32_e32 v5, -1, v5
	v_cmp_eq_u64_e32 vcc, v[6:7], v[8:9]
	v_cndmask_b32_e32 v5, 0, v5, vcc
	v_add_u32_e32 v5, v5, v10
	v_and_b32_e32 v5, 0xfffff, v5
	v_add_co_u32_e32 v10, vcc, v5, v10
	v_add_u32_e32 v14, 6, v30
	v_addc_co_u32_e32 v11, vcc, 0, v11, vcc
	v_cmp_ne_u32_e32 vcc, 0, v14
                                        ; implicit-def: $vgpr5
	s_and_saveexec_b64 s[22:23], vcc
	s_xor_b64 s[22:23], exec, s[22:23]
; %bb.764:                              ;   in Loop: Header=BB2_124 Depth=2
	v_cmp_lt_u64_e32 vcc, s[48:49], v[10:11]
	v_add_u32_e32 v5, 7, v30
	v_cndmask_b32_e64 v6, 0, 1, vcc
	v_cndmask_b32_e32 v5, v14, v5, vcc
	v_lshrrev_b64 v[10:11], v6, v[10:11]
; %bb.765:                              ;   in Loop: Header=BB2_124 Depth=2
	s_andn2_saveexec_b64 s[22:23], s[22:23]
; %bb.766:                              ;   in Loop: Header=BB2_124 Depth=2
	v_bfe_u32 v5, v10, 23, 1
; %bb.767:                              ;   in Loop: Header=BB2_124 Depth=2
	s_or_b64 exec, exec, s[22:23]
	v_lshrrev_b64 v[6:7], 20, v[10:11]
	v_cmp_gt_i32_e32 vcc, 16, v5
	v_cndmask_b32_e32 v7, 0, v7, vcc
	v_cndmask_b32_e32 v6, 7, v6, vcc
	v_cmp_eq_u32_e32 vcc, 0, v5
	v_min_i32_e32 v5, 15, v5
	v_cmp_eq_u64_e64 s[22:23], 0, v[6:7]
	v_lshlrev_b32_e32 v5, 3, v5
	v_and_or_b32 v5, v6, 7, v5
	s_and_b64 s[22:23], vcc, s[22:23]
	v_cndmask_b32_e64 v5, v5, 0, s[22:23]
	v_or_b32_e32 v30, v5, v4
.LBB2_768:                              ;   in Loop: Header=BB2_124 Depth=2
	s_or_b64 exec, exec, s[60:61]
.LBB2_769:                              ;   in Loop: Header=BB2_124 Depth=2
	s_or_b64 exec, exec, s[58:59]
                                        ; implicit-def: $vgpr5
.LBB2_770:                              ;   in Loop: Header=BB2_124 Depth=2
	s_andn2_saveexec_b64 s[22:23], s[56:57]
; %bb.771:                              ;   in Loop: Header=BB2_124 Depth=2
	v_or_b32_sdwa v4, v5, s75 dst_sel:DWORD dst_unused:UNUSED_PAD src0_sel:BYTE_3 src1_sel:DWORD
	v_cmp_eq_u64_e32 vcc, 0, v[56:57]
	v_cndmask_b32_e32 v30, v4, v30, vcc
; %bb.772:                              ;   in Loop: Header=BB2_124 Depth=2
	s_or_b64 exec, exec, s[22:23]
	v_cmp_lt_u32_e32 vcc, s47, v16
	v_mov_b32_e32 v4, 0
	v_mov_b32_e32 v5, 0
	s_and_saveexec_b64 s[22:23], vcc
	s_cbranch_execz .LBB2_778
; %bb.773:                              ;   in Loop: Header=BB2_124 Depth=2
	v_lshrrev_b32_e32 v10, 24, v16
	v_cmp_ne_u32_e32 vcc, s74, v10
	v_bfrev_b32_e32 v5, 1
	s_and_saveexec_b64 s[56:57], vcc
	s_cbranch_execz .LBB2_777
; %bb.774:                              ;   in Loop: Header=BB2_124 Depth=2
	v_bfe_u32 v11, v16, 24, 7
	v_cmp_ne_u32_e32 vcc, s75, v11
	v_mov_b32_e32 v5, 0x7f800001
	s_and_saveexec_b64 s[58:59], vcc
	s_cbranch_execz .LBB2_776
; %bb.775:                              ;   in Loop: Header=BB2_124 Depth=2
	v_and_b32_e32 v5, 7, v10
	v_ffbh_u32_e32 v6, v5
	v_min_u32_e32 v9, 32, v6
	v_subrev_u32_e32 v6, 28, v9
	v_lshlrev_b64 v[6:7], v6, v[10:11]
	v_lshrrev_b32_e32 v8, 3, v11
	v_sub_u32_e32 v7, 29, v9
	v_and_b32_e32 v6, 7, v6
	v_cmp_gt_u32_e32 vcc, 8, v11
	v_cndmask_b32_e32 v7, v8, v7, vcc
	v_cndmask_b32_e32 v5, v5, v6, vcc
	v_lshlrev_b32_e32 v6, 24, v10
	v_lshlrev_b32_e32 v5, 20, v5
	v_and_b32_e32 v6, 0x80000000, v6
	v_lshl_add_u32 v7, v7, 23, v51
	v_or3_b32 v5, v6, v7, v5
.LBB2_776:                              ;   in Loop: Header=BB2_124 Depth=2
	s_or_b64 exec, exec, s[58:59]
.LBB2_777:                              ;   in Loop: Header=BB2_124 Depth=2
	s_or_b64 exec, exec, s[56:57]
.LBB2_778:                              ;   in Loop: Header=BB2_124 Depth=2
	s_or_b64 exec, exec, s[22:23]
	v_cmp_lt_u32_e32 vcc, s47, v12
	s_and_saveexec_b64 s[22:23], vcc
	s_cbranch_execz .LBB2_784
; %bb.779:                              ;   in Loop: Header=BB2_124 Depth=2
	v_lshrrev_b32_e32 v10, 24, v12
	v_cmp_ne_u32_e32 vcc, s74, v10
	v_bfrev_b32_e32 v4, 1
	s_and_saveexec_b64 s[56:57], vcc
	s_cbranch_execz .LBB2_783
; %bb.780:                              ;   in Loop: Header=BB2_124 Depth=2
	v_bfe_u32 v11, v12, 24, 7
	v_cmp_ne_u32_e32 vcc, s75, v11
	v_mov_b32_e32 v4, 0x7f800001
	s_and_saveexec_b64 s[58:59], vcc
	s_cbranch_execz .LBB2_782
; %bb.781:                              ;   in Loop: Header=BB2_124 Depth=2
	v_and_b32_e32 v4, 7, v10
	v_ffbh_u32_e32 v6, v4
	v_min_u32_e32 v9, 32, v6
	v_subrev_u32_e32 v6, 28, v9
	v_lshlrev_b64 v[6:7], v6, v[10:11]
	v_lshrrev_b32_e32 v8, 3, v11
	v_sub_u32_e32 v7, 29, v9
	v_and_b32_e32 v6, 7, v6
	v_cmp_gt_u32_e32 vcc, 8, v11
	v_cndmask_b32_e32 v7, v8, v7, vcc
	v_cndmask_b32_e32 v4, v4, v6, vcc
	v_lshlrev_b32_e32 v6, 24, v10
	v_lshlrev_b32_e32 v4, 20, v4
	v_and_b32_e32 v6, 0x80000000, v6
	v_lshl_add_u32 v7, v7, 23, v51
	v_or3_b32 v4, v6, v7, v4
.LBB2_782:                              ;   in Loop: Header=BB2_124 Depth=2
	s_or_b64 exec, exec, s[58:59]
.LBB2_783:                              ;   in Loop: Header=BB2_124 Depth=2
	s_or_b64 exec, exec, s[56:57]
.LBB2_784:                              ;   in Loop: Header=BB2_124 Depth=2
	s_or_b64 exec, exec, s[22:23]
	v_add_f32_e32 v10, v5, v4
	v_and_b32_sdwa v5, v10, s74 dst_sel:DWORD dst_unused:UNUSED_PAD src0_sel:BYTE_3 src1_sel:DWORD
	v_and_b32_e32 v6, 0x7f800000, v10
	v_mov_b32_e32 v7, v57
	v_and_b32_e32 v56, 0x7fffff, v10
	v_or_b32_e32 v4, 0x7e, v5
	v_cmp_ne_u64_e32 vcc, s[42:43], v[6:7]
	s_and_saveexec_b64 s[22:23], vcc
	s_xor_b64 s[56:57], exec, s[22:23]
	s_cbranch_execz .LBB2_794
; %bb.785:                              ;   in Loop: Header=BB2_124 Depth=2
	v_and_b32_e32 v6, 0x7fffffff, v10
	v_mov_b32_e32 v7, v57
	v_cmp_gt_u64_e32 vcc, s[44:45], v[6:7]
	s_and_saveexec_b64 s[58:59], vcc
	s_cbranch_execz .LBB2_793
; %bb.786:                              ;   in Loop: Header=BB2_124 Depth=2
	v_cmp_ne_u32_e32 vcc, 0, v10
	v_mov_b32_e32 v4, 0
	s_and_saveexec_b64 s[60:61], vcc
	s_cbranch_execz .LBB2_792
; %bb.787:                              ;   in Loop: Header=BB2_124 Depth=2
	v_bfe_u32 v4, v10, 23, 8
	v_sub_u32_e32 v7, 0x79, v4
	v_cmp_gt_u32_e32 vcc, s76, v4
	v_add_u32_e32 v6, 0xffffff81, v4
	v_cndmask_b32_e32 v7, 0, v7, vcc
	v_cmp_eq_u32_e32 vcc, 0, v4
	v_mov_b32_e32 v4, 0xffffff82
	v_cndmask_b32_e32 v4, v6, v4, vcc
	v_mov_b32_e32 v6, 0x78
	v_or_b32_e32 v8, 0x800000, v56
	v_cndmask_b32_e32 v14, v7, v6, vcc
	v_cndmask_b32_e32 v56, v8, v56, vcc
	v_add_u32_e32 v6, 20, v14
	v_lshlrev_b64 v[6:7], v6, -1
	v_lshrrev_b64 v[10:11], v14, v[56:57]
	v_not_b32_e32 v7, v7
	v_not_b32_e32 v6, v6
	v_add_u32_e32 v8, 19, v14
	v_lshrrev_b32_e32 v29, 23, v10
	v_and_b32_e32 v7, 0, v7
	v_and_b32_e32 v6, v56, v6
	v_lshlrev_b64 v[8:9], v8, 1
	v_add3_u32 v48, v14, v4, v29
	v_bfe_u32 v4, v10, 20, 1
	v_add_u32_e32 v4, -1, v4
	v_cmp_eq_u64_e32 vcc, v[6:7], v[8:9]
	v_cndmask_b32_e32 v4, 0, v4, vcc
	v_add_u32_e32 v4, v4, v10
	v_and_b32_e32 v4, 0xfffff, v4
	v_add_co_u32_e32 v10, vcc, v4, v10
	v_add_u32_e32 v14, 6, v48
	v_addc_co_u32_e32 v11, vcc, 0, v11, vcc
	v_cmp_ne_u32_e32 vcc, 0, v14
                                        ; implicit-def: $vgpr4
	s_and_saveexec_b64 s[22:23], vcc
	s_xor_b64 s[22:23], exec, s[22:23]
; %bb.788:                              ;   in Loop: Header=BB2_124 Depth=2
	v_cmp_lt_u64_e32 vcc, s[48:49], v[10:11]
	v_add_u32_e32 v4, 7, v48
	v_cndmask_b32_e64 v6, 0, 1, vcc
	v_cndmask_b32_e32 v4, v14, v4, vcc
	v_lshrrev_b64 v[10:11], v6, v[10:11]
; %bb.789:                              ;   in Loop: Header=BB2_124 Depth=2
	s_andn2_saveexec_b64 s[22:23], s[22:23]
; %bb.790:                              ;   in Loop: Header=BB2_124 Depth=2
	v_bfe_u32 v4, v10, 23, 1
; %bb.791:                              ;   in Loop: Header=BB2_124 Depth=2
	s_or_b64 exec, exec, s[22:23]
	v_lshrrev_b64 v[6:7], 20, v[10:11]
	v_cmp_gt_i32_e32 vcc, 16, v4
	v_cndmask_b32_e32 v7, 0, v7, vcc
	v_cndmask_b32_e32 v6, 7, v6, vcc
	v_cmp_eq_u32_e32 vcc, 0, v4
	v_min_i32_e32 v4, 15, v4
	v_cmp_eq_u64_e64 s[22:23], 0, v[6:7]
	v_lshlrev_b32_e32 v4, 3, v4
	v_and_or_b32 v4, v6, 7, v4
	s_and_b64 s[22:23], vcc, s[22:23]
	v_cndmask_b32_e64 v4, v4, 0, s[22:23]
	v_or_b32_e32 v4, v4, v5
.LBB2_792:                              ;   in Loop: Header=BB2_124 Depth=2
	s_or_b64 exec, exec, s[60:61]
.LBB2_793:                              ;   in Loop: Header=BB2_124 Depth=2
	s_or_b64 exec, exec, s[58:59]
                                        ; implicit-def: $vgpr10
.LBB2_794:                              ;   in Loop: Header=BB2_124 Depth=2
	s_andn2_saveexec_b64 s[22:23], s[56:57]
; %bb.795:                              ;   in Loop: Header=BB2_124 Depth=2
	v_or_b32_sdwa v5, v10, s75 dst_sel:DWORD dst_unused:UNUSED_PAD src0_sel:BYTE_3 src1_sel:DWORD
	v_cmp_eq_u64_e32 vcc, 0, v[56:57]
	v_cndmask_b32_e32 v4, v5, v4, vcc
; %bb.796:                              ;   in Loop: Header=BB2_124 Depth=2
	s_or_b64 exec, exec, s[22:23]
	v_mov_b32_e32 v56, v17
	v_cmp_ne_u16_sdwa vcc, v17, v57 src0_sel:BYTE_0 src1_sel:DWORD
	v_mov_b32_e32 v10, 0
	v_mov_b32_e32 v5, 0
	s_and_saveexec_b64 s[22:23], vcc
	s_cbranch_execz .LBB2_802
; %bb.797:                              ;   in Loop: Header=BB2_124 Depth=2
	v_cmp_ne_u16_sdwa vcc, v17, s74 src0_sel:BYTE_0 src1_sel:DWORD
	v_bfrev_b32_e32 v5, 1
	s_and_saveexec_b64 s[56:57], vcc
	s_cbranch_execz .LBB2_801
; %bb.798:                              ;   in Loop: Header=BB2_124 Depth=2
	v_and_b32_e32 v11, 0x7f, v17
	v_cmp_ne_u32_e32 vcc, s75, v11
	v_mov_b32_e32 v5, 0x7f800001
	s_and_saveexec_b64 s[58:59], vcc
	s_cbranch_execz .LBB2_800
; %bb.799:                              ;   in Loop: Header=BB2_124 Depth=2
	v_and_b32_e32 v5, 7, v17
	v_ffbh_u32_e32 v5, v5
	v_min_u32_e32 v5, 32, v5
	v_lshrrev_b32_e32 v6, 3, v11
	v_subrev_u32_e32 v7, 28, v5
	v_sub_u32_e32 v5, 29, v5
	v_cmp_gt_u32_e32 vcc, 8, v11
	v_cndmask_b32_e32 v5, v6, v5, vcc
	v_cndmask_b32_e32 v6, 0, v7, vcc
	v_lshlrev_b64 v[6:7], v6, v[56:57]
	v_lshlrev_b32_e32 v6, 20, v6
	v_lshlrev_b32_e32 v7, 24, v56
	v_and_b32_e32 v6, 0x700000, v6
	v_and_b32_e32 v7, 0x80000000, v7
	v_lshl_add_u32 v5, v5, 23, v51
	v_or3_b32 v5, v7, v5, v6
.LBB2_800:                              ;   in Loop: Header=BB2_124 Depth=2
	s_or_b64 exec, exec, s[58:59]
.LBB2_801:                              ;   in Loop: Header=BB2_124 Depth=2
	s_or_b64 exec, exec, s[56:57]
.LBB2_802:                              ;   in Loop: Header=BB2_124 Depth=2
	s_or_b64 exec, exec, s[22:23]
	v_cmp_ne_u16_sdwa vcc, v13, v57 src0_sel:BYTE_0 src1_sel:DWORD
	s_and_saveexec_b64 s[22:23], vcc
	s_cbranch_execz .LBB2_808
; %bb.803:                              ;   in Loop: Header=BB2_124 Depth=2
	v_cmp_ne_u16_sdwa vcc, v13, s74 src0_sel:BYTE_0 src1_sel:DWORD
	v_bfrev_b32_e32 v10, 1
	s_and_saveexec_b64 s[56:57], vcc
	s_cbranch_execz .LBB2_807
; %bb.804:                              ;   in Loop: Header=BB2_124 Depth=2
	v_and_b32_e32 v11, 0x7f, v13
	v_cmp_ne_u32_e32 vcc, s75, v11
	v_mov_b32_e32 v10, 0x7f800001
	s_and_saveexec_b64 s[58:59], vcc
	s_cbranch_execz .LBB2_806
; %bb.805:                              ;   in Loop: Header=BB2_124 Depth=2
	v_and_b32_e32 v8, 7, v13
	v_ffbh_u32_e32 v8, v8
	v_min_u32_e32 v8, 32, v8
	v_lshrrev_b32_e32 v9, 3, v11
	v_subrev_u32_e32 v10, 28, v8
	v_sub_u32_e32 v8, 29, v8
	v_cmp_gt_u32_e32 vcc, 8, v11
	v_mov_b32_e32 v6, v13
	v_mov_b32_e32 v7, v57
	v_cndmask_b32_e32 v11, v9, v8, vcc
	v_cndmask_b32_e32 v8, 0, v10, vcc
	v_lshlrev_b64 v[8:9], v8, v[6:7]
	v_lshlrev_b32_e32 v7, 20, v8
	v_lshlrev_b32_e32 v6, 24, v6
	v_and_b32_e32 v7, 0x700000, v7
	v_and_b32_e32 v6, 0x80000000, v6
	v_lshl_add_u32 v8, v11, 23, v51
	v_or3_b32 v10, v6, v8, v7
.LBB2_806:                              ;   in Loop: Header=BB2_124 Depth=2
	s_or_b64 exec, exec, s[58:59]
.LBB2_807:                              ;   in Loop: Header=BB2_124 Depth=2
	s_or_b64 exec, exec, s[56:57]
.LBB2_808:                              ;   in Loop: Header=BB2_124 Depth=2
	s_or_b64 exec, exec, s[22:23]
	v_add_f32_e32 v48, v5, v10
	v_and_b32_sdwa v14, v48, s74 dst_sel:DWORD dst_unused:UNUSED_PAD src0_sel:BYTE_3 src1_sel:DWORD
	v_and_b32_e32 v6, 0x7f800000, v48
	v_mov_b32_e32 v7, v57
	v_and_b32_e32 v10, 0x7fffff, v48
	v_mov_b32_e32 v11, v57
	v_or_b32_e32 v5, 0x7e, v14
	v_cmp_ne_u64_e32 vcc, s[42:43], v[6:7]
	s_and_saveexec_b64 s[22:23], vcc
	s_xor_b64 s[56:57], exec, s[22:23]
	s_cbranch_execz .LBB2_818
; %bb.809:                              ;   in Loop: Header=BB2_124 Depth=2
	v_and_b32_e32 v6, 0x7fffffff, v48
	v_mov_b32_e32 v7, v57
	v_cmp_gt_u64_e32 vcc, s[44:45], v[6:7]
	s_and_saveexec_b64 s[58:59], vcc
	s_cbranch_execz .LBB2_817
; %bb.810:                              ;   in Loop: Header=BB2_124 Depth=2
	v_cmp_ne_u32_e32 vcc, 0, v48
	v_mov_b32_e32 v5, 0
	s_and_saveexec_b64 s[60:61], vcc
	s_cbranch_execz .LBB2_816
; %bb.811:                              ;   in Loop: Header=BB2_124 Depth=2
	v_bfe_u32 v5, v48, 23, 8
	v_sub_u32_e32 v7, 0x79, v5
	v_cmp_gt_u32_e32 vcc, s76, v5
	v_add_u32_e32 v6, 0xffffff81, v5
	v_cndmask_b32_e32 v7, 0, v7, vcc
	v_cmp_eq_u32_e32 vcc, 0, v5
	v_mov_b32_e32 v5, 0xffffff82
	v_cndmask_b32_e32 v5, v6, v5, vcc
	v_mov_b32_e32 v6, 0x78
	v_cndmask_b32_e32 v29, v7, v6, vcc
	v_add_u32_e32 v6, 20, v29
	v_or_b32_e32 v8, 0x800000, v10
	v_lshlrev_b64 v[6:7], v6, -1
	v_cndmask_b32_e32 v10, v8, v10, vcc
	v_not_b32_e32 v6, v6
	v_and_b32_e32 v6, v10, v6
	v_lshrrev_b64 v[10:11], v29, v[10:11]
	v_not_b32_e32 v7, v7
	v_add_u32_e32 v8, 19, v29
	v_lshrrev_b32_e32 v48, 23, v10
	v_and_b32_e32 v7, 0, v7
	v_lshlrev_b64 v[8:9], v8, 1
	v_add3_u32 v49, v29, v5, v48
	v_bfe_u32 v5, v10, 20, 1
	v_add_u32_e32 v5, -1, v5
	v_cmp_eq_u64_e32 vcc, v[6:7], v[8:9]
	v_cndmask_b32_e32 v5, 0, v5, vcc
	v_add_u32_e32 v5, v5, v10
	v_and_b32_e32 v5, 0xfffff, v5
	v_add_co_u32_e32 v10, vcc, v5, v10
	v_add_u32_e32 v48, 6, v49
	v_addc_co_u32_e32 v11, vcc, 0, v11, vcc
	v_cmp_ne_u32_e32 vcc, 0, v48
                                        ; implicit-def: $vgpr5
	s_and_saveexec_b64 s[22:23], vcc
	s_xor_b64 s[22:23], exec, s[22:23]
; %bb.812:                              ;   in Loop: Header=BB2_124 Depth=2
	v_cmp_lt_u64_e32 vcc, s[48:49], v[10:11]
	v_add_u32_e32 v5, 7, v49
	v_cndmask_b32_e64 v6, 0, 1, vcc
	v_cndmask_b32_e32 v5, v48, v5, vcc
	v_lshrrev_b64 v[10:11], v6, v[10:11]
; %bb.813:                              ;   in Loop: Header=BB2_124 Depth=2
	s_andn2_saveexec_b64 s[22:23], s[22:23]
; %bb.814:                              ;   in Loop: Header=BB2_124 Depth=2
	v_bfe_u32 v5, v10, 23, 1
; %bb.815:                              ;   in Loop: Header=BB2_124 Depth=2
	s_or_b64 exec, exec, s[22:23]
	v_lshrrev_b64 v[6:7], 20, v[10:11]
	v_cmp_gt_i32_e32 vcc, 16, v5
	v_cndmask_b32_e32 v7, 0, v7, vcc
	v_cndmask_b32_e32 v6, 7, v6, vcc
	v_cmp_eq_u32_e32 vcc, 0, v5
	v_min_i32_e32 v5, 15, v5
	v_cmp_eq_u64_e64 s[22:23], 0, v[6:7]
	v_lshlrev_b32_e32 v5, 3, v5
	v_and_or_b32 v5, v6, 7, v5
	s_and_b64 s[22:23], vcc, s[22:23]
	v_cndmask_b32_e64 v5, v5, 0, s[22:23]
	v_or_b32_e32 v5, v5, v14
.LBB2_816:                              ;   in Loop: Header=BB2_124 Depth=2
	s_or_b64 exec, exec, s[60:61]
.LBB2_817:                              ;   in Loop: Header=BB2_124 Depth=2
	s_or_b64 exec, exec, s[58:59]
                                        ; implicit-def: $vgpr48
                                        ; implicit-def: $vgpr10_vgpr11
.LBB2_818:                              ;   in Loop: Header=BB2_124 Depth=2
	s_andn2_saveexec_b64 s[22:23], s[56:57]
; %bb.819:                              ;   in Loop: Header=BB2_124 Depth=2
	v_or_b32_sdwa v6, v48, s75 dst_sel:DWORD dst_unused:UNUSED_PAD src0_sel:BYTE_3 src1_sel:DWORD
	v_cmp_eq_u64_e32 vcc, 0, v[10:11]
	v_cndmask_b32_e32 v5, v6, v5, vcc
; %bb.820:                              ;   in Loop: Header=BB2_124 Depth=2
	s_or_b64 exec, exec, s[22:23]
	v_lshrrev_b16_e32 v10, 8, v56
	v_cmp_ne_u16_e32 vcc, 0, v10
	v_mov_b32_e32 v11, 0
	v_mov_b32_e32 v48, 0
	s_and_saveexec_b64 s[22:23], vcc
	s_cbranch_execz .LBB2_826
; %bb.821:                              ;   in Loop: Header=BB2_124 Depth=2
	v_cmp_ne_u16_e32 vcc, s74, v10
	v_bfrev_b32_e32 v48, 1
	s_and_saveexec_b64 s[56:57], vcc
	s_cbranch_execz .LBB2_825
; %bb.822:                              ;   in Loop: Header=BB2_124 Depth=2
	v_and_b32_e32 v14, 0x7f, v10
	v_cmp_ne_u32_e32 vcc, s75, v14
	v_mov_b32_e32 v48, 0x7f800001
	s_and_saveexec_b64 s[58:59], vcc
	s_cbranch_execz .LBB2_824
; %bb.823:                              ;   in Loop: Header=BB2_124 Depth=2
	v_and_b32_e32 v8, 7, v10
	v_ffbh_u32_e32 v6, v8
	v_min_u32_e32 v29, 32, v6
	v_subrev_u32_e32 v6, 28, v29
	v_lshlrev_b64 v[6:7], v6, v[10:11]
	v_lshrrev_b32_e32 v9, 3, v14
	v_sub_u32_e32 v7, 29, v29
	v_and_b32_e32 v6, 7, v6
	v_cmp_gt_u32_e32 vcc, 8, v14
	v_cndmask_b32_e32 v7, v9, v7, vcc
	v_cndmask_b32_e32 v6, v8, v6, vcc
	v_lshlrev_b32_e32 v8, 16, v56
	v_lshlrev_b32_e32 v6, 20, v6
	v_and_b32_e32 v8, 0x80000000, v8
	v_lshl_add_u32 v7, v7, 23, v51
	v_or3_b32 v48, v8, v7, v6
.LBB2_824:                              ;   in Loop: Header=BB2_124 Depth=2
	s_or_b64 exec, exec, s[58:59]
.LBB2_825:                              ;   in Loop: Header=BB2_124 Depth=2
	s_or_b64 exec, exec, s[56:57]
.LBB2_826:                              ;   in Loop: Header=BB2_124 Depth=2
	s_or_b64 exec, exec, s[22:23]
	v_mov_b32_e32 v10, v13
	v_lshrrev_b16_e32 v14, 8, v10
	v_cmp_ne_u16_e32 vcc, 0, v14
	s_and_saveexec_b64 s[22:23], vcc
	s_cbranch_execz .LBB2_832
; %bb.827:                              ;   in Loop: Header=BB2_124 Depth=2
	v_cmp_ne_u16_e32 vcc, s74, v14
	v_bfrev_b32_e32 v11, 1
	s_and_saveexec_b64 s[56:57], vcc
	s_cbranch_execz .LBB2_831
; %bb.828:                              ;   in Loop: Header=BB2_124 Depth=2
	v_and_b32_e32 v29, 0x7f, v14
	v_cmp_ne_u32_e32 vcc, s75, v29
	v_mov_b32_e32 v11, 0x7f800001
	s_and_saveexec_b64 s[58:59], vcc
	s_cbranch_execz .LBB2_830
; %bb.829:                              ;   in Loop: Header=BB2_124 Depth=2
	v_and_b32_e32 v8, 7, v14
	v_ffbh_u32_e32 v6, v8
	v_min_u32_e32 v11, 32, v6
	v_subrev_u32_e32 v6, 28, v11
	v_lshlrev_b64 v[6:7], v6, v[14:15]
	v_lshrrev_b32_e32 v9, 3, v29
	v_sub_u32_e32 v7, 29, v11
	v_and_b32_e32 v6, 7, v6
	v_cmp_gt_u32_e32 vcc, 8, v29
	v_cndmask_b32_e32 v7, v9, v7, vcc
	v_cndmask_b32_e32 v6, v8, v6, vcc
	v_lshlrev_b32_e32 v8, 16, v10
	v_lshlrev_b32_e32 v6, 20, v6
	v_and_b32_e32 v8, 0x80000000, v8
	v_lshl_add_u32 v7, v7, 23, v51
	v_or3_b32 v11, v8, v7, v6
.LBB2_830:                              ;   in Loop: Header=BB2_124 Depth=2
	s_or_b64 exec, exec, s[58:59]
.LBB2_831:                              ;   in Loop: Header=BB2_124 Depth=2
	s_or_b64 exec, exec, s[56:57]
.LBB2_832:                              ;   in Loop: Header=BB2_124 Depth=2
	s_or_b64 exec, exec, s[22:23]
	v_add_f32_e32 v10, v48, v11
	v_and_b32_sdwa v48, v10, s74 dst_sel:DWORD dst_unused:UNUSED_PAD src0_sel:BYTE_3 src1_sel:DWORD
	v_and_b32_e32 v6, 0x7f800000, v10
	v_mov_b32_e32 v7, v57
	v_and_b32_e32 v56, 0x7fffff, v10
	v_or_b32_e32 v14, 0x7e, v48
	v_cmp_ne_u64_e32 vcc, s[42:43], v[6:7]
	s_and_saveexec_b64 s[22:23], vcc
	s_xor_b64 s[56:57], exec, s[22:23]
	s_cbranch_execz .LBB2_842
; %bb.833:                              ;   in Loop: Header=BB2_124 Depth=2
	v_and_b32_e32 v6, 0x7fffffff, v10
	v_mov_b32_e32 v7, v57
	v_cmp_gt_u64_e32 vcc, s[44:45], v[6:7]
	s_and_saveexec_b64 s[58:59], vcc
	s_cbranch_execz .LBB2_841
; %bb.834:                              ;   in Loop: Header=BB2_124 Depth=2
	v_cmp_ne_u32_e32 vcc, 0, v10
	v_mov_b32_e32 v14, 0
	s_and_saveexec_b64 s[60:61], vcc
	s_cbranch_execz .LBB2_840
; %bb.835:                              ;   in Loop: Header=BB2_124 Depth=2
	v_bfe_u32 v6, v10, 23, 8
	v_sub_u32_e32 v8, 0x79, v6
	v_cmp_gt_u32_e32 vcc, s76, v6
	v_add_u32_e32 v7, 0xffffff81, v6
	v_cndmask_b32_e32 v8, 0, v8, vcc
	v_cmp_eq_u32_e32 vcc, 0, v6
	v_mov_b32_e32 v6, 0xffffff82
	v_cndmask_b32_e32 v14, v7, v6, vcc
	v_mov_b32_e32 v6, 0x78
	v_or_b32_e32 v9, 0x800000, v56
	v_cndmask_b32_e32 v29, v8, v6, vcc
	v_cndmask_b32_e32 v56, v9, v56, vcc
	v_add_u32_e32 v6, 20, v29
	v_lshlrev_b64 v[6:7], v6, -1
	v_lshrrev_b64 v[10:11], v29, v[56:57]
	v_not_b32_e32 v7, v7
	v_not_b32_e32 v6, v6
	v_add_u32_e32 v8, 19, v29
	v_lshrrev_b32_e32 v49, 23, v10
	v_and_b32_e32 v7, 0, v7
	v_and_b32_e32 v6, v56, v6
	v_lshlrev_b64 v[8:9], v8, 1
	v_add3_u32 v56, v29, v14, v49
	v_bfe_u32 v14, v10, 20, 1
	v_add_u32_e32 v14, -1, v14
	v_cmp_eq_u64_e32 vcc, v[6:7], v[8:9]
	v_cndmask_b32_e32 v6, 0, v14, vcc
	v_add_u32_e32 v6, v6, v10
	v_and_b32_e32 v6, 0xfffff, v6
	v_add_co_u32_e32 v10, vcc, v6, v10
	v_add_u32_e32 v49, 6, v56
	v_addc_co_u32_e32 v11, vcc, 0, v11, vcc
	v_cmp_ne_u32_e32 vcc, 0, v49
                                        ; implicit-def: $vgpr14
	s_and_saveexec_b64 s[22:23], vcc
	s_xor_b64 s[22:23], exec, s[22:23]
; %bb.836:                              ;   in Loop: Header=BB2_124 Depth=2
	v_add_u32_e32 v6, 7, v56
	v_cmp_lt_u64_e32 vcc, s[48:49], v[10:11]
	v_cndmask_b32_e32 v14, v49, v6, vcc
	v_cndmask_b32_e64 v6, 0, 1, vcc
	v_lshrrev_b64 v[10:11], v6, v[10:11]
; %bb.837:                              ;   in Loop: Header=BB2_124 Depth=2
	s_andn2_saveexec_b64 s[22:23], s[22:23]
; %bb.838:                              ;   in Loop: Header=BB2_124 Depth=2
	v_bfe_u32 v14, v10, 23, 1
; %bb.839:                              ;   in Loop: Header=BB2_124 Depth=2
	s_or_b64 exec, exec, s[22:23]
	v_lshrrev_b64 v[6:7], 20, v[10:11]
	v_cmp_gt_i32_e32 vcc, 16, v14
	v_cndmask_b32_e32 v7, 0, v7, vcc
	v_cndmask_b32_e32 v6, 7, v6, vcc
	v_cmp_eq_u64_e64 s[22:23], 0, v[6:7]
	v_min_i32_e32 v7, 15, v14
	v_cmp_eq_u32_e32 vcc, 0, v14
	v_lshlrev_b32_e32 v7, 3, v7
	v_and_or_b32 v6, v6, 7, v7
	s_and_b64 s[22:23], vcc, s[22:23]
	v_cndmask_b32_e64 v6, v6, 0, s[22:23]
	v_or_b32_e32 v14, v6, v48
.LBB2_840:                              ;   in Loop: Header=BB2_124 Depth=2
	s_or_b64 exec, exec, s[60:61]
.LBB2_841:                              ;   in Loop: Header=BB2_124 Depth=2
	s_or_b64 exec, exec, s[58:59]
                                        ; implicit-def: $vgpr10
.LBB2_842:                              ;   in Loop: Header=BB2_124 Depth=2
	s_andn2_saveexec_b64 s[22:23], s[56:57]
; %bb.843:                              ;   in Loop: Header=BB2_124 Depth=2
	v_or_b32_sdwa v6, v10, s75 dst_sel:DWORD dst_unused:UNUSED_PAD src0_sel:BYTE_3 src1_sel:DWORD
	v_cmp_eq_u64_e32 vcc, 0, v[56:57]
	v_cndmask_b32_e32 v14, v6, v14, vcc
; %bb.844:                              ;   in Loop: Header=BB2_124 Depth=2
	s_or_b64 exec, exec, s[22:23]
	v_lshrrev_b32_e32 v10, 16, v17
	v_cmp_ne_u16_sdwa vcc, v10, v57 src0_sel:BYTE_0 src1_sel:DWORD
	v_mov_b32_e32 v11, 0
	v_mov_b32_e32 v48, 0
	s_and_saveexec_b64 s[22:23], vcc
	s_cbranch_execz .LBB2_850
; %bb.845:                              ;   in Loop: Header=BB2_124 Depth=2
	v_cmp_ne_u16_sdwa vcc, v10, s74 src0_sel:BYTE_0 src1_sel:DWORD
	v_bfrev_b32_e32 v48, 1
	s_and_saveexec_b64 s[56:57], vcc
	s_cbranch_execz .LBB2_849
; %bb.846:                              ;   in Loop: Header=BB2_124 Depth=2
	v_bfe_u32 v29, v17, 16, 7
	v_cmp_ne_u32_e32 vcc, s75, v29
	v_mov_b32_e32 v48, 0x7f800001
	s_and_saveexec_b64 s[58:59], vcc
	s_cbranch_execz .LBB2_848
; %bb.847:                              ;   in Loop: Header=BB2_124 Depth=2
	v_and_b32_e32 v8, 7, v10
	v_ffbh_u32_e32 v6, v8
	v_min_u32_e32 v48, 32, v6
	v_subrev_u32_e32 v6, 28, v48
	v_lshlrev_b64 v[6:7], v6, v[10:11]
	v_lshrrev_b32_e32 v9, 3, v29
	v_sub_u32_e32 v7, 29, v48
	v_and_b32_e32 v6, 7, v6
	v_cmp_gt_u32_e32 vcc, 8, v29
	v_cndmask_b32_e32 v7, v9, v7, vcc
	v_cndmask_b32_e32 v6, v8, v6, vcc
	v_lshlrev_b32_e32 v8, 24, v10
	v_lshlrev_b32_e32 v6, 20, v6
	v_and_b32_e32 v8, 0x80000000, v8
	v_lshl_add_u32 v7, v7, 23, v51
	v_or3_b32 v48, v8, v7, v6
.LBB2_848:                              ;   in Loop: Header=BB2_124 Depth=2
	s_or_b64 exec, exec, s[58:59]
.LBB2_849:                              ;   in Loop: Header=BB2_124 Depth=2
	s_or_b64 exec, exec, s[56:57]
.LBB2_850:                              ;   in Loop: Header=BB2_124 Depth=2
	s_or_b64 exec, exec, s[22:23]
	v_lshrrev_b32_e32 v10, 16, v13
	v_cmp_ne_u16_sdwa vcc, v10, v57 src0_sel:BYTE_0 src1_sel:DWORD
	s_and_saveexec_b64 s[22:23], vcc
	s_cbranch_execz .LBB2_856
; %bb.851:                              ;   in Loop: Header=BB2_124 Depth=2
	v_cmp_ne_u16_sdwa vcc, v10, s74 src0_sel:BYTE_0 src1_sel:DWORD
	v_bfrev_b32_e32 v11, 1
	s_and_saveexec_b64 s[56:57], vcc
	s_cbranch_execz .LBB2_855
; %bb.852:                              ;   in Loop: Header=BB2_124 Depth=2
	v_bfe_u32 v29, v13, 16, 7
	v_cmp_ne_u32_e32 vcc, s75, v29
	v_mov_b32_e32 v11, 0x7f800001
	s_and_saveexec_b64 s[58:59], vcc
	s_cbranch_execz .LBB2_854
; %bb.853:                              ;   in Loop: Header=BB2_124 Depth=2
	v_and_b32_e32 v8, 7, v10
	v_ffbh_u32_e32 v6, v8
	v_min_u32_e32 v11, 32, v6
	v_subrev_u32_e32 v6, 28, v11
	v_lshlrev_b64 v[6:7], v6, v[10:11]
	v_lshrrev_b32_e32 v9, 3, v29
	v_sub_u32_e32 v7, 29, v11
	v_and_b32_e32 v6, 7, v6
	v_cmp_gt_u32_e32 vcc, 8, v29
	v_cndmask_b32_e32 v7, v9, v7, vcc
	v_cndmask_b32_e32 v6, v8, v6, vcc
	v_lshlrev_b32_e32 v8, 8, v13
	v_lshlrev_b32_e32 v6, 20, v6
	v_and_b32_e32 v8, 0x80000000, v8
	v_lshl_add_u32 v7, v7, 23, v51
	v_or3_b32 v11, v8, v7, v6
.LBB2_854:                              ;   in Loop: Header=BB2_124 Depth=2
	s_or_b64 exec, exec, s[58:59]
.LBB2_855:                              ;   in Loop: Header=BB2_124 Depth=2
	s_or_b64 exec, exec, s[56:57]
.LBB2_856:                              ;   in Loop: Header=BB2_124 Depth=2
	s_or_b64 exec, exec, s[22:23]
	v_add_f32_e32 v10, v48, v11
	v_and_b32_sdwa v49, v10, s74 dst_sel:DWORD dst_unused:UNUSED_PAD src0_sel:BYTE_3 src1_sel:DWORD
	v_and_b32_e32 v6, 0x7f800000, v10
	v_mov_b32_e32 v7, v57
	v_and_b32_e32 v56, 0x7fffff, v10
	v_or_b32_e32 v48, 0x7e, v49
	v_cmp_ne_u64_e32 vcc, s[42:43], v[6:7]
	s_and_saveexec_b64 s[22:23], vcc
	s_xor_b64 s[56:57], exec, s[22:23]
	s_cbranch_execz .LBB2_866
; %bb.857:                              ;   in Loop: Header=BB2_124 Depth=2
	v_and_b32_e32 v6, 0x7fffffff, v10
	v_mov_b32_e32 v7, v57
	v_cmp_gt_u64_e32 vcc, s[44:45], v[6:7]
	s_and_saveexec_b64 s[58:59], vcc
	s_cbranch_execz .LBB2_865
; %bb.858:                              ;   in Loop: Header=BB2_124 Depth=2
	v_cmp_ne_u32_e32 vcc, 0, v10
	v_mov_b32_e32 v48, 0
	s_and_saveexec_b64 s[60:61], vcc
	s_cbranch_execz .LBB2_864
; %bb.859:                              ;   in Loop: Header=BB2_124 Depth=2
	v_bfe_u32 v6, v10, 23, 8
	v_sub_u32_e32 v8, 0x79, v6
	v_cmp_gt_u32_e32 vcc, s76, v6
	v_add_u32_e32 v7, 0xffffff81, v6
	v_cndmask_b32_e32 v8, 0, v8, vcc
	v_cmp_eq_u32_e32 vcc, 0, v6
	v_mov_b32_e32 v6, 0xffffff82
	v_cndmask_b32_e32 v29, v7, v6, vcc
	v_mov_b32_e32 v6, 0x78
	v_cndmask_b32_e32 v48, v8, v6, vcc
	v_or_b32_e32 v9, 0x800000, v56
	v_add_u32_e32 v6, 20, v48
	v_cndmask_b32_e32 v56, v9, v56, vcc
	v_lshlrev_b64 v[6:7], v6, -1
	v_not_b32_e32 v6, v6
	v_lshrrev_b64 v[10:11], v48, v[56:57]
	v_not_b32_e32 v7, v7
	v_and_b32_e32 v6, v56, v6
	v_add_u32_e32 v8, 19, v48
	v_lshrrev_b32_e32 v56, 23, v10
	v_and_b32_e32 v7, 0, v7
	v_lshlrev_b64 v[8:9], v8, 1
	v_add3_u32 v29, v48, v29, v56
	v_bfe_u32 v48, v10, 20, 1
	v_add_u32_e32 v48, -1, v48
	v_cmp_eq_u64_e32 vcc, v[6:7], v[8:9]
	v_cndmask_b32_e32 v6, 0, v48, vcc
	v_add_u32_e32 v6, v6, v10
	v_and_b32_e32 v6, 0xfffff, v6
	v_add_co_u32_e32 v10, vcc, v6, v10
	v_add_u32_e32 v56, 6, v29
	v_addc_co_u32_e32 v11, vcc, 0, v11, vcc
	v_cmp_ne_u32_e32 vcc, 0, v56
                                        ; implicit-def: $vgpr48
	s_and_saveexec_b64 s[22:23], vcc
	s_xor_b64 s[22:23], exec, s[22:23]
; %bb.860:                              ;   in Loop: Header=BB2_124 Depth=2
	v_add_u32_e32 v6, 7, v29
	v_cmp_lt_u64_e32 vcc, s[48:49], v[10:11]
	v_cndmask_b32_e32 v48, v56, v6, vcc
	v_cndmask_b32_e64 v6, 0, 1, vcc
	v_lshrrev_b64 v[10:11], v6, v[10:11]
; %bb.861:                              ;   in Loop: Header=BB2_124 Depth=2
	s_andn2_saveexec_b64 s[22:23], s[22:23]
; %bb.862:                              ;   in Loop: Header=BB2_124 Depth=2
	v_bfe_u32 v48, v10, 23, 1
; %bb.863:                              ;   in Loop: Header=BB2_124 Depth=2
	s_or_b64 exec, exec, s[22:23]
	v_lshrrev_b64 v[6:7], 20, v[10:11]
	v_cmp_gt_i32_e32 vcc, 16, v48
	v_cndmask_b32_e32 v7, 0, v7, vcc
	v_cndmask_b32_e32 v6, 7, v6, vcc
	v_cmp_eq_u64_e64 s[22:23], 0, v[6:7]
	v_min_i32_e32 v7, 15, v48
	v_lshlrev_b32_e32 v7, 3, v7
	v_cmp_eq_u32_e32 vcc, 0, v48
	v_and_b32_e32 v7, 0xf8, v7
	v_and_or_b32 v6, v6, 7, v7
	s_and_b64 s[22:23], vcc, s[22:23]
	v_cndmask_b32_e64 v6, v6, 0, s[22:23]
	v_or_b32_e32 v48, v6, v49
.LBB2_864:                              ;   in Loop: Header=BB2_124 Depth=2
	s_or_b64 exec, exec, s[60:61]
.LBB2_865:                              ;   in Loop: Header=BB2_124 Depth=2
	s_or_b64 exec, exec, s[58:59]
                                        ; implicit-def: $vgpr10
.LBB2_866:                              ;   in Loop: Header=BB2_124 Depth=2
	s_andn2_saveexec_b64 s[22:23], s[56:57]
; %bb.867:                              ;   in Loop: Header=BB2_124 Depth=2
	v_or_b32_sdwa v6, v10, s75 dst_sel:DWORD dst_unused:UNUSED_PAD src0_sel:BYTE_3 src1_sel:DWORD
	v_cmp_eq_u64_e32 vcc, 0, v[56:57]
	v_cndmask_b32_e32 v48, v6, v48, vcc
; %bb.868:                              ;   in Loop: Header=BB2_124 Depth=2
	s_or_b64 exec, exec, s[22:23]
	v_cmp_lt_u64_e32 vcc, s[46:47], v[16:17]
	v_mov_b32_e32 v11, 0
	v_mov_b32_e32 v16, 0
	s_and_saveexec_b64 s[22:23], vcc
	s_cbranch_execz .LBB2_874
; %bb.869:                              ;   in Loop: Header=BB2_124 Depth=2
	v_lshrrev_b32_e32 v10, 24, v17
	v_cmp_ne_u32_e32 vcc, s74, v10
	v_bfrev_b32_e32 v16, 1
	s_and_saveexec_b64 s[56:57], vcc
	s_cbranch_execz .LBB2_873
; %bb.870:                              ;   in Loop: Header=BB2_124 Depth=2
	v_bfe_u32 v17, v17, 24, 7
	v_cmp_ne_u32_e32 vcc, s75, v17
	v_mov_b32_e32 v16, 0x7f800001
	s_and_saveexec_b64 s[58:59], vcc
	s_cbranch_execz .LBB2_872
; %bb.871:                              ;   in Loop: Header=BB2_124 Depth=2
	v_and_b32_e32 v8, 7, v10
	v_ffbh_u32_e32 v6, v8
	v_min_u32_e32 v16, 32, v6
	v_subrev_u32_e32 v6, 28, v16
	v_lshlrev_b64 v[6:7], v6, v[10:11]
	v_lshrrev_b32_e32 v9, 3, v17
	v_sub_u32_e32 v7, 29, v16
	v_and_b32_e32 v6, 7, v6
	v_cmp_gt_u32_e32 vcc, 8, v17
	v_cndmask_b32_e32 v7, v9, v7, vcc
	v_cndmask_b32_e32 v6, v8, v6, vcc
	v_lshlrev_b32_e32 v8, 24, v10
	v_lshlrev_b32_e32 v6, 20, v6
	v_and_b32_e32 v8, 0x80000000, v8
	v_lshl_add_u32 v7, v7, 23, v51
	v_or3_b32 v16, v8, v7, v6
.LBB2_872:                              ;   in Loop: Header=BB2_124 Depth=2
	s_or_b64 exec, exec, s[58:59]
.LBB2_873:                              ;   in Loop: Header=BB2_124 Depth=2
	s_or_b64 exec, exec, s[56:57]
.LBB2_874:                              ;   in Loop: Header=BB2_124 Depth=2
	s_or_b64 exec, exec, s[22:23]
	v_cmp_lt_u64_e32 vcc, s[46:47], v[12:13]
	s_and_saveexec_b64 s[22:23], vcc
	s_cbranch_execz .LBB2_880
; %bb.875:                              ;   in Loop: Header=BB2_124 Depth=2
	v_lshrrev_b32_e32 v10, 24, v13
	v_cmp_ne_u32_e32 vcc, s74, v10
	v_bfrev_b32_e32 v11, 1
	s_and_saveexec_b64 s[56:57], vcc
	s_cbranch_execz .LBB2_879
; %bb.876:                              ;   in Loop: Header=BB2_124 Depth=2
	v_bfe_u32 v12, v13, 24, 7
	v_cmp_ne_u32_e32 vcc, s75, v12
	v_mov_b32_e32 v11, 0x7f800001
	s_and_saveexec_b64 s[58:59], vcc
	s_cbranch_execz .LBB2_878
; %bb.877:                              ;   in Loop: Header=BB2_124 Depth=2
	v_and_b32_e32 v8, 7, v10
	v_ffbh_u32_e32 v6, v8
	v_min_u32_e32 v11, 32, v6
	v_subrev_u32_e32 v6, 28, v11
	v_lshlrev_b64 v[6:7], v6, v[10:11]
	v_lshrrev_b32_e32 v9, 3, v12
	v_sub_u32_e32 v7, 29, v11
	v_and_b32_e32 v6, 7, v6
	v_cmp_gt_u32_e32 vcc, 8, v12
	v_cndmask_b32_e32 v7, v9, v7, vcc
	v_cndmask_b32_e32 v6, v8, v6, vcc
	v_lshlrev_b32_e32 v8, 24, v10
	v_lshlrev_b32_e32 v6, 20, v6
	v_and_b32_e32 v8, 0x80000000, v8
	v_lshl_add_u32 v7, v7, 23, v51
	v_or3_b32 v11, v8, v7, v6
.LBB2_878:                              ;   in Loop: Header=BB2_124 Depth=2
	s_or_b64 exec, exec, s[58:59]
.LBB2_879:                              ;   in Loop: Header=BB2_124 Depth=2
	s_or_b64 exec, exec, s[56:57]
.LBB2_880:                              ;   in Loop: Header=BB2_124 Depth=2
	s_or_b64 exec, exec, s[22:23]
	v_add_f32_e32 v11, v16, v11
	v_and_b32_sdwa v12, v11, s74 dst_sel:DWORD dst_unused:UNUSED_PAD src0_sel:BYTE_3 src1_sel:DWORD
	v_and_b32_e32 v6, 0x7f800000, v11
	v_mov_b32_e32 v7, v57
	v_and_b32_e32 v56, 0x7fffff, v11
	v_or_b32_e32 v10, 0x7e, v12
	v_cmp_ne_u64_e32 vcc, s[42:43], v[6:7]
	s_and_saveexec_b64 s[22:23], vcc
	s_xor_b64 s[56:57], exec, s[22:23]
	s_cbranch_execz .LBB2_890
; %bb.881:                              ;   in Loop: Header=BB2_124 Depth=2
	v_and_b32_e32 v6, 0x7fffffff, v11
	v_mov_b32_e32 v7, v57
	v_cmp_gt_u64_e32 vcc, s[44:45], v[6:7]
	s_and_saveexec_b64 s[58:59], vcc
	s_cbranch_execz .LBB2_889
; %bb.882:                              ;   in Loop: Header=BB2_124 Depth=2
	v_cmp_ne_u32_e32 vcc, 0, v11
	v_mov_b32_e32 v10, 0
	s_and_saveexec_b64 s[60:61], vcc
	s_cbranch_execz .LBB2_888
; %bb.883:                              ;   in Loop: Header=BB2_124 Depth=2
	v_bfe_u32 v6, v11, 23, 8
	v_sub_u32_e32 v8, 0x79, v6
	v_cmp_gt_u32_e32 vcc, s76, v6
	v_add_u32_e32 v7, 0xffffff81, v6
	v_cndmask_b32_e32 v8, 0, v8, vcc
	v_cmp_eq_u32_e32 vcc, 0, v6
	v_mov_b32_e32 v6, 0xffffff82
	v_cndmask_b32_e32 v13, v7, v6, vcc
	v_mov_b32_e32 v6, 0x78
	v_or_b32_e32 v9, 0x800000, v56
	v_cndmask_b32_e32 v16, v8, v6, vcc
	v_cndmask_b32_e32 v56, v9, v56, vcc
	v_add_u32_e32 v6, 20, v16
	v_lshlrev_b64 v[6:7], v6, -1
	v_lshrrev_b64 v[10:11], v16, v[56:57]
	v_not_b32_e32 v7, v7
	v_not_b32_e32 v6, v6
	v_add_u32_e32 v8, 19, v16
	v_lshrrev_b32_e32 v17, 23, v10
	v_and_b32_e32 v7, 0, v7
	v_and_b32_e32 v6, v56, v6
	v_lshlrev_b64 v[8:9], v8, 1
	v_add3_u32 v17, v16, v13, v17
	v_bfe_u32 v13, v10, 20, 1
	v_add_u32_e32 v13, -1, v13
	v_cmp_eq_u64_e32 vcc, v[6:7], v[8:9]
	v_cndmask_b32_e32 v6, 0, v13, vcc
	v_add_u32_e32 v6, v6, v10
	v_and_b32_e32 v6, 0xfffff, v6
	v_add_co_u32_e32 v10, vcc, v6, v10
	v_add_u32_e32 v16, 6, v17
	v_addc_co_u32_e32 v11, vcc, 0, v11, vcc
	v_cmp_ne_u32_e32 vcc, 0, v16
                                        ; implicit-def: $vgpr13
	s_and_saveexec_b64 s[22:23], vcc
	s_xor_b64 s[22:23], exec, s[22:23]
; %bb.884:                              ;   in Loop: Header=BB2_124 Depth=2
	v_add_u32_e32 v6, 7, v17
	v_cmp_lt_u64_e32 vcc, s[48:49], v[10:11]
	v_cndmask_b32_e32 v13, v16, v6, vcc
	v_cndmask_b32_e64 v6, 0, 1, vcc
	v_lshrrev_b64 v[10:11], v6, v[10:11]
; %bb.885:                              ;   in Loop: Header=BB2_124 Depth=2
	s_andn2_saveexec_b64 s[22:23], s[22:23]
; %bb.886:                              ;   in Loop: Header=BB2_124 Depth=2
	v_bfe_u32 v13, v10, 23, 1
; %bb.887:                              ;   in Loop: Header=BB2_124 Depth=2
	s_or_b64 exec, exec, s[22:23]
	v_lshrrev_b64 v[6:7], 20, v[10:11]
	v_cmp_gt_i32_e32 vcc, 16, v13
	v_cndmask_b32_e32 v7, 0, v7, vcc
	v_cndmask_b32_e32 v6, 7, v6, vcc
	v_cmp_eq_u64_e64 s[22:23], 0, v[6:7]
	v_min_i32_e32 v7, 15, v13
	v_lshlrev_b32_e32 v7, 3, v7
	v_cmp_eq_u32_e32 vcc, 0, v13
	v_and_b32_e32 v7, 0xf8, v7
	v_and_or_b32 v6, v6, 7, v7
	s_and_b64 s[22:23], vcc, s[22:23]
	v_cndmask_b32_e64 v6, v6, 0, s[22:23]
	v_or_b32_e32 v10, v6, v12
.LBB2_888:                              ;   in Loop: Header=BB2_124 Depth=2
	s_or_b64 exec, exec, s[60:61]
.LBB2_889:                              ;   in Loop: Header=BB2_124 Depth=2
	s_or_b64 exec, exec, s[58:59]
                                        ; implicit-def: $vgpr11
.LBB2_890:                              ;   in Loop: Header=BB2_124 Depth=2
	s_andn2_saveexec_b64 s[22:23], s[56:57]
	s_cbranch_execz .LBB2_123
; %bb.891:                              ;   in Loop: Header=BB2_124 Depth=2
	v_or_b32_sdwa v6, v11, s75 dst_sel:DWORD dst_unused:UNUSED_PAD src0_sel:BYTE_3 src1_sel:DWORD
	v_cmp_eq_u64_e32 vcc, 0, v[56:57]
	v_cndmask_b32_e32 v10, v6, v10, vcc
	s_branch .LBB2_123
.LBB2_892:                              ;   in Loop: Header=BB2_49 Depth=1
	s_or_b64 exec, exec, s[54:55]
	v_accvgpr_read_b32 v59, a7
	v_accvgpr_read_b32 v43, a19
	;; [unrolled: 1-line block ×9, first 2 shown]
	v_mov_b32_e32 v53, 1
	v_accvgpr_read_b32 v55, a37
.LBB2_893:                              ;   in Loop: Header=BB2_49 Depth=1
	s_or_b64 exec, exec, s[24:25]
	v_and_b32_e32 v5, 0x3ffff800, v55
	v_cmp_ne_u32_e32 vcc, v5, v55
	s_mov_b64 s[22:23], 0
	v_mov_b32_e32 v2, 0
                                        ; implicit-def: $vgpr18
                                        ; implicit-def: $vgpr19
                                        ; implicit-def: $vgpr4
	s_and_saveexec_b64 s[54:55], vcc
	s_cbranch_execz .LBB2_1285
; %bb.894:                              ;   in Loop: Header=BB2_49 Depth=1
	v_lshlrev_b32_e32 v0, 6, v47
	v_accvgpr_read_b32 v2, a25
	v_sub_u32_e32 v0, v2, v0
	v_ashrrev_i32_e32 v2, 31, v0
	v_lshrrev_b32_e32 v2, 26, v2
	v_add_u32_e32 v2, v0, v2
	v_ashrrev_i32_e32 v4, 6, v2
	v_and_b32_e32 v2, 0xffffffc0, v2
	v_and_b32_e32 v1, 0x7ff, v55
	v_sub_u32_e32 v0, v0, v2
	v_and_b32_e32 v3, 0x400, v55
	v_lshlrev_b32_e32 v2, 4, v0
	v_sub_u32_e32 v3, v1, v3
	v_lshl_add_u32 v2, v4, 10, v2
	v_bfe_u32 v6, v55, 10, 1
	v_cmp_lt_i32_e32 vcc, 15, v3
	v_sub_u32_e32 v28, v1, v2
	v_addc_co_u32_e64 v1, s[22:23], 0, v6, vcc
	v_sub_u32_e32 v1, v1, v4
	v_cmp_lt_i32_e64 s[22:23], 15, v28
	s_mov_b64 s[56:57], exec
	s_and_b64 s[22:23], s[56:57], s[22:23]
	v_accvgpr_read_b32 v40, a24
	v_accvgpr_read_b32 v55, a31
	v_accvgpr_read_b32 v46, a32
	v_accvgpr_read_b32 v47, a33
	s_mov_b64 exec, s[22:23]
	s_cbranch_execz .LBB2_1282
; %bb.895:                              ;   in Loop: Header=BB2_49 Depth=1
	s_trap 2
	ds_read_b128 v[6:9], v0
	v_add_u32_e32 v2, v2, v5
	ds_read_b64 v[4:5], v0
	v_ashrrev_i32_e32 v10, 31, v2
	s_mov_b64 s[58:59], 0
	s_waitcnt lgkmcnt(0)
	v_add_co_u32_e64 v18, s[22:23], v6, v2
	v_addc_co_u32_e64 v19, s[22:23], v7, v10, s[22:23]
	v_add_co_u32_e64 v20, s[22:23], v8, v2
	v_addc_co_u32_e64 v21, s[22:23], v9, v10, s[22:23]
	;; [unrolled: 2-line block ×3, first 2 shown]
	s_branch .LBB2_897
.LBB2_896:                              ;   in Loop: Header=BB2_897 Depth=2
	s_or_b64 exec, exec, s[24:25]
	v_lshlrev_b32_e32 v6, 8, v35
	v_perm_b32 v6, v6, v27, s77
	v_lshl_or_b32 v6, v24, 16, v6
	v_and_b32_e32 v2, 0xff, v2
	v_lshlrev_b32_e32 v8, 8, v34
	v_lshl_or_b32 v7, v15, 24, v6
	v_lshlrev_b32_e32 v6, 24, v26
	v_lshlrev_b32_e32 v2, 16, v2
	v_perm_b32 v8, v8, v31, s77
	v_or3_b32 v6, v6, v2, v8
	v_and_b32_e32 v2, 0xff, v30
	v_lshlrev_b32_e32 v8, 8, v52
	v_lshlrev_b32_e32 v4, 24, v4
	;; [unrolled: 1-line block ×3, first 2 shown]
	v_perm_b32 v8, v8, v25, s77
	v_or3_b32 v8, v4, v2, v8
	v_lshlrev_b32_e32 v2, 8, v14
	v_add_co_u32_e64 v18, s[22:23], v18, v46
	v_perm_b32 v2, v2, v5, s77
	v_addc_co_u32_e64 v19, s[22:23], v19, v47, s[22:23]
	v_lshl_or_b32 v2, v48, 16, v2
	v_add_co_u32_e64 v20, s[22:23], v20, v46
	v_lshl_or_b32 v9, v10, 24, v2
	v_addc_co_u32_e64 v21, s[22:23], v21, v47, s[22:23]
	global_store_dwordx4 v[22:23], v[6:9], off glc slc
	v_add_co_u32_e64 v22, s[22:23], v22, v46
	v_addc_co_u32_e64 v23, s[22:23], v23, v47, s[22:23]
	v_sub_u32_e32 v28, v28, v55
	v_cmp_gt_i32_e64 s[22:23], 16, v28
	s_or_b64 s[58:59], s[22:23], s[58:59]
	v_sub_u32_e32 v1, v1, v40
	s_andn2_b64 exec, exec, s[58:59]
	s_cbranch_execz .LBB2_1281
.LBB2_897:                              ;   Parent Loop BB2_49 Depth=1
                                        ; =>  This Inner Loop Header: Depth=2
	global_load_dwordx4 v[14:17], v[18:19], off glc slc
	global_load_dwordx4 v[10:13], v[20:21], off glc slc
	v_mov_b32_e32 v2, 0
	v_mov_b32_e32 v4, 0
	s_waitcnt vmcnt(0)
	v_cmp_ne_u16_sdwa s[22:23], v14, v57 src0_sel:BYTE_0 src1_sel:DWORD
	s_and_saveexec_b64 s[24:25], s[22:23]
	s_cbranch_execz .LBB2_903
; %bb.898:                              ;   in Loop: Header=BB2_897 Depth=2
	v_cmp_ne_u16_sdwa s[22:23], v14, s74 src0_sel:BYTE_0 src1_sel:DWORD
	v_bfrev_b32_e32 v4, 1
	s_and_saveexec_b64 s[60:61], s[22:23]
	s_cbranch_execz .LBB2_902
; %bb.899:                              ;   in Loop: Header=BB2_897 Depth=2
	v_and_b32_e32 v5, 0x7f, v14
	v_cmp_ne_u32_e64 s[22:23], s75, v5
	v_mov_b32_e32 v4, 0x7f800001
	s_and_saveexec_b64 s[62:63], s[22:23]
	s_cbranch_execz .LBB2_901
; %bb.900:                              ;   in Loop: Header=BB2_897 Depth=2
	v_and_b32_e32 v4, 7, v14
	v_ffbh_u32_e32 v4, v4
	v_min_u32_e32 v4, 32, v4
	v_lshrrev_b32_e32 v6, 3, v5
	v_subrev_u32_e32 v7, 28, v4
	v_sub_u32_e32 v4, 29, v4
	v_cmp_gt_u32_e64 s[22:23], 8, v5
	v_cndmask_b32_e64 v6, v6, v4, s[22:23]
	v_cndmask_b32_e64 v4, 0, v7, s[22:23]
	v_lshlrev_b64 v[4:5], v4, v[14:15]
	v_lshlrev_b32_e32 v4, 20, v4
	v_lshlrev_b32_e32 v5, 24, v14
	v_and_b32_e32 v4, 0x700000, v4
	v_and_b32_e32 v5, 0x80000000, v5
	v_lshl_add_u32 v6, v6, 23, v51
	v_or3_b32 v4, v5, v6, v4
.LBB2_901:                              ;   in Loop: Header=BB2_897 Depth=2
	s_or_b64 exec, exec, s[62:63]
.LBB2_902:                              ;   in Loop: Header=BB2_897 Depth=2
	s_or_b64 exec, exec, s[60:61]
.LBB2_903:                              ;   in Loop: Header=BB2_897 Depth=2
	s_or_b64 exec, exec, s[24:25]
	v_cmp_ne_u16_sdwa s[22:23], v10, v57 src0_sel:BYTE_0 src1_sel:DWORD
	s_and_saveexec_b64 s[24:25], s[22:23]
	s_cbranch_execz .LBB2_909
; %bb.904:                              ;   in Loop: Header=BB2_897 Depth=2
	v_cmp_ne_u16_sdwa s[22:23], v10, s74 src0_sel:BYTE_0 src1_sel:DWORD
	v_bfrev_b32_e32 v2, 1
	s_and_saveexec_b64 s[60:61], s[22:23]
	s_cbranch_execz .LBB2_908
; %bb.905:                              ;   in Loop: Header=BB2_897 Depth=2
	v_and_b32_e32 v5, 0x7f, v10
	v_cmp_ne_u32_e64 s[22:23], s75, v5
	v_mov_b32_e32 v2, 0x7f800001
	s_and_saveexec_b64 s[62:63], s[22:23]
	s_cbranch_execz .LBB2_907
; %bb.906:                              ;   in Loop: Header=BB2_897 Depth=2
	v_and_b32_e32 v2, 7, v10
	v_ffbh_u32_e32 v2, v2
	v_min_u32_e32 v2, 32, v2
	v_subrev_u32_e32 v7, 28, v2
	v_cmp_gt_u32_e64 s[22:23], 8, v5
	v_lshrrev_b32_e32 v6, 3, v5
	v_sub_u32_e32 v2, 29, v2
	v_cndmask_b32_e64 v5, 0, v7, s[22:23]
	v_cndmask_b32_e64 v2, v6, v2, s[22:23]
	v_lshlrev_b64 v[6:7], v5, v[10:11]
	v_lshlrev_b32_e32 v5, 20, v6
	v_lshlrev_b32_e32 v6, 24, v10
	v_and_b32_e32 v5, 0x700000, v5
	v_and_b32_e32 v6, 0x80000000, v6
	v_lshl_add_u32 v2, v2, 23, v51
	v_or3_b32 v2, v6, v2, v5
.LBB2_907:                              ;   in Loop: Header=BB2_897 Depth=2
	s_or_b64 exec, exec, s[62:63]
.LBB2_908:                              ;   in Loop: Header=BB2_897 Depth=2
	s_or_b64 exec, exec, s[60:61]
.LBB2_909:                              ;   in Loop: Header=BB2_897 Depth=2
	s_or_b64 exec, exec, s[24:25]
	v_add_f32_e32 v4, v4, v2
	v_and_b32_sdwa v2, v4, s74 dst_sel:DWORD dst_unused:UNUSED_PAD src0_sel:BYTE_3 src1_sel:DWORD
	v_and_b32_e32 v6, 0x7f800000, v4
	v_mov_b32_e32 v7, v57
	v_and_b32_e32 v56, 0x7fffff, v4
	v_or_b32_e32 v31, 0x7e, v2
	v_cmp_ne_u64_e64 s[22:23], s[42:43], v[6:7]
	s_and_saveexec_b64 s[24:25], s[22:23]
	s_xor_b64 s[60:61], exec, s[24:25]
	s_cbranch_execz .LBB2_919
; %bb.910:                              ;   in Loop: Header=BB2_897 Depth=2
	v_and_b32_e32 v6, 0x7fffffff, v4
	v_mov_b32_e32 v7, v57
	v_cmp_gt_u64_e64 s[22:23], s[44:45], v[6:7]
	s_and_saveexec_b64 s[62:63], s[22:23]
	s_cbranch_execz .LBB2_918
; %bb.911:                              ;   in Loop: Header=BB2_897 Depth=2
	v_cmp_ne_u32_e64 s[22:23], 0, v4
	v_mov_b32_e32 v31, 0
	s_and_saveexec_b64 s[64:65], s[22:23]
	s_cbranch_execz .LBB2_917
; %bb.912:                              ;   in Loop: Header=BB2_897 Depth=2
	v_bfe_u32 v4, v4, 23, 8
	v_sub_u32_e32 v6, 0x79, v4
	v_cmp_gt_u32_e64 s[22:23], s76, v4
	v_add_u32_e32 v5, 0xffffff81, v4
	v_cndmask_b32_e64 v6, 0, v6, s[22:23]
	v_cmp_eq_u32_e64 s[22:23], 0, v4
	v_mov_b32_e32 v4, 0xffffff82
	v_cndmask_b32_e64 v26, v5, v4, s[22:23]
	v_mov_b32_e32 v4, 0x78
	v_cndmask_b32_e64 v27, v6, v4, s[22:23]
	v_add_u32_e32 v4, 20, v27
	v_or_b32_e32 v7, 0x800000, v56
	v_lshlrev_b64 v[4:5], v4, -1
	v_cndmask_b32_e64 v56, v7, v56, s[22:23]
	v_not_b32_e32 v4, v4
	v_and_b32_e32 v6, v56, v4
	v_add_u32_e32 v4, 19, v27
	v_lshrrev_b64 v[24:25], v27, v[56:57]
	v_not_b32_e32 v5, v5
	v_lshlrev_b64 v[8:9], v4, 1
	v_lshrrev_b32_e32 v4, 23, v24
	v_and_b32_e32 v7, 0, v5
	v_add3_u32 v26, v27, v26, v4
	v_bfe_u32 v4, v24, 20, 1
	v_add_u32_e32 v4, -1, v4
	v_cmp_eq_u64_e64 s[22:23], v[6:7], v[8:9]
	v_cndmask_b32_e64 v4, 0, v4, s[22:23]
	v_add_u32_e32 v4, v4, v24
	v_and_b32_e32 v4, 0xfffff, v4
	v_add_co_u32_e64 v24, s[22:23], v4, v24
	v_add_u32_e32 v5, 6, v26
	v_addc_co_u32_e64 v25, s[22:23], 0, v25, s[22:23]
	v_cmp_ne_u32_e64 s[22:23], 0, v5
                                        ; implicit-def: $vgpr4
	s_and_saveexec_b64 s[24:25], s[22:23]
	s_xor_b64 s[24:25], exec, s[24:25]
; %bb.913:                              ;   in Loop: Header=BB2_897 Depth=2
	v_add_u32_e32 v4, 7, v26
	v_cmp_lt_u64_e64 s[22:23], s[48:49], v[24:25]
	v_cndmask_b32_e64 v4, v5, v4, s[22:23]
	v_cndmask_b32_e64 v5, 0, 1, s[22:23]
	v_lshrrev_b64 v[24:25], v5, v[24:25]
; %bb.914:                              ;   in Loop: Header=BB2_897 Depth=2
	s_andn2_saveexec_b64 s[22:23], s[24:25]
; %bb.915:                              ;   in Loop: Header=BB2_897 Depth=2
	v_bfe_u32 v4, v24, 23, 1
; %bb.916:                              ;   in Loop: Header=BB2_897 Depth=2
	s_or_b64 exec, exec, s[22:23]
	v_lshrrev_b64 v[6:7], 20, v[24:25]
	v_cmp_gt_i32_e64 s[22:23], 16, v4
	v_cndmask_b32_e64 v7, 0, v7, s[22:23]
	v_cndmask_b32_e64 v6, 7, v6, s[22:23]
	v_cmp_eq_u32_e64 s[22:23], 0, v4
	v_min_i32_e32 v4, 15, v4
	v_cmp_eq_u64_e64 s[24:25], 0, v[6:7]
	v_lshlrev_b32_e32 v4, 3, v4
	v_and_or_b32 v4, v6, 7, v4
	s_and_b64 s[22:23], s[22:23], s[24:25]
	v_cndmask_b32_e64 v4, v4, 0, s[22:23]
	v_or_b32_e32 v31, v4, v2
.LBB2_917:                              ;   in Loop: Header=BB2_897 Depth=2
	s_or_b64 exec, exec, s[64:65]
.LBB2_918:                              ;   in Loop: Header=BB2_897 Depth=2
	s_or_b64 exec, exec, s[62:63]
                                        ; implicit-def: $vgpr4
.LBB2_919:                              ;   in Loop: Header=BB2_897 Depth=2
	s_andn2_saveexec_b64 s[24:25], s[60:61]
; %bb.920:                              ;   in Loop: Header=BB2_897 Depth=2
	v_or_b32_sdwa v2, v4, s75 dst_sel:DWORD dst_unused:UNUSED_PAD src0_sel:BYTE_3 src1_sel:DWORD
	v_cmp_eq_u64_e64 s[22:23], 0, v[56:57]
	v_cndmask_b32_e64 v31, v2, v31, s[22:23]
; %bb.921:                              ;   in Loop: Header=BB2_897 Depth=2
	s_or_b64 exec, exec, s[24:25]
	v_lshrrev_b16_e32 v24, 8, v14
	v_cmp_ne_u16_e64 s[22:23], 0, v24
	v_mov_b32_e32 v2, 0
	v_mov_b32_e32 v4, 0
	s_and_saveexec_b64 s[24:25], s[22:23]
	s_cbranch_execz .LBB2_927
; %bb.922:                              ;   in Loop: Header=BB2_897 Depth=2
	v_cmp_ne_u16_e64 s[22:23], s74, v24
	v_bfrev_b32_e32 v4, 1
	s_and_saveexec_b64 s[60:61], s[22:23]
	s_cbranch_execz .LBB2_926
; %bb.923:                              ;   in Loop: Header=BB2_897 Depth=2
	v_and_b32_e32 v5, 0x7f, v24
	v_cmp_ne_u32_e64 s[22:23], s75, v5
	v_mov_b32_e32 v4, 0x7f800001
	s_and_saveexec_b64 s[62:63], s[22:23]
	s_cbranch_execz .LBB2_925
; %bb.924:                              ;   in Loop: Header=BB2_897 Depth=2
	v_and_b32_e32 v4, 7, v24
	v_ffbh_u32_e32 v6, v4
	v_min_u32_e32 v9, 32, v6
	v_subrev_u32_e32 v6, 28, v9
	v_lshlrev_b64 v[6:7], v6, v[24:25]
	v_lshrrev_b32_e32 v8, 3, v5
	v_sub_u32_e32 v7, 29, v9
	v_and_b32_e32 v6, 7, v6
	v_cmp_gt_u32_e64 s[22:23], 8, v5
	v_cndmask_b32_e64 v5, v8, v7, s[22:23]
	v_cndmask_b32_e64 v4, v4, v6, s[22:23]
	v_lshlrev_b32_e32 v6, 16, v14
	v_lshlrev_b32_e32 v4, 20, v4
	v_and_b32_e32 v6, 0x80000000, v6
	v_lshl_add_u32 v5, v5, 23, v51
	v_or3_b32 v4, v6, v5, v4
.LBB2_925:                              ;   in Loop: Header=BB2_897 Depth=2
	s_or_b64 exec, exec, s[62:63]
.LBB2_926:                              ;   in Loop: Header=BB2_897 Depth=2
	s_or_b64 exec, exec, s[60:61]
.LBB2_927:                              ;   in Loop: Header=BB2_897 Depth=2
	s_or_b64 exec, exec, s[24:25]
	v_lshrrev_b16_e32 v24, 8, v10
	v_cmp_ne_u16_e64 s[22:23], 0, v24
	s_and_saveexec_b64 s[24:25], s[22:23]
	s_cbranch_execz .LBB2_933
; %bb.928:                              ;   in Loop: Header=BB2_897 Depth=2
	v_cmp_ne_u16_e64 s[22:23], s74, v24
	v_bfrev_b32_e32 v2, 1
	s_and_saveexec_b64 s[60:61], s[22:23]
	s_cbranch_execz .LBB2_932
; %bb.929:                              ;   in Loop: Header=BB2_897 Depth=2
	v_and_b32_e32 v5, 0x7f, v24
	v_cmp_ne_u32_e64 s[22:23], s75, v5
	v_mov_b32_e32 v2, 0x7f800001
	s_and_saveexec_b64 s[62:63], s[22:23]
	s_cbranch_execz .LBB2_931
; %bb.930:                              ;   in Loop: Header=BB2_897 Depth=2
	v_and_b32_e32 v2, 7, v24
	v_ffbh_u32_e32 v6, v2
	v_min_u32_e32 v9, 32, v6
	v_subrev_u32_e32 v6, 28, v9
	v_lshlrev_b64 v[6:7], v6, v[24:25]
	v_lshrrev_b32_e32 v8, 3, v5
	v_sub_u32_e32 v7, 29, v9
	v_and_b32_e32 v6, 7, v6
	v_cmp_gt_u32_e64 s[22:23], 8, v5
	v_cndmask_b32_e64 v5, v8, v7, s[22:23]
	v_cndmask_b32_e64 v2, v2, v6, s[22:23]
	v_lshlrev_b32_e32 v6, 16, v10
	v_lshlrev_b32_e32 v2, 20, v2
	v_and_b32_e32 v6, 0x80000000, v6
	v_lshl_add_u32 v5, v5, 23, v51
	v_or3_b32 v2, v6, v5, v2
.LBB2_931:                              ;   in Loop: Header=BB2_897 Depth=2
	s_or_b64 exec, exec, s[62:63]
.LBB2_932:                              ;   in Loop: Header=BB2_897 Depth=2
	s_or_b64 exec, exec, s[60:61]
.LBB2_933:                              ;   in Loop: Header=BB2_897 Depth=2
	s_or_b64 exec, exec, s[24:25]
	v_add_f32_e32 v4, v4, v2
	v_and_b32_sdwa v2, v4, s74 dst_sel:DWORD dst_unused:UNUSED_PAD src0_sel:BYTE_3 src1_sel:DWORD
	v_and_b32_e32 v6, 0x7f800000, v4
	v_mov_b32_e32 v7, v57
	v_and_b32_e32 v56, 0x7fffff, v4
	v_or_b32_e32 v34, 0x7e, v2
	v_cmp_ne_u64_e64 s[22:23], s[42:43], v[6:7]
	s_and_saveexec_b64 s[24:25], s[22:23]
	s_xor_b64 s[60:61], exec, s[24:25]
	s_cbranch_execz .LBB2_943
; %bb.934:                              ;   in Loop: Header=BB2_897 Depth=2
	v_and_b32_e32 v6, 0x7fffffff, v4
	v_mov_b32_e32 v7, v57
	v_cmp_gt_u64_e64 s[22:23], s[44:45], v[6:7]
	s_and_saveexec_b64 s[62:63], s[22:23]
	s_cbranch_execz .LBB2_942
; %bb.935:                              ;   in Loop: Header=BB2_897 Depth=2
	v_cmp_ne_u32_e64 s[22:23], 0, v4
	v_mov_b32_e32 v34, 0
	s_and_saveexec_b64 s[64:65], s[22:23]
	s_cbranch_execz .LBB2_941
; %bb.936:                              ;   in Loop: Header=BB2_897 Depth=2
	v_bfe_u32 v4, v4, 23, 8
	v_sub_u32_e32 v6, 0x79, v4
	v_cmp_gt_u32_e64 s[22:23], s76, v4
	v_add_u32_e32 v5, 0xffffff81, v4
	v_cndmask_b32_e64 v6, 0, v6, s[22:23]
	v_cmp_eq_u32_e64 s[22:23], 0, v4
	v_mov_b32_e32 v4, 0xffffff82
	v_cndmask_b32_e64 v26, v5, v4, s[22:23]
	v_mov_b32_e32 v4, 0x78
	v_cndmask_b32_e64 v27, v6, v4, s[22:23]
	v_add_u32_e32 v4, 20, v27
	v_or_b32_e32 v7, 0x800000, v56
	v_lshlrev_b64 v[4:5], v4, -1
	v_cndmask_b32_e64 v56, v7, v56, s[22:23]
	v_not_b32_e32 v4, v4
	v_and_b32_e32 v6, v56, v4
	v_add_u32_e32 v4, 19, v27
	v_lshrrev_b64 v[24:25], v27, v[56:57]
	v_not_b32_e32 v5, v5
	v_lshlrev_b64 v[8:9], v4, 1
	v_lshrrev_b32_e32 v4, 23, v24
	v_and_b32_e32 v7, 0, v5
	v_add3_u32 v26, v27, v26, v4
	v_bfe_u32 v4, v24, 20, 1
	v_add_u32_e32 v4, -1, v4
	v_cmp_eq_u64_e64 s[22:23], v[6:7], v[8:9]
	v_cndmask_b32_e64 v4, 0, v4, s[22:23]
	v_add_u32_e32 v4, v4, v24
	v_and_b32_e32 v4, 0xfffff, v4
	v_add_co_u32_e64 v24, s[22:23], v4, v24
	v_add_u32_e32 v5, 6, v26
	v_addc_co_u32_e64 v25, s[22:23], 0, v25, s[22:23]
	v_cmp_ne_u32_e64 s[22:23], 0, v5
                                        ; implicit-def: $vgpr4
	s_and_saveexec_b64 s[24:25], s[22:23]
	s_xor_b64 s[24:25], exec, s[24:25]
; %bb.937:                              ;   in Loop: Header=BB2_897 Depth=2
	v_add_u32_e32 v4, 7, v26
	v_cmp_lt_u64_e64 s[22:23], s[48:49], v[24:25]
	v_cndmask_b32_e64 v4, v5, v4, s[22:23]
	v_cndmask_b32_e64 v5, 0, 1, s[22:23]
	v_lshrrev_b64 v[24:25], v5, v[24:25]
; %bb.938:                              ;   in Loop: Header=BB2_897 Depth=2
	s_andn2_saveexec_b64 s[22:23], s[24:25]
; %bb.939:                              ;   in Loop: Header=BB2_897 Depth=2
	v_bfe_u32 v4, v24, 23, 1
; %bb.940:                              ;   in Loop: Header=BB2_897 Depth=2
	s_or_b64 exec, exec, s[22:23]
	v_lshrrev_b64 v[6:7], 20, v[24:25]
	v_cmp_gt_i32_e64 s[22:23], 16, v4
	v_cndmask_b32_e64 v7, 0, v7, s[22:23]
	v_cndmask_b32_e64 v6, 7, v6, s[22:23]
	v_cmp_eq_u32_e64 s[22:23], 0, v4
	v_min_i32_e32 v4, 15, v4
	v_cmp_eq_u64_e64 s[24:25], 0, v[6:7]
	v_lshlrev_b32_e32 v4, 3, v4
	v_and_or_b32 v4, v6, 7, v4
	s_and_b64 s[22:23], s[22:23], s[24:25]
	v_cndmask_b32_e64 v4, v4, 0, s[22:23]
	v_or_b32_e32 v34, v4, v2
.LBB2_941:                              ;   in Loop: Header=BB2_897 Depth=2
	s_or_b64 exec, exec, s[64:65]
.LBB2_942:                              ;   in Loop: Header=BB2_897 Depth=2
	s_or_b64 exec, exec, s[62:63]
                                        ; implicit-def: $vgpr4
.LBB2_943:                              ;   in Loop: Header=BB2_897 Depth=2
	s_andn2_saveexec_b64 s[24:25], s[60:61]
; %bb.944:                              ;   in Loop: Header=BB2_897 Depth=2
	v_or_b32_sdwa v2, v4, s75 dst_sel:DWORD dst_unused:UNUSED_PAD src0_sel:BYTE_3 src1_sel:DWORD
	v_cmp_eq_u64_e64 s[22:23], 0, v[56:57]
	v_cndmask_b32_e64 v34, v2, v34, s[22:23]
; %bb.945:                              ;   in Loop: Header=BB2_897 Depth=2
	s_or_b64 exec, exec, s[24:25]
	v_lshrrev_b32_e32 v24, 16, v14
	v_cmp_ne_u16_sdwa s[22:23], v24, v57 src0_sel:BYTE_0 src1_sel:DWORD
	v_mov_b32_e32 v2, 0
	v_mov_b32_e32 v4, 0
	s_and_saveexec_b64 s[24:25], s[22:23]
	s_cbranch_execz .LBB2_951
; %bb.946:                              ;   in Loop: Header=BB2_897 Depth=2
	v_cmp_ne_u16_sdwa s[22:23], v24, s74 src0_sel:BYTE_0 src1_sel:DWORD
	v_bfrev_b32_e32 v4, 1
	s_and_saveexec_b64 s[60:61], s[22:23]
	s_cbranch_execz .LBB2_950
; %bb.947:                              ;   in Loop: Header=BB2_897 Depth=2
	v_bfe_u32 v5, v14, 16, 7
	v_cmp_ne_u32_e64 s[22:23], s75, v5
	v_mov_b32_e32 v4, 0x7f800001
	s_and_saveexec_b64 s[62:63], s[22:23]
	s_cbranch_execz .LBB2_949
; %bb.948:                              ;   in Loop: Header=BB2_897 Depth=2
	v_and_b32_e32 v4, 7, v24
	v_ffbh_u32_e32 v6, v4
	v_min_u32_e32 v9, 32, v6
	v_subrev_u32_e32 v6, 28, v9
	v_lshlrev_b64 v[6:7], v6, v[24:25]
	v_lshrrev_b32_e32 v8, 3, v5
	v_sub_u32_e32 v7, 29, v9
	v_and_b32_e32 v6, 7, v6
	v_cmp_gt_u32_e64 s[22:23], 8, v5
	v_cndmask_b32_e64 v5, v8, v7, s[22:23]
	v_cndmask_b32_e64 v4, v4, v6, s[22:23]
	v_lshlrev_b32_e32 v6, 24, v24
	v_lshlrev_b32_e32 v4, 20, v4
	v_and_b32_e32 v6, 0x80000000, v6
	v_lshl_add_u32 v5, v5, 23, v51
	v_or3_b32 v4, v6, v5, v4
.LBB2_949:                              ;   in Loop: Header=BB2_897 Depth=2
	s_or_b64 exec, exec, s[62:63]
.LBB2_950:                              ;   in Loop: Header=BB2_897 Depth=2
	s_or_b64 exec, exec, s[60:61]
.LBB2_951:                              ;   in Loop: Header=BB2_897 Depth=2
	s_or_b64 exec, exec, s[24:25]
	v_lshrrev_b32_e32 v24, 16, v10
	v_cmp_ne_u16_sdwa s[22:23], v24, v57 src0_sel:BYTE_0 src1_sel:DWORD
	s_and_saveexec_b64 s[24:25], s[22:23]
	s_cbranch_execz .LBB2_957
; %bb.952:                              ;   in Loop: Header=BB2_897 Depth=2
	v_cmp_ne_u16_sdwa s[22:23], v24, s74 src0_sel:BYTE_0 src1_sel:DWORD
	v_bfrev_b32_e32 v2, 1
	s_and_saveexec_b64 s[60:61], s[22:23]
	s_cbranch_execz .LBB2_956
; %bb.953:                              ;   in Loop: Header=BB2_897 Depth=2
	v_bfe_u32 v5, v10, 16, 7
	v_cmp_ne_u32_e64 s[22:23], s75, v5
	v_mov_b32_e32 v2, 0x7f800001
	s_and_saveexec_b64 s[62:63], s[22:23]
	s_cbranch_execz .LBB2_955
; %bb.954:                              ;   in Loop: Header=BB2_897 Depth=2
	v_and_b32_e32 v2, 7, v24
	v_ffbh_u32_e32 v6, v2
	v_min_u32_e32 v9, 32, v6
	v_subrev_u32_e32 v6, 28, v9
	v_lshlrev_b64 v[6:7], v6, v[24:25]
	v_lshrrev_b32_e32 v8, 3, v5
	v_sub_u32_e32 v7, 29, v9
	v_and_b32_e32 v6, 7, v6
	v_cmp_gt_u32_e64 s[22:23], 8, v5
	v_cndmask_b32_e64 v5, v8, v7, s[22:23]
	v_cndmask_b32_e64 v2, v2, v6, s[22:23]
	v_lshlrev_b32_e32 v6, 8, v10
	v_lshlrev_b32_e32 v2, 20, v2
	v_and_b32_e32 v6, 0x80000000, v6
	v_lshl_add_u32 v5, v5, 23, v51
	v_or3_b32 v2, v6, v5, v2
.LBB2_955:                              ;   in Loop: Header=BB2_897 Depth=2
	s_or_b64 exec, exec, s[62:63]
.LBB2_956:                              ;   in Loop: Header=BB2_897 Depth=2
	s_or_b64 exec, exec, s[60:61]
.LBB2_957:                              ;   in Loop: Header=BB2_897 Depth=2
	s_or_b64 exec, exec, s[24:25]
	v_add_f32_e32 v5, v4, v2
	v_and_b32_sdwa v4, v5, s74 dst_sel:DWORD dst_unused:UNUSED_PAD src0_sel:BYTE_3 src1_sel:DWORD
	v_and_b32_e32 v6, 0x7f800000, v5
	v_mov_b32_e32 v7, v57
	v_and_b32_e32 v56, 0x7fffff, v5
	v_or_b32_e32 v2, 0x7e, v4
	v_cmp_ne_u64_e64 s[22:23], s[42:43], v[6:7]
	s_and_saveexec_b64 s[24:25], s[22:23]
	s_xor_b64 s[60:61], exec, s[24:25]
	s_cbranch_execz .LBB2_967
; %bb.958:                              ;   in Loop: Header=BB2_897 Depth=2
	v_and_b32_e32 v6, 0x7fffffff, v5
	v_mov_b32_e32 v7, v57
	v_cmp_gt_u64_e64 s[22:23], s[44:45], v[6:7]
	s_and_saveexec_b64 s[62:63], s[22:23]
	s_cbranch_execz .LBB2_966
; %bb.959:                              ;   in Loop: Header=BB2_897 Depth=2
	v_cmp_ne_u32_e64 s[22:23], 0, v5
	v_mov_b32_e32 v2, 0
	s_and_saveexec_b64 s[64:65], s[22:23]
	s_cbranch_execz .LBB2_965
; %bb.960:                              ;   in Loop: Header=BB2_897 Depth=2
	v_bfe_u32 v2, v5, 23, 8
	v_sub_u32_e32 v6, 0x79, v2
	v_cmp_gt_u32_e64 s[22:23], s76, v2
	v_add_u32_e32 v5, 0xffffff81, v2
	v_cndmask_b32_e64 v6, 0, v6, s[22:23]
	v_cmp_eq_u32_e64 s[22:23], 0, v2
	v_mov_b32_e32 v2, 0xffffff82
	v_cndmask_b32_e64 v2, v5, v2, s[22:23]
	v_mov_b32_e32 v5, 0x78
	v_or_b32_e32 v7, 0x800000, v56
	v_cndmask_b32_e64 v5, v6, v5, s[22:23]
	v_cndmask_b32_e64 v56, v7, v56, s[22:23]
	v_add_u32_e32 v6, 20, v5
	v_lshlrev_b64 v[6:7], v6, -1
	v_lshrrev_b64 v[24:25], v5, v[56:57]
	v_not_b32_e32 v7, v7
	v_not_b32_e32 v6, v6
	v_add_u32_e32 v8, 19, v5
	v_lshrrev_b32_e32 v26, 23, v24
	v_and_b32_e32 v7, 0, v7
	v_and_b32_e32 v6, v56, v6
	v_lshlrev_b64 v[8:9], v8, 1
	v_add3_u32 v26, v5, v2, v26
	v_bfe_u32 v2, v24, 20, 1
	v_add_u32_e32 v2, -1, v2
	v_cmp_eq_u64_e64 s[22:23], v[6:7], v[8:9]
	v_cndmask_b32_e64 v2, 0, v2, s[22:23]
	v_add_u32_e32 v2, v2, v24
	v_and_b32_e32 v2, 0xfffff, v2
	v_add_co_u32_e64 v24, s[22:23], v2, v24
	v_add_u32_e32 v5, 6, v26
	v_addc_co_u32_e64 v25, s[22:23], 0, v25, s[22:23]
	v_cmp_ne_u32_e64 s[22:23], 0, v5
                                        ; implicit-def: $vgpr2
	s_and_saveexec_b64 s[24:25], s[22:23]
	s_xor_b64 s[24:25], exec, s[24:25]
; %bb.961:                              ;   in Loop: Header=BB2_897 Depth=2
	v_add_u32_e32 v2, 7, v26
	v_cmp_lt_u64_e64 s[22:23], s[48:49], v[24:25]
	v_cndmask_b32_e64 v2, v5, v2, s[22:23]
	v_cndmask_b32_e64 v5, 0, 1, s[22:23]
	v_lshrrev_b64 v[24:25], v5, v[24:25]
; %bb.962:                              ;   in Loop: Header=BB2_897 Depth=2
	s_andn2_saveexec_b64 s[22:23], s[24:25]
; %bb.963:                              ;   in Loop: Header=BB2_897 Depth=2
	v_bfe_u32 v2, v24, 23, 1
; %bb.964:                              ;   in Loop: Header=BB2_897 Depth=2
	s_or_b64 exec, exec, s[22:23]
	v_lshrrev_b64 v[6:7], 20, v[24:25]
	v_cmp_gt_i32_e64 s[22:23], 16, v2
	v_cndmask_b32_e64 v7, 0, v7, s[22:23]
	v_cndmask_b32_e64 v6, 7, v6, s[22:23]
	v_cmp_eq_u32_e64 s[22:23], 0, v2
	v_min_i32_e32 v2, 15, v2
	v_cmp_eq_u64_e64 s[24:25], 0, v[6:7]
	v_lshlrev_b32_e32 v2, 3, v2
	v_and_or_b32 v2, v6, 7, v2
	s_and_b64 s[22:23], s[22:23], s[24:25]
	v_cndmask_b32_e64 v2, v2, 0, s[22:23]
	v_or_b32_e32 v2, v2, v4
.LBB2_965:                              ;   in Loop: Header=BB2_897 Depth=2
	s_or_b64 exec, exec, s[64:65]
.LBB2_966:                              ;   in Loop: Header=BB2_897 Depth=2
	s_or_b64 exec, exec, s[62:63]
                                        ; implicit-def: $vgpr5
.LBB2_967:                              ;   in Loop: Header=BB2_897 Depth=2
	s_andn2_saveexec_b64 s[24:25], s[60:61]
; %bb.968:                              ;   in Loop: Header=BB2_897 Depth=2
	v_or_b32_sdwa v4, v5, s75 dst_sel:DWORD dst_unused:UNUSED_PAD src0_sel:BYTE_3 src1_sel:DWORD
	v_cmp_eq_u64_e64 s[22:23], 0, v[56:57]
	v_cndmask_b32_e64 v2, v4, v2, s[22:23]
; %bb.969:                              ;   in Loop: Header=BB2_897 Depth=2
	s_or_b64 exec, exec, s[24:25]
	v_cmp_lt_u32_e64 s[22:23], s47, v14
	v_mov_b32_e32 v4, 0
	v_mov_b32_e32 v5, 0
	s_and_saveexec_b64 s[24:25], s[22:23]
	s_cbranch_execz .LBB2_975
; %bb.970:                              ;   in Loop: Header=BB2_897 Depth=2
	v_lshrrev_b32_e32 v24, 24, v14
	v_cmp_ne_u32_e64 s[22:23], s74, v24
	v_bfrev_b32_e32 v5, 1
	s_and_saveexec_b64 s[60:61], s[22:23]
	s_cbranch_execz .LBB2_974
; %bb.971:                              ;   in Loop: Header=BB2_897 Depth=2
	v_bfe_u32 v25, v14, 24, 7
	v_cmp_ne_u32_e64 s[22:23], s75, v25
	v_mov_b32_e32 v5, 0x7f800001
	s_and_saveexec_b64 s[62:63], s[22:23]
	s_cbranch_execz .LBB2_973
; %bb.972:                              ;   in Loop: Header=BB2_897 Depth=2
	v_and_b32_e32 v5, 7, v24
	v_ffbh_u32_e32 v6, v5
	v_min_u32_e32 v9, 32, v6
	v_subrev_u32_e32 v6, 28, v9
	v_lshlrev_b64 v[6:7], v6, v[24:25]
	v_lshrrev_b32_e32 v8, 3, v25
	v_sub_u32_e32 v7, 29, v9
	v_and_b32_e32 v6, 7, v6
	v_cmp_gt_u32_e64 s[22:23], 8, v25
	v_cndmask_b32_e64 v7, v8, v7, s[22:23]
	v_cndmask_b32_e64 v5, v5, v6, s[22:23]
	v_lshlrev_b32_e32 v6, 24, v24
	v_lshlrev_b32_e32 v5, 20, v5
	v_and_b32_e32 v6, 0x80000000, v6
	v_lshl_add_u32 v7, v7, 23, v51
	v_or3_b32 v5, v6, v7, v5
.LBB2_973:                              ;   in Loop: Header=BB2_897 Depth=2
	s_or_b64 exec, exec, s[62:63]
.LBB2_974:                              ;   in Loop: Header=BB2_897 Depth=2
	s_or_b64 exec, exec, s[60:61]
.LBB2_975:                              ;   in Loop: Header=BB2_897 Depth=2
	s_or_b64 exec, exec, s[24:25]
	v_cmp_lt_u32_e64 s[22:23], s47, v10
	s_and_saveexec_b64 s[24:25], s[22:23]
	s_cbranch_execz .LBB2_981
; %bb.976:                              ;   in Loop: Header=BB2_897 Depth=2
	v_lshrrev_b32_e32 v24, 24, v10
	v_cmp_ne_u32_e64 s[22:23], s74, v24
	v_bfrev_b32_e32 v4, 1
	s_and_saveexec_b64 s[60:61], s[22:23]
	s_cbranch_execz .LBB2_980
; %bb.977:                              ;   in Loop: Header=BB2_897 Depth=2
	v_bfe_u32 v25, v10, 24, 7
	v_cmp_ne_u32_e64 s[22:23], s75, v25
	v_mov_b32_e32 v4, 0x7f800001
	s_and_saveexec_b64 s[62:63], s[22:23]
	s_cbranch_execz .LBB2_979
; %bb.978:                              ;   in Loop: Header=BB2_897 Depth=2
	v_and_b32_e32 v4, 7, v24
	v_ffbh_u32_e32 v6, v4
	v_min_u32_e32 v9, 32, v6
	v_subrev_u32_e32 v6, 28, v9
	v_lshlrev_b64 v[6:7], v6, v[24:25]
	v_lshrrev_b32_e32 v8, 3, v25
	v_sub_u32_e32 v7, 29, v9
	v_and_b32_e32 v6, 7, v6
	v_cmp_gt_u32_e64 s[22:23], 8, v25
	v_cndmask_b32_e64 v7, v8, v7, s[22:23]
	v_cndmask_b32_e64 v4, v4, v6, s[22:23]
	v_lshlrev_b32_e32 v6, 24, v24
	v_lshlrev_b32_e32 v4, 20, v4
	v_and_b32_e32 v6, 0x80000000, v6
	v_lshl_add_u32 v7, v7, 23, v51
	v_or3_b32 v4, v6, v7, v4
.LBB2_979:                              ;   in Loop: Header=BB2_897 Depth=2
	s_or_b64 exec, exec, s[62:63]
.LBB2_980:                              ;   in Loop: Header=BB2_897 Depth=2
	s_or_b64 exec, exec, s[60:61]
.LBB2_981:                              ;   in Loop: Header=BB2_897 Depth=2
	s_or_b64 exec, exec, s[24:25]
	v_add_f32_e32 v5, v5, v4
	v_and_b32_sdwa v4, v5, s74 dst_sel:DWORD dst_unused:UNUSED_PAD src0_sel:BYTE_3 src1_sel:DWORD
	v_and_b32_e32 v6, 0x7f800000, v5
	v_mov_b32_e32 v7, v57
	v_and_b32_e32 v56, 0x7fffff, v5
	v_or_b32_e32 v26, 0x7e, v4
	v_cmp_ne_u64_e64 s[22:23], s[42:43], v[6:7]
	s_and_saveexec_b64 s[24:25], s[22:23]
	s_xor_b64 s[60:61], exec, s[24:25]
	s_cbranch_execz .LBB2_991
; %bb.982:                              ;   in Loop: Header=BB2_897 Depth=2
	v_and_b32_e32 v6, 0x7fffffff, v5
	v_mov_b32_e32 v7, v57
	v_cmp_gt_u64_e64 s[22:23], s[44:45], v[6:7]
	s_and_saveexec_b64 s[62:63], s[22:23]
	s_cbranch_execz .LBB2_990
; %bb.983:                              ;   in Loop: Header=BB2_897 Depth=2
	v_cmp_ne_u32_e64 s[22:23], 0, v5
	v_mov_b32_e32 v26, 0
	s_and_saveexec_b64 s[64:65], s[22:23]
	s_cbranch_execz .LBB2_989
; %bb.984:                              ;   in Loop: Header=BB2_897 Depth=2
	v_bfe_u32 v5, v5, 23, 8
	v_sub_u32_e32 v7, 0x79, v5
	v_cmp_gt_u32_e64 s[22:23], s76, v5
	v_add_u32_e32 v6, 0xffffff81, v5
	v_cndmask_b32_e64 v7, 0, v7, s[22:23]
	v_cmp_eq_u32_e64 s[22:23], 0, v5
	v_mov_b32_e32 v5, 0xffffff82
	v_cndmask_b32_e64 v5, v6, v5, s[22:23]
	v_mov_b32_e32 v6, 0x78
	v_or_b32_e32 v8, 0x800000, v56
	v_cndmask_b32_e64 v26, v7, v6, s[22:23]
	v_cndmask_b32_e64 v56, v8, v56, s[22:23]
	v_add_u32_e32 v6, 20, v26
	v_lshlrev_b64 v[6:7], v6, -1
	v_lshrrev_b64 v[24:25], v26, v[56:57]
	v_not_b32_e32 v7, v7
	v_not_b32_e32 v6, v6
	v_add_u32_e32 v8, 19, v26
	v_lshrrev_b32_e32 v27, 23, v24
	v_and_b32_e32 v7, 0, v7
	v_and_b32_e32 v6, v56, v6
	v_lshlrev_b64 v[8:9], v8, 1
	v_add3_u32 v27, v26, v5, v27
	v_bfe_u32 v5, v24, 20, 1
	v_add_u32_e32 v5, -1, v5
	v_cmp_eq_u64_e64 s[22:23], v[6:7], v[8:9]
	v_cndmask_b32_e64 v5, 0, v5, s[22:23]
	v_add_u32_e32 v5, v5, v24
	v_and_b32_e32 v5, 0xfffff, v5
	v_add_co_u32_e64 v24, s[22:23], v5, v24
	v_add_u32_e32 v26, 6, v27
	v_addc_co_u32_e64 v25, s[22:23], 0, v25, s[22:23]
	v_cmp_ne_u32_e64 s[22:23], 0, v26
                                        ; implicit-def: $vgpr5
	s_and_saveexec_b64 s[24:25], s[22:23]
	s_xor_b64 s[24:25], exec, s[24:25]
; %bb.985:                              ;   in Loop: Header=BB2_897 Depth=2
	v_cmp_lt_u64_e64 s[22:23], s[48:49], v[24:25]
	v_add_u32_e32 v5, 7, v27
	v_cndmask_b32_e64 v6, 0, 1, s[22:23]
	v_cndmask_b32_e64 v5, v26, v5, s[22:23]
	v_lshrrev_b64 v[24:25], v6, v[24:25]
; %bb.986:                              ;   in Loop: Header=BB2_897 Depth=2
	s_andn2_saveexec_b64 s[22:23], s[24:25]
; %bb.987:                              ;   in Loop: Header=BB2_897 Depth=2
	v_bfe_u32 v5, v24, 23, 1
; %bb.988:                              ;   in Loop: Header=BB2_897 Depth=2
	s_or_b64 exec, exec, s[22:23]
	v_lshrrev_b64 v[6:7], 20, v[24:25]
	v_cmp_gt_i32_e64 s[22:23], 16, v5
	v_cndmask_b32_e64 v7, 0, v7, s[22:23]
	v_cndmask_b32_e64 v6, 7, v6, s[22:23]
	v_cmp_eq_u32_e64 s[22:23], 0, v5
	v_min_i32_e32 v5, 15, v5
	v_cmp_eq_u64_e64 s[24:25], 0, v[6:7]
	v_lshlrev_b32_e32 v5, 3, v5
	v_and_or_b32 v5, v6, 7, v5
	s_and_b64 s[22:23], s[22:23], s[24:25]
	v_cndmask_b32_e64 v5, v5, 0, s[22:23]
	v_or_b32_e32 v26, v5, v4
.LBB2_989:                              ;   in Loop: Header=BB2_897 Depth=2
	s_or_b64 exec, exec, s[64:65]
.LBB2_990:                              ;   in Loop: Header=BB2_897 Depth=2
	s_or_b64 exec, exec, s[62:63]
                                        ; implicit-def: $vgpr5
.LBB2_991:                              ;   in Loop: Header=BB2_897 Depth=2
	s_andn2_saveexec_b64 s[24:25], s[60:61]
; %bb.992:                              ;   in Loop: Header=BB2_897 Depth=2
	v_or_b32_sdwa v4, v5, s75 dst_sel:DWORD dst_unused:UNUSED_PAD src0_sel:BYTE_3 src1_sel:DWORD
	v_cmp_eq_u64_e64 s[22:23], 0, v[56:57]
	v_cndmask_b32_e64 v26, v4, v26, s[22:23]
; %bb.993:                              ;   in Loop: Header=BB2_897 Depth=2
	s_or_b64 exec, exec, s[24:25]
	v_mov_b32_e32 v56, v15
	v_cmp_ne_u16_sdwa s[22:23], v15, v57 src0_sel:BYTE_0 src1_sel:DWORD
	v_mov_b32_e32 v5, 0
	v_mov_b32_e32 v4, 0
	s_and_saveexec_b64 s[24:25], s[22:23]
	s_cbranch_execz .LBB2_999
; %bb.994:                              ;   in Loop: Header=BB2_897 Depth=2
	v_cmp_ne_u16_sdwa s[22:23], v15, s74 src0_sel:BYTE_0 src1_sel:DWORD
	v_bfrev_b32_e32 v4, 1
	s_and_saveexec_b64 s[60:61], s[22:23]
	s_cbranch_execz .LBB2_998
; %bb.995:                              ;   in Loop: Header=BB2_897 Depth=2
	v_and_b32_e32 v24, 0x7f, v15
	v_cmp_ne_u32_e64 s[22:23], s75, v24
	v_mov_b32_e32 v4, 0x7f800001
	s_and_saveexec_b64 s[62:63], s[22:23]
	s_cbranch_execz .LBB2_997
; %bb.996:                              ;   in Loop: Header=BB2_897 Depth=2
	v_and_b32_e32 v4, 7, v15
	v_ffbh_u32_e32 v4, v4
	v_min_u32_e32 v4, 32, v4
	v_lshrrev_b32_e32 v6, 3, v24
	v_subrev_u32_e32 v7, 28, v4
	v_sub_u32_e32 v4, 29, v4
	v_cmp_gt_u32_e64 s[22:23], 8, v24
	v_cndmask_b32_e64 v4, v6, v4, s[22:23]
	v_cndmask_b32_e64 v6, 0, v7, s[22:23]
	v_lshlrev_b64 v[6:7], v6, v[56:57]
	v_lshlrev_b32_e32 v6, 20, v6
	v_lshlrev_b32_e32 v7, 24, v56
	v_and_b32_e32 v6, 0x700000, v6
	v_and_b32_e32 v7, 0x80000000, v7
	v_lshl_add_u32 v4, v4, 23, v51
	v_or3_b32 v4, v7, v4, v6
.LBB2_997:                              ;   in Loop: Header=BB2_897 Depth=2
	s_or_b64 exec, exec, s[62:63]
.LBB2_998:                              ;   in Loop: Header=BB2_897 Depth=2
	s_or_b64 exec, exec, s[60:61]
.LBB2_999:                              ;   in Loop: Header=BB2_897 Depth=2
	s_or_b64 exec, exec, s[24:25]
	v_cmp_ne_u16_sdwa s[22:23], v11, v57 src0_sel:BYTE_0 src1_sel:DWORD
	s_and_saveexec_b64 s[24:25], s[22:23]
	s_cbranch_execz .LBB2_1005
; %bb.1000:                             ;   in Loop: Header=BB2_897 Depth=2
	v_cmp_ne_u16_sdwa s[22:23], v11, s74 src0_sel:BYTE_0 src1_sel:DWORD
	v_bfrev_b32_e32 v5, 1
	s_and_saveexec_b64 s[60:61], s[22:23]
	s_cbranch_execz .LBB2_1004
; %bb.1001:                             ;   in Loop: Header=BB2_897 Depth=2
	v_and_b32_e32 v24, 0x7f, v11
	v_cmp_ne_u32_e64 s[22:23], s75, v24
	v_mov_b32_e32 v5, 0x7f800001
	s_and_saveexec_b64 s[62:63], s[22:23]
	s_cbranch_execz .LBB2_1003
; %bb.1002:                             ;   in Loop: Header=BB2_897 Depth=2
	v_and_b32_e32 v5, 7, v11
	v_ffbh_u32_e32 v5, v5
	v_min_u32_e32 v5, 32, v5
	v_lshrrev_b32_e32 v8, 3, v24
	v_subrev_u32_e32 v9, 28, v5
	v_sub_u32_e32 v5, 29, v5
	v_cmp_gt_u32_e64 s[22:23], 8, v24
	v_mov_b32_e32 v6, v11
	v_mov_b32_e32 v7, v57
	v_cndmask_b32_e64 v5, v8, v5, s[22:23]
	v_cndmask_b32_e64 v8, 0, v9, s[22:23]
	v_lshlrev_b64 v[8:9], v8, v[6:7]
	v_lshlrev_b32_e32 v7, 20, v8
	v_lshlrev_b32_e32 v6, 24, v6
	v_and_b32_e32 v7, 0x700000, v7
	v_and_b32_e32 v6, 0x80000000, v6
	v_lshl_add_u32 v5, v5, 23, v51
	v_or3_b32 v5, v6, v5, v7
.LBB2_1003:                             ;   in Loop: Header=BB2_897 Depth=2
	s_or_b64 exec, exec, s[62:63]
.LBB2_1004:                             ;   in Loop: Header=BB2_897 Depth=2
	s_or_b64 exec, exec, s[60:61]
.LBB2_1005:                             ;   in Loop: Header=BB2_897 Depth=2
	s_or_b64 exec, exec, s[24:25]
	v_add_f32_e32 v5, v4, v5
	v_and_b32_sdwa v4, v5, s74 dst_sel:DWORD dst_unused:UNUSED_PAD src0_sel:BYTE_3 src1_sel:DWORD
	v_and_b32_e32 v6, 0x7f800000, v5
	v_mov_b32_e32 v7, v57
	v_and_b32_e32 v24, 0x7fffff, v5
	v_mov_b32_e32 v25, v57
	v_or_b32_e32 v27, 0x7e, v4
	v_cmp_ne_u64_e64 s[22:23], s[42:43], v[6:7]
	s_and_saveexec_b64 s[24:25], s[22:23]
	s_xor_b64 s[60:61], exec, s[24:25]
	s_cbranch_execz .LBB2_1015
; %bb.1006:                             ;   in Loop: Header=BB2_897 Depth=2
	v_and_b32_e32 v6, 0x7fffffff, v5
	v_mov_b32_e32 v7, v57
	v_cmp_gt_u64_e64 s[22:23], s[44:45], v[6:7]
	s_and_saveexec_b64 s[62:63], s[22:23]
	s_cbranch_execz .LBB2_1014
; %bb.1007:                             ;   in Loop: Header=BB2_897 Depth=2
	v_cmp_ne_u32_e64 s[22:23], 0, v5
	v_mov_b32_e32 v27, 0
	s_and_saveexec_b64 s[64:65], s[22:23]
	s_cbranch_execz .LBB2_1013
; %bb.1008:                             ;   in Loop: Header=BB2_897 Depth=2
	v_bfe_u32 v5, v5, 23, 8
	v_sub_u32_e32 v7, 0x79, v5
	v_cmp_gt_u32_e64 s[22:23], s76, v5
	v_add_u32_e32 v6, 0xffffff81, v5
	v_cndmask_b32_e64 v7, 0, v7, s[22:23]
	v_cmp_eq_u32_e64 s[22:23], 0, v5
	v_mov_b32_e32 v5, 0xffffff82
	v_cndmask_b32_e64 v5, v6, v5, s[22:23]
	v_mov_b32_e32 v6, 0x78
	v_cndmask_b32_e64 v27, v7, v6, s[22:23]
	v_add_u32_e32 v6, 20, v27
	v_or_b32_e32 v8, 0x800000, v24
	v_lshlrev_b64 v[6:7], v6, -1
	v_cndmask_b32_e64 v24, v8, v24, s[22:23]
	v_not_b32_e32 v6, v6
	v_and_b32_e32 v6, v24, v6
	v_lshrrev_b64 v[24:25], v27, v[24:25]
	v_not_b32_e32 v7, v7
	v_add_u32_e32 v8, 19, v27
	v_lshrrev_b32_e32 v29, 23, v24
	v_and_b32_e32 v7, 0, v7
	v_lshlrev_b64 v[8:9], v8, 1
	v_add3_u32 v29, v27, v5, v29
	v_bfe_u32 v5, v24, 20, 1
	v_add_u32_e32 v5, -1, v5
	v_cmp_eq_u64_e64 s[22:23], v[6:7], v[8:9]
	v_cndmask_b32_e64 v5, 0, v5, s[22:23]
	v_add_u32_e32 v5, v5, v24
	v_and_b32_e32 v5, 0xfffff, v5
	v_add_co_u32_e64 v24, s[22:23], v5, v24
	v_add_u32_e32 v27, 6, v29
	v_addc_co_u32_e64 v25, s[22:23], 0, v25, s[22:23]
	v_cmp_ne_u32_e64 s[22:23], 0, v27
                                        ; implicit-def: $vgpr5
	s_and_saveexec_b64 s[24:25], s[22:23]
	s_xor_b64 s[24:25], exec, s[24:25]
; %bb.1009:                             ;   in Loop: Header=BB2_897 Depth=2
	v_cmp_lt_u64_e64 s[22:23], s[48:49], v[24:25]
	v_add_u32_e32 v5, 7, v29
	v_cndmask_b32_e64 v6, 0, 1, s[22:23]
	v_cndmask_b32_e64 v5, v27, v5, s[22:23]
	v_lshrrev_b64 v[24:25], v6, v[24:25]
; %bb.1010:                             ;   in Loop: Header=BB2_897 Depth=2
	s_andn2_saveexec_b64 s[22:23], s[24:25]
; %bb.1011:                             ;   in Loop: Header=BB2_897 Depth=2
	v_bfe_u32 v5, v24, 23, 1
; %bb.1012:                             ;   in Loop: Header=BB2_897 Depth=2
	s_or_b64 exec, exec, s[22:23]
	v_lshrrev_b64 v[6:7], 20, v[24:25]
	v_cmp_gt_i32_e64 s[22:23], 16, v5
	v_cndmask_b32_e64 v7, 0, v7, s[22:23]
	v_cndmask_b32_e64 v6, 7, v6, s[22:23]
	v_cmp_eq_u32_e64 s[22:23], 0, v5
	v_min_i32_e32 v5, 15, v5
	v_cmp_eq_u64_e64 s[24:25], 0, v[6:7]
	v_lshlrev_b32_e32 v5, 3, v5
	v_and_or_b32 v5, v6, 7, v5
	s_and_b64 s[22:23], s[22:23], s[24:25]
	v_cndmask_b32_e64 v5, v5, 0, s[22:23]
	v_or_b32_e32 v27, v5, v4
.LBB2_1013:                             ;   in Loop: Header=BB2_897 Depth=2
	s_or_b64 exec, exec, s[64:65]
.LBB2_1014:                             ;   in Loop: Header=BB2_897 Depth=2
	s_or_b64 exec, exec, s[62:63]
                                        ; implicit-def: $vgpr5
                                        ; implicit-def: $vgpr24_vgpr25
.LBB2_1015:                             ;   in Loop: Header=BB2_897 Depth=2
	s_andn2_saveexec_b64 s[24:25], s[60:61]
; %bb.1016:                             ;   in Loop: Header=BB2_897 Depth=2
	v_or_b32_sdwa v4, v5, s75 dst_sel:DWORD dst_unused:UNUSED_PAD src0_sel:BYTE_3 src1_sel:DWORD
	v_cmp_eq_u64_e64 s[22:23], 0, v[24:25]
	v_cndmask_b32_e64 v27, v4, v27, s[22:23]
; %bb.1017:                             ;   in Loop: Header=BB2_897 Depth=2
	s_or_b64 exec, exec, s[24:25]
	v_lshrrev_b16_e32 v24, 8, v56
	v_cmp_ne_u16_e64 s[22:23], 0, v24
	v_mov_b32_e32 v4, 0
	v_mov_b32_e32 v5, 0
	s_and_saveexec_b64 s[24:25], s[22:23]
	s_cbranch_execz .LBB2_1023
; %bb.1018:                             ;   in Loop: Header=BB2_897 Depth=2
	v_cmp_ne_u16_e64 s[22:23], s74, v24
	v_bfrev_b32_e32 v5, 1
	s_and_saveexec_b64 s[60:61], s[22:23]
	s_cbranch_execz .LBB2_1022
; %bb.1019:                             ;   in Loop: Header=BB2_897 Depth=2
	v_and_b32_e32 v25, 0x7f, v24
	v_cmp_ne_u32_e64 s[22:23], s75, v25
	v_mov_b32_e32 v5, 0x7f800001
	s_and_saveexec_b64 s[62:63], s[22:23]
	s_cbranch_execz .LBB2_1021
; %bb.1020:                             ;   in Loop: Header=BB2_897 Depth=2
	v_and_b32_e32 v5, 7, v24
	v_ffbh_u32_e32 v6, v5
	v_min_u32_e32 v9, 32, v6
	v_subrev_u32_e32 v6, 28, v9
	v_lshlrev_b64 v[6:7], v6, v[24:25]
	v_lshrrev_b32_e32 v8, 3, v25
	v_sub_u32_e32 v7, 29, v9
	v_and_b32_e32 v6, 7, v6
	v_cmp_gt_u32_e64 s[22:23], 8, v25
	v_cndmask_b32_e64 v7, v8, v7, s[22:23]
	v_cndmask_b32_e64 v5, v5, v6, s[22:23]
	v_lshlrev_b32_e32 v6, 16, v56
	v_lshlrev_b32_e32 v5, 20, v5
	v_and_b32_e32 v6, 0x80000000, v6
	v_lshl_add_u32 v7, v7, 23, v51
	v_or3_b32 v5, v6, v7, v5
.LBB2_1021:                             ;   in Loop: Header=BB2_897 Depth=2
	s_or_b64 exec, exec, s[62:63]
.LBB2_1022:                             ;   in Loop: Header=BB2_897 Depth=2
	s_or_b64 exec, exec, s[60:61]
.LBB2_1023:                             ;   in Loop: Header=BB2_897 Depth=2
	s_or_b64 exec, exec, s[24:25]
	v_mov_b32_e32 v24, v11
	v_lshrrev_b16_e32 v54, 8, v24
	v_cmp_ne_u16_e64 s[22:23], 0, v54
	s_and_saveexec_b64 s[24:25], s[22:23]
	s_cbranch_execz .LBB2_1029
; %bb.1024:                             ;   in Loop: Header=BB2_897 Depth=2
	v_cmp_ne_u16_e64 s[22:23], s74, v54
	v_bfrev_b32_e32 v4, 1
	s_and_saveexec_b64 s[60:61], s[22:23]
	s_cbranch_execz .LBB2_1028
; %bb.1025:                             ;   in Loop: Header=BB2_897 Depth=2
	v_and_b32_e32 v25, 0x7f, v54
	v_cmp_ne_u32_e64 s[22:23], s75, v25
	v_mov_b32_e32 v4, 0x7f800001
	s_and_saveexec_b64 s[62:63], s[22:23]
	s_cbranch_execz .LBB2_1027
; %bb.1026:                             ;   in Loop: Header=BB2_897 Depth=2
	v_and_b32_e32 v4, 7, v54
	v_ffbh_u32_e32 v6, v4
	v_min_u32_e32 v9, 32, v6
	v_subrev_u32_e32 v6, 28, v9
	v_lshlrev_b64 v[6:7], v6, v[54:55]
	v_lshrrev_b32_e32 v8, 3, v25
	v_sub_u32_e32 v7, 29, v9
	v_and_b32_e32 v6, 7, v6
	v_cmp_gt_u32_e64 s[22:23], 8, v25
	v_cndmask_b32_e64 v7, v8, v7, s[22:23]
	v_cndmask_b32_e64 v4, v4, v6, s[22:23]
	v_lshlrev_b32_e32 v6, 16, v24
	v_lshlrev_b32_e32 v4, 20, v4
	v_and_b32_e32 v6, 0x80000000, v6
	v_lshl_add_u32 v7, v7, 23, v51
	v_or3_b32 v4, v6, v7, v4
.LBB2_1027:                             ;   in Loop: Header=BB2_897 Depth=2
	s_or_b64 exec, exec, s[62:63]
.LBB2_1028:                             ;   in Loop: Header=BB2_897 Depth=2
	s_or_b64 exec, exec, s[60:61]
.LBB2_1029:                             ;   in Loop: Header=BB2_897 Depth=2
	s_or_b64 exec, exec, s[24:25]
	v_add_f32_e32 v5, v5, v4
	v_and_b32_sdwa v4, v5, s74 dst_sel:DWORD dst_unused:UNUSED_PAD src0_sel:BYTE_3 src1_sel:DWORD
	v_and_b32_e32 v6, 0x7f800000, v5
	v_mov_b32_e32 v7, v57
	v_and_b32_e32 v56, 0x7fffff, v5
	v_or_b32_e32 v35, 0x7e, v4
	v_cmp_ne_u64_e64 s[22:23], s[42:43], v[6:7]
	s_and_saveexec_b64 s[24:25], s[22:23]
	s_xor_b64 s[60:61], exec, s[24:25]
	s_cbranch_execz .LBB2_1039
; %bb.1030:                             ;   in Loop: Header=BB2_897 Depth=2
	v_and_b32_e32 v6, 0x7fffffff, v5
	v_mov_b32_e32 v7, v57
	v_cmp_gt_u64_e64 s[22:23], s[44:45], v[6:7]
	s_and_saveexec_b64 s[62:63], s[22:23]
	s_cbranch_execz .LBB2_1038
; %bb.1031:                             ;   in Loop: Header=BB2_897 Depth=2
	v_cmp_ne_u32_e64 s[22:23], 0, v5
	v_mov_b32_e32 v35, 0
	s_and_saveexec_b64 s[64:65], s[22:23]
	s_cbranch_execz .LBB2_1037
; %bb.1032:                             ;   in Loop: Header=BB2_897 Depth=2
	v_bfe_u32 v5, v5, 23, 8
	v_sub_u32_e32 v7, 0x79, v5
	v_cmp_gt_u32_e64 s[22:23], s76, v5
	v_add_u32_e32 v6, 0xffffff81, v5
	v_cndmask_b32_e64 v7, 0, v7, s[22:23]
	v_cmp_eq_u32_e64 s[22:23], 0, v5
	v_mov_b32_e32 v5, 0xffffff82
	v_cndmask_b32_e64 v5, v6, v5, s[22:23]
	v_mov_b32_e32 v6, 0x78
	v_or_b32_e32 v8, 0x800000, v56
	v_cndmask_b32_e64 v29, v7, v6, s[22:23]
	v_cndmask_b32_e64 v56, v8, v56, s[22:23]
	v_add_u32_e32 v6, 20, v29
	v_lshlrev_b64 v[6:7], v6, -1
	v_lshrrev_b64 v[24:25], v29, v[56:57]
	v_not_b32_e32 v7, v7
	v_not_b32_e32 v6, v6
	v_add_u32_e32 v8, 19, v29
	v_lshrrev_b32_e32 v30, 23, v24
	v_and_b32_e32 v7, 0, v7
	v_and_b32_e32 v6, v56, v6
	v_lshlrev_b64 v[8:9], v8, 1
	v_add3_u32 v29, v29, v5, v30
	v_bfe_u32 v5, v24, 20, 1
	v_add_u32_e32 v5, -1, v5
	v_cmp_eq_u64_e64 s[22:23], v[6:7], v[8:9]
	v_cndmask_b32_e64 v5, 0, v5, s[22:23]
	v_add_u32_e32 v5, v5, v24
	v_and_b32_e32 v5, 0xfffff, v5
	v_add_co_u32_e64 v24, s[22:23], v5, v24
	v_add_u32_e32 v30, 6, v29
	v_addc_co_u32_e64 v25, s[22:23], 0, v25, s[22:23]
	v_cmp_ne_u32_e64 s[22:23], 0, v30
                                        ; implicit-def: $vgpr5
	s_and_saveexec_b64 s[24:25], s[22:23]
	s_xor_b64 s[24:25], exec, s[24:25]
; %bb.1033:                             ;   in Loop: Header=BB2_897 Depth=2
	v_cmp_lt_u64_e64 s[22:23], s[48:49], v[24:25]
	v_add_u32_e32 v5, 7, v29
	v_cndmask_b32_e64 v6, 0, 1, s[22:23]
	v_cndmask_b32_e64 v5, v30, v5, s[22:23]
	v_lshrrev_b64 v[24:25], v6, v[24:25]
; %bb.1034:                             ;   in Loop: Header=BB2_897 Depth=2
	s_andn2_saveexec_b64 s[22:23], s[24:25]
; %bb.1035:                             ;   in Loop: Header=BB2_897 Depth=2
	v_bfe_u32 v5, v24, 23, 1
; %bb.1036:                             ;   in Loop: Header=BB2_897 Depth=2
	s_or_b64 exec, exec, s[22:23]
	v_lshrrev_b64 v[6:7], 20, v[24:25]
	v_cmp_gt_i32_e64 s[22:23], 16, v5
	v_cndmask_b32_e64 v7, 0, v7, s[22:23]
	v_cndmask_b32_e64 v6, 7, v6, s[22:23]
	v_cmp_eq_u32_e64 s[22:23], 0, v5
	v_min_i32_e32 v5, 15, v5
	v_cmp_eq_u64_e64 s[24:25], 0, v[6:7]
	v_lshlrev_b32_e32 v5, 3, v5
	v_and_or_b32 v5, v6, 7, v5
	s_and_b64 s[22:23], s[22:23], s[24:25]
	v_cndmask_b32_e64 v5, v5, 0, s[22:23]
	v_or_b32_e32 v35, v5, v4
.LBB2_1037:                             ;   in Loop: Header=BB2_897 Depth=2
	s_or_b64 exec, exec, s[64:65]
.LBB2_1038:                             ;   in Loop: Header=BB2_897 Depth=2
	s_or_b64 exec, exec, s[62:63]
                                        ; implicit-def: $vgpr5
.LBB2_1039:                             ;   in Loop: Header=BB2_897 Depth=2
	s_andn2_saveexec_b64 s[24:25], s[60:61]
; %bb.1040:                             ;   in Loop: Header=BB2_897 Depth=2
	v_or_b32_sdwa v4, v5, s75 dst_sel:DWORD dst_unused:UNUSED_PAD src0_sel:BYTE_3 src1_sel:DWORD
	v_cmp_eq_u64_e64 s[22:23], 0, v[56:57]
	v_cndmask_b32_e64 v35, v4, v35, s[22:23]
; %bb.1041:                             ;   in Loop: Header=BB2_897 Depth=2
	s_or_b64 exec, exec, s[24:25]
	v_lshrrev_b32_e32 v24, 16, v15
	v_cmp_ne_u16_sdwa s[22:23], v24, v57 src0_sel:BYTE_0 src1_sel:DWORD
	v_mov_b32_e32 v4, 0
	v_mov_b32_e32 v5, 0
	s_and_saveexec_b64 s[24:25], s[22:23]
	s_cbranch_execz .LBB2_1047
; %bb.1042:                             ;   in Loop: Header=BB2_897 Depth=2
	v_cmp_ne_u16_sdwa s[22:23], v24, s74 src0_sel:BYTE_0 src1_sel:DWORD
	v_bfrev_b32_e32 v5, 1
	s_and_saveexec_b64 s[60:61], s[22:23]
	s_cbranch_execz .LBB2_1046
; %bb.1043:                             ;   in Loop: Header=BB2_897 Depth=2
	v_bfe_u32 v25, v15, 16, 7
	v_cmp_ne_u32_e64 s[22:23], s75, v25
	v_mov_b32_e32 v5, 0x7f800001
	s_and_saveexec_b64 s[62:63], s[22:23]
	s_cbranch_execz .LBB2_1045
; %bb.1044:                             ;   in Loop: Header=BB2_897 Depth=2
	v_and_b32_e32 v5, 7, v24
	v_ffbh_u32_e32 v6, v5
	v_min_u32_e32 v9, 32, v6
	v_subrev_u32_e32 v6, 28, v9
	v_lshlrev_b64 v[6:7], v6, v[24:25]
	v_lshrrev_b32_e32 v8, 3, v25
	v_sub_u32_e32 v7, 29, v9
	v_and_b32_e32 v6, 7, v6
	v_cmp_gt_u32_e64 s[22:23], 8, v25
	v_cndmask_b32_e64 v7, v8, v7, s[22:23]
	v_cndmask_b32_e64 v5, v5, v6, s[22:23]
	v_lshlrev_b32_e32 v6, 24, v24
	v_lshlrev_b32_e32 v5, 20, v5
	v_and_b32_e32 v6, 0x80000000, v6
	v_lshl_add_u32 v7, v7, 23, v51
	v_or3_b32 v5, v6, v7, v5
.LBB2_1045:                             ;   in Loop: Header=BB2_897 Depth=2
	s_or_b64 exec, exec, s[62:63]
.LBB2_1046:                             ;   in Loop: Header=BB2_897 Depth=2
	s_or_b64 exec, exec, s[60:61]
.LBB2_1047:                             ;   in Loop: Header=BB2_897 Depth=2
	s_or_b64 exec, exec, s[24:25]
	v_lshrrev_b32_e32 v24, 16, v11
	v_cmp_ne_u16_sdwa s[22:23], v24, v57 src0_sel:BYTE_0 src1_sel:DWORD
	s_and_saveexec_b64 s[24:25], s[22:23]
	s_cbranch_execz .LBB2_1053
; %bb.1048:                             ;   in Loop: Header=BB2_897 Depth=2
	v_cmp_ne_u16_sdwa s[22:23], v24, s74 src0_sel:BYTE_0 src1_sel:DWORD
	v_bfrev_b32_e32 v4, 1
	s_and_saveexec_b64 s[60:61], s[22:23]
	s_cbranch_execz .LBB2_1052
; %bb.1049:                             ;   in Loop: Header=BB2_897 Depth=2
	v_bfe_u32 v25, v11, 16, 7
	v_cmp_ne_u32_e64 s[22:23], s75, v25
	v_mov_b32_e32 v4, 0x7f800001
	s_and_saveexec_b64 s[62:63], s[22:23]
	s_cbranch_execz .LBB2_1051
; %bb.1050:                             ;   in Loop: Header=BB2_897 Depth=2
	v_and_b32_e32 v4, 7, v24
	v_ffbh_u32_e32 v6, v4
	v_min_u32_e32 v9, 32, v6
	v_subrev_u32_e32 v6, 28, v9
	v_lshlrev_b64 v[6:7], v6, v[24:25]
	v_lshrrev_b32_e32 v8, 3, v25
	v_sub_u32_e32 v7, 29, v9
	v_and_b32_e32 v6, 7, v6
	v_cmp_gt_u32_e64 s[22:23], 8, v25
	v_cndmask_b32_e64 v7, v8, v7, s[22:23]
	v_cndmask_b32_e64 v4, v4, v6, s[22:23]
	v_lshlrev_b32_e32 v6, 8, v11
	v_lshlrev_b32_e32 v4, 20, v4
	v_and_b32_e32 v6, 0x80000000, v6
	v_lshl_add_u32 v7, v7, 23, v51
	v_or3_b32 v4, v6, v7, v4
.LBB2_1051:                             ;   in Loop: Header=BB2_897 Depth=2
	s_or_b64 exec, exec, s[62:63]
.LBB2_1052:                             ;   in Loop: Header=BB2_897 Depth=2
	s_or_b64 exec, exec, s[60:61]
.LBB2_1053:                             ;   in Loop: Header=BB2_897 Depth=2
	s_or_b64 exec, exec, s[24:25]
	v_add_f32_e32 v5, v5, v4
	v_and_b32_sdwa v4, v5, s74 dst_sel:DWORD dst_unused:UNUSED_PAD src0_sel:BYTE_3 src1_sel:DWORD
	v_and_b32_e32 v6, 0x7f800000, v5
	v_mov_b32_e32 v7, v57
	v_and_b32_e32 v56, 0x7fffff, v5
	v_or_b32_e32 v24, 0x7e, v4
	v_cmp_ne_u64_e64 s[22:23], s[42:43], v[6:7]
	s_and_saveexec_b64 s[24:25], s[22:23]
	s_xor_b64 s[60:61], exec, s[24:25]
	s_cbranch_execz .LBB2_1063
; %bb.1054:                             ;   in Loop: Header=BB2_897 Depth=2
	v_and_b32_e32 v6, 0x7fffffff, v5
	v_mov_b32_e32 v7, v57
	v_cmp_gt_u64_e64 s[22:23], s[44:45], v[6:7]
	s_and_saveexec_b64 s[62:63], s[22:23]
	s_cbranch_execz .LBB2_1062
; %bb.1055:                             ;   in Loop: Header=BB2_897 Depth=2
	v_cmp_ne_u32_e64 s[22:23], 0, v5
	v_mov_b32_e32 v24, 0
	s_and_saveexec_b64 s[64:65], s[22:23]
	s_cbranch_execz .LBB2_1061
; %bb.1056:                             ;   in Loop: Header=BB2_897 Depth=2
	v_bfe_u32 v5, v5, 23, 8
	v_sub_u32_e32 v7, 0x79, v5
	v_cmp_gt_u32_e64 s[22:23], s76, v5
	v_add_u32_e32 v6, 0xffffff81, v5
	v_cndmask_b32_e64 v7, 0, v7, s[22:23]
	v_cmp_eq_u32_e64 s[22:23], 0, v5
	v_mov_b32_e32 v5, 0xffffff82
	v_cndmask_b32_e64 v5, v6, v5, s[22:23]
	v_mov_b32_e32 v6, 0x78
	v_or_b32_e32 v8, 0x800000, v56
	v_cndmask_b32_e64 v29, v7, v6, s[22:23]
	v_cndmask_b32_e64 v56, v8, v56, s[22:23]
	v_add_u32_e32 v6, 20, v29
	v_lshlrev_b64 v[6:7], v6, -1
	v_lshrrev_b64 v[24:25], v29, v[56:57]
	v_not_b32_e32 v7, v7
	v_not_b32_e32 v6, v6
	v_add_u32_e32 v8, 19, v29
	v_lshrrev_b32_e32 v30, 23, v24
	v_and_b32_e32 v7, 0, v7
	v_and_b32_e32 v6, v56, v6
	v_lshlrev_b64 v[8:9], v8, 1
	v_add3_u32 v29, v29, v5, v30
	v_bfe_u32 v5, v24, 20, 1
	v_add_u32_e32 v5, -1, v5
	v_cmp_eq_u64_e64 s[22:23], v[6:7], v[8:9]
	v_cndmask_b32_e64 v5, 0, v5, s[22:23]
	v_add_u32_e32 v5, v5, v24
	v_and_b32_e32 v5, 0xfffff, v5
	v_add_co_u32_e64 v24, s[22:23], v5, v24
	v_add_u32_e32 v30, 6, v29
	v_addc_co_u32_e64 v25, s[22:23], 0, v25, s[22:23]
	v_cmp_ne_u32_e64 s[22:23], 0, v30
                                        ; implicit-def: $vgpr5
	s_and_saveexec_b64 s[24:25], s[22:23]
	s_xor_b64 s[24:25], exec, s[24:25]
; %bb.1057:                             ;   in Loop: Header=BB2_897 Depth=2
	v_cmp_lt_u64_e64 s[22:23], s[48:49], v[24:25]
	v_add_u32_e32 v5, 7, v29
	v_cndmask_b32_e64 v6, 0, 1, s[22:23]
	v_cndmask_b32_e64 v5, v30, v5, s[22:23]
	v_lshrrev_b64 v[24:25], v6, v[24:25]
; %bb.1058:                             ;   in Loop: Header=BB2_897 Depth=2
	s_andn2_saveexec_b64 s[22:23], s[24:25]
; %bb.1059:                             ;   in Loop: Header=BB2_897 Depth=2
	v_bfe_u32 v5, v24, 23, 1
; %bb.1060:                             ;   in Loop: Header=BB2_897 Depth=2
	s_or_b64 exec, exec, s[22:23]
	v_lshrrev_b64 v[6:7], 20, v[24:25]
	v_cmp_gt_i32_e64 s[22:23], 16, v5
	v_cndmask_b32_e64 v7, 0, v7, s[22:23]
	v_cndmask_b32_e64 v6, 7, v6, s[22:23]
	v_cmp_eq_u32_e64 s[22:23], 0, v5
	v_min_i32_e32 v5, 15, v5
	v_lshlrev_b32_e32 v5, 3, v5
	v_cmp_eq_u64_e64 s[24:25], 0, v[6:7]
	v_and_b32_e32 v5, 0xf8, v5
	v_and_or_b32 v5, v6, 7, v5
	s_and_b64 s[22:23], s[22:23], s[24:25]
	v_cndmask_b32_e64 v5, v5, 0, s[22:23]
	v_or_b32_e32 v24, v5, v4
.LBB2_1061:                             ;   in Loop: Header=BB2_897 Depth=2
	s_or_b64 exec, exec, s[64:65]
.LBB2_1062:                             ;   in Loop: Header=BB2_897 Depth=2
	s_or_b64 exec, exec, s[62:63]
                                        ; implicit-def: $vgpr5
.LBB2_1063:                             ;   in Loop: Header=BB2_897 Depth=2
	s_andn2_saveexec_b64 s[24:25], s[60:61]
; %bb.1064:                             ;   in Loop: Header=BB2_897 Depth=2
	v_or_b32_sdwa v4, v5, s75 dst_sel:DWORD dst_unused:UNUSED_PAD src0_sel:BYTE_3 src1_sel:DWORD
	v_cmp_eq_u64_e64 s[22:23], 0, v[56:57]
	v_cndmask_b32_e64 v24, v4, v24, s[22:23]
; %bb.1065:                             ;   in Loop: Header=BB2_897 Depth=2
	s_or_b64 exec, exec, s[24:25]
	v_cmp_lt_u64_e64 s[22:23], s[46:47], v[14:15]
	v_mov_b32_e32 v4, 0
	v_mov_b32_e32 v5, 0
	s_and_saveexec_b64 s[24:25], s[22:23]
	s_cbranch_execz .LBB2_1071
; %bb.1066:                             ;   in Loop: Header=BB2_897 Depth=2
	v_lshrrev_b32_e32 v14, 24, v15
	v_cmp_ne_u32_e64 s[22:23], s74, v14
	v_bfrev_b32_e32 v5, 1
	s_and_saveexec_b64 s[60:61], s[22:23]
	s_cbranch_execz .LBB2_1070
; %bb.1067:                             ;   in Loop: Header=BB2_897 Depth=2
	v_bfe_u32 v15, v15, 24, 7
	v_cmp_ne_u32_e64 s[22:23], s75, v15
	v_mov_b32_e32 v5, 0x7f800001
	s_and_saveexec_b64 s[62:63], s[22:23]
	s_cbranch_execz .LBB2_1069
; %bb.1068:                             ;   in Loop: Header=BB2_897 Depth=2
	v_and_b32_e32 v5, 7, v14
	v_ffbh_u32_e32 v6, v5
	v_min_u32_e32 v9, 32, v6
	v_subrev_u32_e32 v6, 28, v9
	v_lshlrev_b64 v[6:7], v6, v[14:15]
	v_lshrrev_b32_e32 v8, 3, v15
	v_sub_u32_e32 v7, 29, v9
	v_and_b32_e32 v6, 7, v6
	v_cmp_gt_u32_e64 s[22:23], 8, v15
	v_cndmask_b32_e64 v7, v8, v7, s[22:23]
	v_cndmask_b32_e64 v5, v5, v6, s[22:23]
	v_lshlrev_b32_e32 v6, 24, v14
	v_lshlrev_b32_e32 v5, 20, v5
	v_and_b32_e32 v6, 0x80000000, v6
	v_lshl_add_u32 v7, v7, 23, v51
	v_or3_b32 v5, v6, v7, v5
.LBB2_1069:                             ;   in Loop: Header=BB2_897 Depth=2
	s_or_b64 exec, exec, s[62:63]
.LBB2_1070:                             ;   in Loop: Header=BB2_897 Depth=2
	s_or_b64 exec, exec, s[60:61]
.LBB2_1071:                             ;   in Loop: Header=BB2_897 Depth=2
	s_or_b64 exec, exec, s[24:25]
	v_cmp_lt_u64_e64 s[22:23], s[46:47], v[10:11]
	s_and_saveexec_b64 s[24:25], s[22:23]
	s_cbranch_execz .LBB2_1077
; %bb.1072:                             ;   in Loop: Header=BB2_897 Depth=2
	v_lshrrev_b32_e32 v10, 24, v11
	v_cmp_ne_u32_e64 s[22:23], s74, v10
	v_bfrev_b32_e32 v4, 1
	s_and_saveexec_b64 s[60:61], s[22:23]
	s_cbranch_execz .LBB2_1076
; %bb.1073:                             ;   in Loop: Header=BB2_897 Depth=2
	v_bfe_u32 v11, v11, 24, 7
	v_cmp_ne_u32_e64 s[22:23], s75, v11
	v_mov_b32_e32 v4, 0x7f800001
	s_and_saveexec_b64 s[62:63], s[22:23]
	s_cbranch_execz .LBB2_1075
; %bb.1074:                             ;   in Loop: Header=BB2_897 Depth=2
	v_and_b32_e32 v4, 7, v10
	v_ffbh_u32_e32 v6, v4
	v_min_u32_e32 v9, 32, v6
	v_subrev_u32_e32 v6, 28, v9
	v_lshlrev_b64 v[6:7], v6, v[10:11]
	v_lshrrev_b32_e32 v8, 3, v11
	v_sub_u32_e32 v7, 29, v9
	v_and_b32_e32 v6, 7, v6
	v_cmp_gt_u32_e64 s[22:23], 8, v11
	v_cndmask_b32_e64 v7, v8, v7, s[22:23]
	v_cndmask_b32_e64 v4, v4, v6, s[22:23]
	v_lshlrev_b32_e32 v6, 24, v10
	v_lshlrev_b32_e32 v4, 20, v4
	v_and_b32_e32 v6, 0x80000000, v6
	v_lshl_add_u32 v7, v7, 23, v51
	v_or3_b32 v4, v6, v7, v4
.LBB2_1075:                             ;   in Loop: Header=BB2_897 Depth=2
	s_or_b64 exec, exec, s[62:63]
.LBB2_1076:                             ;   in Loop: Header=BB2_897 Depth=2
	s_or_b64 exec, exec, s[60:61]
.LBB2_1077:                             ;   in Loop: Header=BB2_897 Depth=2
	s_or_b64 exec, exec, s[24:25]
	v_add_f32_e32 v5, v5, v4
	v_and_b32_sdwa v4, v5, s74 dst_sel:DWORD dst_unused:UNUSED_PAD src0_sel:BYTE_3 src1_sel:DWORD
	v_and_b32_e32 v6, 0x7f800000, v5
	v_mov_b32_e32 v7, v57
	v_and_b32_e32 v56, 0x7fffff, v5
	v_or_b32_e32 v15, 0x7e, v4
	v_cmp_ne_u64_e64 s[22:23], s[42:43], v[6:7]
	s_and_saveexec_b64 s[24:25], s[22:23]
	s_xor_b64 s[60:61], exec, s[24:25]
	s_cbranch_execz .LBB2_1087
; %bb.1078:                             ;   in Loop: Header=BB2_897 Depth=2
	v_and_b32_e32 v6, 0x7fffffff, v5
	v_mov_b32_e32 v7, v57
	v_cmp_gt_u64_e64 s[22:23], s[44:45], v[6:7]
	s_and_saveexec_b64 s[62:63], s[22:23]
	s_cbranch_execz .LBB2_1086
; %bb.1079:                             ;   in Loop: Header=BB2_897 Depth=2
	v_cmp_ne_u32_e64 s[22:23], 0, v5
	v_mov_b32_e32 v15, 0
	s_and_saveexec_b64 s[64:65], s[22:23]
	s_cbranch_execz .LBB2_1085
; %bb.1080:                             ;   in Loop: Header=BB2_897 Depth=2
	v_bfe_u32 v5, v5, 23, 8
	v_sub_u32_e32 v7, 0x79, v5
	v_cmp_gt_u32_e64 s[22:23], s76, v5
	v_add_u32_e32 v6, 0xffffff81, v5
	v_cndmask_b32_e64 v7, 0, v7, s[22:23]
	v_cmp_eq_u32_e64 s[22:23], 0, v5
	v_mov_b32_e32 v5, 0xffffff82
	v_cndmask_b32_e64 v5, v6, v5, s[22:23]
	v_mov_b32_e32 v6, 0x78
	v_or_b32_e32 v8, 0x800000, v56
	v_cndmask_b32_e64 v14, v7, v6, s[22:23]
	v_cndmask_b32_e64 v56, v8, v56, s[22:23]
	v_add_u32_e32 v6, 20, v14
	v_lshlrev_b64 v[6:7], v6, -1
	v_lshrrev_b64 v[10:11], v14, v[56:57]
	v_not_b32_e32 v7, v7
	v_not_b32_e32 v6, v6
	v_add_u32_e32 v8, 19, v14
	v_lshrrev_b32_e32 v15, 23, v10
	v_and_b32_e32 v7, 0, v7
	v_and_b32_e32 v6, v56, v6
	v_lshlrev_b64 v[8:9], v8, 1
	v_add3_u32 v15, v14, v5, v15
	v_bfe_u32 v5, v10, 20, 1
	v_add_u32_e32 v5, -1, v5
	v_cmp_eq_u64_e64 s[22:23], v[6:7], v[8:9]
	v_cndmask_b32_e64 v5, 0, v5, s[22:23]
	v_add_u32_e32 v5, v5, v10
	v_and_b32_e32 v5, 0xfffff, v5
	v_add_co_u32_e64 v10, s[22:23], v5, v10
	v_add_u32_e32 v14, 6, v15
	v_addc_co_u32_e64 v11, s[22:23], 0, v11, s[22:23]
	v_cmp_ne_u32_e64 s[22:23], 0, v14
                                        ; implicit-def: $vgpr5
	s_and_saveexec_b64 s[24:25], s[22:23]
	s_xor_b64 s[24:25], exec, s[24:25]
; %bb.1081:                             ;   in Loop: Header=BB2_897 Depth=2
	v_cmp_lt_u64_e64 s[22:23], s[48:49], v[10:11]
	v_add_u32_e32 v5, 7, v15
	v_cndmask_b32_e64 v6, 0, 1, s[22:23]
	v_cndmask_b32_e64 v5, v14, v5, s[22:23]
	v_lshrrev_b64 v[10:11], v6, v[10:11]
; %bb.1082:                             ;   in Loop: Header=BB2_897 Depth=2
	s_andn2_saveexec_b64 s[22:23], s[24:25]
; %bb.1083:                             ;   in Loop: Header=BB2_897 Depth=2
	v_bfe_u32 v5, v10, 23, 1
; %bb.1084:                             ;   in Loop: Header=BB2_897 Depth=2
	s_or_b64 exec, exec, s[22:23]
	v_lshrrev_b64 v[6:7], 20, v[10:11]
	v_cmp_gt_i32_e64 s[22:23], 16, v5
	v_cndmask_b32_e64 v7, 0, v7, s[22:23]
	v_cndmask_b32_e64 v6, 7, v6, s[22:23]
	v_cmp_eq_u32_e64 s[22:23], 0, v5
	v_min_i32_e32 v5, 15, v5
	v_lshlrev_b32_e32 v5, 3, v5
	v_cmp_eq_u64_e64 s[24:25], 0, v[6:7]
	v_and_b32_e32 v5, 0xf8, v5
	v_and_or_b32 v5, v6, 7, v5
	s_and_b64 s[22:23], s[22:23], s[24:25]
	v_cndmask_b32_e64 v5, v5, 0, s[22:23]
	v_or_b32_e32 v15, v5, v4
.LBB2_1085:                             ;   in Loop: Header=BB2_897 Depth=2
	s_or_b64 exec, exec, s[64:65]
.LBB2_1086:                             ;   in Loop: Header=BB2_897 Depth=2
	s_or_b64 exec, exec, s[62:63]
                                        ; implicit-def: $vgpr5
.LBB2_1087:                             ;   in Loop: Header=BB2_897 Depth=2
	s_andn2_saveexec_b64 s[24:25], s[60:61]
; %bb.1088:                             ;   in Loop: Header=BB2_897 Depth=2
	v_or_b32_sdwa v4, v5, s75 dst_sel:DWORD dst_unused:UNUSED_PAD src0_sel:BYTE_3 src1_sel:DWORD
	v_cmp_eq_u64_e64 s[22:23], 0, v[56:57]
	v_cndmask_b32_e64 v15, v4, v15, s[22:23]
; %bb.1089:                             ;   in Loop: Header=BB2_897 Depth=2
	s_or_b64 exec, exec, s[24:25]
	v_cmp_ne_u16_sdwa s[22:23], v16, v57 src0_sel:BYTE_0 src1_sel:DWORD
	v_mov_b32_e32 v4, 0
	v_mov_b32_e32 v5, 0
	s_and_saveexec_b64 s[24:25], s[22:23]
	s_cbranch_execz .LBB2_1095
; %bb.1090:                             ;   in Loop: Header=BB2_897 Depth=2
	v_cmp_ne_u16_sdwa s[22:23], v16, s74 src0_sel:BYTE_0 src1_sel:DWORD
	v_bfrev_b32_e32 v5, 1
	s_and_saveexec_b64 s[60:61], s[22:23]
	s_cbranch_execz .LBB2_1094
; %bb.1091:                             ;   in Loop: Header=BB2_897 Depth=2
	v_and_b32_e32 v10, 0x7f, v16
	v_cmp_ne_u32_e64 s[22:23], s75, v10
	v_mov_b32_e32 v5, 0x7f800001
	s_and_saveexec_b64 s[62:63], s[22:23]
	s_cbranch_execz .LBB2_1093
; %bb.1092:                             ;   in Loop: Header=BB2_897 Depth=2
	v_and_b32_e32 v5, 7, v16
	v_ffbh_u32_e32 v5, v5
	v_min_u32_e32 v5, 32, v5
	v_lshrrev_b32_e32 v6, 3, v10
	v_subrev_u32_e32 v7, 28, v5
	v_sub_u32_e32 v5, 29, v5
	v_cmp_gt_u32_e64 s[22:23], 8, v10
	v_cndmask_b32_e64 v5, v6, v5, s[22:23]
	v_cndmask_b32_e64 v6, 0, v7, s[22:23]
	v_lshlrev_b64 v[6:7], v6, v[16:17]
	v_lshlrev_b32_e32 v6, 20, v6
	v_lshlrev_b32_e32 v7, 24, v16
	v_and_b32_e32 v6, 0x700000, v6
	v_and_b32_e32 v7, 0x80000000, v7
	v_lshl_add_u32 v5, v5, 23, v51
	v_or3_b32 v5, v7, v5, v6
.LBB2_1093:                             ;   in Loop: Header=BB2_897 Depth=2
	s_or_b64 exec, exec, s[62:63]
.LBB2_1094:                             ;   in Loop: Header=BB2_897 Depth=2
	s_or_b64 exec, exec, s[60:61]
.LBB2_1095:                             ;   in Loop: Header=BB2_897 Depth=2
	s_or_b64 exec, exec, s[24:25]
	v_cmp_ne_u16_sdwa s[22:23], v12, v57 src0_sel:BYTE_0 src1_sel:DWORD
	s_and_saveexec_b64 s[24:25], s[22:23]
	s_cbranch_execz .LBB2_1101
; %bb.1096:                             ;   in Loop: Header=BB2_897 Depth=2
	v_cmp_ne_u16_sdwa s[22:23], v12, s74 src0_sel:BYTE_0 src1_sel:DWORD
	v_bfrev_b32_e32 v4, 1
	s_and_saveexec_b64 s[60:61], s[22:23]
	s_cbranch_execz .LBB2_1100
; %bb.1097:                             ;   in Loop: Header=BB2_897 Depth=2
	v_and_b32_e32 v10, 0x7f, v12
	v_cmp_ne_u32_e64 s[22:23], s75, v10
	v_mov_b32_e32 v4, 0x7f800001
	s_and_saveexec_b64 s[62:63], s[22:23]
	s_cbranch_execz .LBB2_1099
; %bb.1098:                             ;   in Loop: Header=BB2_897 Depth=2
	v_and_b32_e32 v4, 7, v12
	v_ffbh_u32_e32 v4, v4
	v_min_u32_e32 v4, 32, v4
	v_lshrrev_b32_e32 v6, 3, v10
	v_subrev_u32_e32 v7, 28, v4
	v_sub_u32_e32 v4, 29, v4
	v_cmp_gt_u32_e64 s[22:23], 8, v10
	v_cndmask_b32_e64 v4, v6, v4, s[22:23]
	v_cndmask_b32_e64 v6, 0, v7, s[22:23]
	v_lshlrev_b64 v[6:7], v6, v[12:13]
	v_lshlrev_b32_e32 v6, 20, v6
	v_lshlrev_b32_e32 v7, 24, v12
	v_and_b32_e32 v6, 0x700000, v6
	v_and_b32_e32 v7, 0x80000000, v7
	v_lshl_add_u32 v4, v4, 23, v51
	v_or3_b32 v4, v7, v4, v6
.LBB2_1099:                             ;   in Loop: Header=BB2_897 Depth=2
	s_or_b64 exec, exec, s[62:63]
.LBB2_1100:                             ;   in Loop: Header=BB2_897 Depth=2
	s_or_b64 exec, exec, s[60:61]
.LBB2_1101:                             ;   in Loop: Header=BB2_897 Depth=2
	s_or_b64 exec, exec, s[24:25]
	v_add_f32_e32 v5, v5, v4
	v_and_b32_sdwa v4, v5, s74 dst_sel:DWORD dst_unused:UNUSED_PAD src0_sel:BYTE_3 src1_sel:DWORD
	v_and_b32_e32 v6, 0x7f800000, v5
	v_mov_b32_e32 v7, v57
	v_and_b32_e32 v56, 0x7fffff, v5
	v_or_b32_e32 v25, 0x7e, v4
	v_cmp_ne_u64_e64 s[22:23], s[42:43], v[6:7]
	s_and_saveexec_b64 s[24:25], s[22:23]
	s_xor_b64 s[60:61], exec, s[24:25]
	s_cbranch_execz .LBB2_1111
; %bb.1102:                             ;   in Loop: Header=BB2_897 Depth=2
	v_and_b32_e32 v6, 0x7fffffff, v5
	v_mov_b32_e32 v7, v57
	v_cmp_gt_u64_e64 s[22:23], s[44:45], v[6:7]
	s_and_saveexec_b64 s[62:63], s[22:23]
	s_cbranch_execz .LBB2_1110
; %bb.1103:                             ;   in Loop: Header=BB2_897 Depth=2
	v_cmp_ne_u32_e64 s[22:23], 0, v5
	v_mov_b32_e32 v25, 0
	s_and_saveexec_b64 s[64:65], s[22:23]
	s_cbranch_execz .LBB2_1109
; %bb.1104:                             ;   in Loop: Header=BB2_897 Depth=2
	v_bfe_u32 v5, v5, 23, 8
	v_sub_u32_e32 v7, 0x79, v5
	v_cmp_gt_u32_e64 s[22:23], s76, v5
	v_add_u32_e32 v6, 0xffffff81, v5
	v_cndmask_b32_e64 v7, 0, v7, s[22:23]
	v_cmp_eq_u32_e64 s[22:23], 0, v5
	v_mov_b32_e32 v5, 0xffffff82
	v_cndmask_b32_e64 v5, v6, v5, s[22:23]
	v_mov_b32_e32 v6, 0x78
	v_or_b32_e32 v8, 0x800000, v56
	v_cndmask_b32_e64 v14, v7, v6, s[22:23]
	v_cndmask_b32_e64 v56, v8, v56, s[22:23]
	v_add_u32_e32 v6, 20, v14
	v_lshlrev_b64 v[6:7], v6, -1
	v_lshrrev_b64 v[10:11], v14, v[56:57]
	v_not_b32_e32 v7, v7
	v_not_b32_e32 v6, v6
	v_add_u32_e32 v8, 19, v14
	v_lshrrev_b32_e32 v25, 23, v10
	v_and_b32_e32 v7, 0, v7
	v_and_b32_e32 v6, v56, v6
	v_lshlrev_b64 v[8:9], v8, 1
	v_add3_u32 v25, v14, v5, v25
	v_bfe_u32 v5, v10, 20, 1
	v_add_u32_e32 v5, -1, v5
	v_cmp_eq_u64_e64 s[22:23], v[6:7], v[8:9]
	v_cndmask_b32_e64 v5, 0, v5, s[22:23]
	v_add_u32_e32 v5, v5, v10
	v_and_b32_e32 v5, 0xfffff, v5
	v_add_co_u32_e64 v10, s[22:23], v5, v10
	v_add_u32_e32 v14, 6, v25
	v_addc_co_u32_e64 v11, s[22:23], 0, v11, s[22:23]
	v_cmp_ne_u32_e64 s[22:23], 0, v14
                                        ; implicit-def: $vgpr5
	s_and_saveexec_b64 s[24:25], s[22:23]
	s_xor_b64 s[24:25], exec, s[24:25]
; %bb.1105:                             ;   in Loop: Header=BB2_897 Depth=2
	v_cmp_lt_u64_e64 s[22:23], s[48:49], v[10:11]
	v_add_u32_e32 v5, 7, v25
	v_cndmask_b32_e64 v6, 0, 1, s[22:23]
	v_cndmask_b32_e64 v5, v14, v5, s[22:23]
	v_lshrrev_b64 v[10:11], v6, v[10:11]
; %bb.1106:                             ;   in Loop: Header=BB2_897 Depth=2
	s_andn2_saveexec_b64 s[22:23], s[24:25]
; %bb.1107:                             ;   in Loop: Header=BB2_897 Depth=2
	v_bfe_u32 v5, v10, 23, 1
; %bb.1108:                             ;   in Loop: Header=BB2_897 Depth=2
	s_or_b64 exec, exec, s[22:23]
	v_lshrrev_b64 v[6:7], 20, v[10:11]
	v_cmp_gt_i32_e64 s[22:23], 16, v5
	v_cndmask_b32_e64 v7, 0, v7, s[22:23]
	v_cndmask_b32_e64 v6, 7, v6, s[22:23]
	v_cmp_eq_u32_e64 s[22:23], 0, v5
	v_min_i32_e32 v5, 15, v5
	v_cmp_eq_u64_e64 s[24:25], 0, v[6:7]
	v_lshlrev_b32_e32 v5, 3, v5
	v_and_or_b32 v5, v6, 7, v5
	s_and_b64 s[22:23], s[22:23], s[24:25]
	v_cndmask_b32_e64 v5, v5, 0, s[22:23]
	v_or_b32_e32 v25, v5, v4
.LBB2_1109:                             ;   in Loop: Header=BB2_897 Depth=2
	s_or_b64 exec, exec, s[64:65]
.LBB2_1110:                             ;   in Loop: Header=BB2_897 Depth=2
	s_or_b64 exec, exec, s[62:63]
                                        ; implicit-def: $vgpr5
.LBB2_1111:                             ;   in Loop: Header=BB2_897 Depth=2
	s_andn2_saveexec_b64 s[24:25], s[60:61]
; %bb.1112:                             ;   in Loop: Header=BB2_897 Depth=2
	v_or_b32_sdwa v4, v5, s75 dst_sel:DWORD dst_unused:UNUSED_PAD src0_sel:BYTE_3 src1_sel:DWORD
	v_cmp_eq_u64_e64 s[22:23], 0, v[56:57]
	v_cndmask_b32_e64 v25, v4, v25, s[22:23]
; %bb.1113:                             ;   in Loop: Header=BB2_897 Depth=2
	s_or_b64 exec, exec, s[24:25]
	v_lshrrev_b16_e32 v10, 8, v16
	v_cmp_ne_u16_e64 s[22:23], 0, v10
	v_mov_b32_e32 v4, 0
	v_mov_b32_e32 v5, 0
	s_and_saveexec_b64 s[24:25], s[22:23]
	s_cbranch_execz .LBB2_1119
; %bb.1114:                             ;   in Loop: Header=BB2_897 Depth=2
	v_cmp_ne_u16_e64 s[22:23], s74, v10
	v_bfrev_b32_e32 v5, 1
	s_and_saveexec_b64 s[60:61], s[22:23]
	s_cbranch_execz .LBB2_1118
; %bb.1115:                             ;   in Loop: Header=BB2_897 Depth=2
	v_and_b32_e32 v11, 0x7f, v10
	v_cmp_ne_u32_e64 s[22:23], s75, v11
	v_mov_b32_e32 v5, 0x7f800001
	s_and_saveexec_b64 s[62:63], s[22:23]
	s_cbranch_execz .LBB2_1117
; %bb.1116:                             ;   in Loop: Header=BB2_897 Depth=2
	v_and_b32_e32 v5, 7, v10
	v_ffbh_u32_e32 v6, v5
	v_min_u32_e32 v9, 32, v6
	v_subrev_u32_e32 v6, 28, v9
	v_lshlrev_b64 v[6:7], v6, v[10:11]
	v_lshrrev_b32_e32 v8, 3, v11
	v_sub_u32_e32 v7, 29, v9
	v_and_b32_e32 v6, 7, v6
	v_cmp_gt_u32_e64 s[22:23], 8, v11
	v_cndmask_b32_e64 v7, v8, v7, s[22:23]
	v_cndmask_b32_e64 v5, v5, v6, s[22:23]
	v_lshlrev_b32_e32 v6, 16, v16
	v_lshlrev_b32_e32 v5, 20, v5
	v_and_b32_e32 v6, 0x80000000, v6
	v_lshl_add_u32 v7, v7, 23, v51
	v_or3_b32 v5, v6, v7, v5
.LBB2_1117:                             ;   in Loop: Header=BB2_897 Depth=2
	s_or_b64 exec, exec, s[62:63]
.LBB2_1118:                             ;   in Loop: Header=BB2_897 Depth=2
	s_or_b64 exec, exec, s[60:61]
.LBB2_1119:                             ;   in Loop: Header=BB2_897 Depth=2
	s_or_b64 exec, exec, s[24:25]
	v_lshrrev_b16_e32 v10, 8, v12
	v_cmp_ne_u16_e64 s[22:23], 0, v10
	s_and_saveexec_b64 s[24:25], s[22:23]
	s_cbranch_execz .LBB2_1125
; %bb.1120:                             ;   in Loop: Header=BB2_897 Depth=2
	v_cmp_ne_u16_e64 s[22:23], s74, v10
	v_bfrev_b32_e32 v4, 1
	s_and_saveexec_b64 s[60:61], s[22:23]
	s_cbranch_execz .LBB2_1124
; %bb.1121:                             ;   in Loop: Header=BB2_897 Depth=2
	v_and_b32_e32 v11, 0x7f, v10
	v_cmp_ne_u32_e64 s[22:23], s75, v11
	v_mov_b32_e32 v4, 0x7f800001
	s_and_saveexec_b64 s[62:63], s[22:23]
	s_cbranch_execz .LBB2_1123
; %bb.1122:                             ;   in Loop: Header=BB2_897 Depth=2
	v_and_b32_e32 v4, 7, v10
	v_ffbh_u32_e32 v6, v4
	v_min_u32_e32 v9, 32, v6
	v_subrev_u32_e32 v6, 28, v9
	v_lshlrev_b64 v[6:7], v6, v[10:11]
	v_lshrrev_b32_e32 v8, 3, v11
	v_sub_u32_e32 v7, 29, v9
	v_and_b32_e32 v6, 7, v6
	v_cmp_gt_u32_e64 s[22:23], 8, v11
	v_cndmask_b32_e64 v7, v8, v7, s[22:23]
	v_cndmask_b32_e64 v4, v4, v6, s[22:23]
	v_lshlrev_b32_e32 v6, 16, v12
	v_lshlrev_b32_e32 v4, 20, v4
	v_and_b32_e32 v6, 0x80000000, v6
	v_lshl_add_u32 v7, v7, 23, v51
	v_or3_b32 v4, v6, v7, v4
.LBB2_1123:                             ;   in Loop: Header=BB2_897 Depth=2
	s_or_b64 exec, exec, s[62:63]
.LBB2_1124:                             ;   in Loop: Header=BB2_897 Depth=2
	s_or_b64 exec, exec, s[60:61]
.LBB2_1125:                             ;   in Loop: Header=BB2_897 Depth=2
	s_or_b64 exec, exec, s[24:25]
	v_add_f32_e32 v5, v5, v4
	v_and_b32_sdwa v4, v5, s74 dst_sel:DWORD dst_unused:UNUSED_PAD src0_sel:BYTE_3 src1_sel:DWORD
	v_and_b32_e32 v6, 0x7f800000, v5
	v_mov_b32_e32 v7, v57
	v_and_b32_e32 v56, 0x7fffff, v5
	v_or_b32_e32 v52, 0x7e, v4
	v_cmp_ne_u64_e64 s[22:23], s[42:43], v[6:7]
	s_and_saveexec_b64 s[24:25], s[22:23]
	s_xor_b64 s[60:61], exec, s[24:25]
	s_cbranch_execz .LBB2_1135
; %bb.1126:                             ;   in Loop: Header=BB2_897 Depth=2
	v_and_b32_e32 v6, 0x7fffffff, v5
	v_mov_b32_e32 v7, v57
	v_cmp_gt_u64_e64 s[22:23], s[44:45], v[6:7]
	s_and_saveexec_b64 s[62:63], s[22:23]
	s_cbranch_execz .LBB2_1134
; %bb.1127:                             ;   in Loop: Header=BB2_897 Depth=2
	v_cmp_ne_u32_e64 s[22:23], 0, v5
	v_mov_b32_e32 v52, 0
	s_and_saveexec_b64 s[64:65], s[22:23]
	s_cbranch_execz .LBB2_1133
; %bb.1128:                             ;   in Loop: Header=BB2_897 Depth=2
	v_bfe_u32 v5, v5, 23, 8
	v_sub_u32_e32 v7, 0x79, v5
	v_cmp_gt_u32_e64 s[22:23], s76, v5
	v_add_u32_e32 v6, 0xffffff81, v5
	v_cndmask_b32_e64 v7, 0, v7, s[22:23]
	v_cmp_eq_u32_e64 s[22:23], 0, v5
	v_mov_b32_e32 v5, 0xffffff82
	v_cndmask_b32_e64 v5, v6, v5, s[22:23]
	v_mov_b32_e32 v6, 0x78
	v_or_b32_e32 v8, 0x800000, v56
	v_cndmask_b32_e64 v14, v7, v6, s[22:23]
	v_cndmask_b32_e64 v56, v8, v56, s[22:23]
	v_add_u32_e32 v6, 20, v14
	v_lshlrev_b64 v[6:7], v6, -1
	v_lshrrev_b64 v[10:11], v14, v[56:57]
	v_not_b32_e32 v7, v7
	v_not_b32_e32 v6, v6
	v_add_u32_e32 v8, 19, v14
	v_lshrrev_b32_e32 v29, 23, v10
	v_and_b32_e32 v7, 0, v7
	v_and_b32_e32 v6, v56, v6
	v_lshlrev_b64 v[8:9], v8, 1
	v_add3_u32 v29, v14, v5, v29
	v_bfe_u32 v5, v10, 20, 1
	v_add_u32_e32 v5, -1, v5
	v_cmp_eq_u64_e64 s[22:23], v[6:7], v[8:9]
	v_cndmask_b32_e64 v5, 0, v5, s[22:23]
	v_add_u32_e32 v5, v5, v10
	v_and_b32_e32 v5, 0xfffff, v5
	v_add_co_u32_e64 v10, s[22:23], v5, v10
	v_add_u32_e32 v14, 6, v29
	v_addc_co_u32_e64 v11, s[22:23], 0, v11, s[22:23]
	v_cmp_ne_u32_e64 s[22:23], 0, v14
                                        ; implicit-def: $vgpr5
	s_and_saveexec_b64 s[24:25], s[22:23]
	s_xor_b64 s[24:25], exec, s[24:25]
; %bb.1129:                             ;   in Loop: Header=BB2_897 Depth=2
	v_cmp_lt_u64_e64 s[22:23], s[48:49], v[10:11]
	v_add_u32_e32 v5, 7, v29
	v_cndmask_b32_e64 v6, 0, 1, s[22:23]
	v_cndmask_b32_e64 v5, v14, v5, s[22:23]
	v_lshrrev_b64 v[10:11], v6, v[10:11]
; %bb.1130:                             ;   in Loop: Header=BB2_897 Depth=2
	s_andn2_saveexec_b64 s[22:23], s[24:25]
; %bb.1131:                             ;   in Loop: Header=BB2_897 Depth=2
	v_bfe_u32 v5, v10, 23, 1
; %bb.1132:                             ;   in Loop: Header=BB2_897 Depth=2
	s_or_b64 exec, exec, s[22:23]
	v_lshrrev_b64 v[6:7], 20, v[10:11]
	v_cmp_gt_i32_e64 s[22:23], 16, v5
	v_cndmask_b32_e64 v7, 0, v7, s[22:23]
	v_cndmask_b32_e64 v6, 7, v6, s[22:23]
	v_cmp_eq_u32_e64 s[22:23], 0, v5
	v_min_i32_e32 v5, 15, v5
	v_cmp_eq_u64_e64 s[24:25], 0, v[6:7]
	v_lshlrev_b32_e32 v5, 3, v5
	v_and_or_b32 v5, v6, 7, v5
	s_and_b64 s[22:23], s[22:23], s[24:25]
	v_cndmask_b32_e64 v5, v5, 0, s[22:23]
	v_or_b32_e32 v52, v5, v4
.LBB2_1133:                             ;   in Loop: Header=BB2_897 Depth=2
	s_or_b64 exec, exec, s[64:65]
.LBB2_1134:                             ;   in Loop: Header=BB2_897 Depth=2
	s_or_b64 exec, exec, s[62:63]
                                        ; implicit-def: $vgpr5
.LBB2_1135:                             ;   in Loop: Header=BB2_897 Depth=2
	s_andn2_saveexec_b64 s[24:25], s[60:61]
; %bb.1136:                             ;   in Loop: Header=BB2_897 Depth=2
	v_or_b32_sdwa v4, v5, s75 dst_sel:DWORD dst_unused:UNUSED_PAD src0_sel:BYTE_3 src1_sel:DWORD
	v_cmp_eq_u64_e64 s[22:23], 0, v[56:57]
	v_cndmask_b32_e64 v52, v4, v52, s[22:23]
; %bb.1137:                             ;   in Loop: Header=BB2_897 Depth=2
	s_or_b64 exec, exec, s[24:25]
	v_lshrrev_b32_e32 v10, 16, v16
	v_cmp_ne_u16_sdwa s[22:23], v10, v57 src0_sel:BYTE_0 src1_sel:DWORD
	v_mov_b32_e32 v4, 0
	v_mov_b32_e32 v5, 0
	s_and_saveexec_b64 s[24:25], s[22:23]
	s_cbranch_execz .LBB2_1143
; %bb.1138:                             ;   in Loop: Header=BB2_897 Depth=2
	v_cmp_ne_u16_sdwa s[22:23], v10, s74 src0_sel:BYTE_0 src1_sel:DWORD
	v_bfrev_b32_e32 v5, 1
	s_and_saveexec_b64 s[60:61], s[22:23]
	s_cbranch_execz .LBB2_1142
; %bb.1139:                             ;   in Loop: Header=BB2_897 Depth=2
	v_bfe_u32 v11, v16, 16, 7
	v_cmp_ne_u32_e64 s[22:23], s75, v11
	v_mov_b32_e32 v5, 0x7f800001
	s_and_saveexec_b64 s[62:63], s[22:23]
	s_cbranch_execz .LBB2_1141
; %bb.1140:                             ;   in Loop: Header=BB2_897 Depth=2
	v_and_b32_e32 v5, 7, v10
	v_ffbh_u32_e32 v6, v5
	v_min_u32_e32 v9, 32, v6
	v_subrev_u32_e32 v6, 28, v9
	v_lshlrev_b64 v[6:7], v6, v[10:11]
	v_lshrrev_b32_e32 v8, 3, v11
	v_sub_u32_e32 v7, 29, v9
	v_and_b32_e32 v6, 7, v6
	v_cmp_gt_u32_e64 s[22:23], 8, v11
	v_cndmask_b32_e64 v7, v8, v7, s[22:23]
	v_cndmask_b32_e64 v5, v5, v6, s[22:23]
	v_lshlrev_b32_e32 v6, 24, v10
	v_lshlrev_b32_e32 v5, 20, v5
	v_and_b32_e32 v6, 0x80000000, v6
	v_lshl_add_u32 v7, v7, 23, v51
	v_or3_b32 v5, v6, v7, v5
.LBB2_1141:                             ;   in Loop: Header=BB2_897 Depth=2
	s_or_b64 exec, exec, s[62:63]
.LBB2_1142:                             ;   in Loop: Header=BB2_897 Depth=2
	s_or_b64 exec, exec, s[60:61]
.LBB2_1143:                             ;   in Loop: Header=BB2_897 Depth=2
	s_or_b64 exec, exec, s[24:25]
	v_lshrrev_b32_e32 v10, 16, v12
	v_cmp_ne_u16_sdwa s[22:23], v10, v57 src0_sel:BYTE_0 src1_sel:DWORD
	s_and_saveexec_b64 s[24:25], s[22:23]
	s_cbranch_execz .LBB2_1149
; %bb.1144:                             ;   in Loop: Header=BB2_897 Depth=2
	v_cmp_ne_u16_sdwa s[22:23], v10, s74 src0_sel:BYTE_0 src1_sel:DWORD
	v_bfrev_b32_e32 v4, 1
	s_and_saveexec_b64 s[60:61], s[22:23]
	s_cbranch_execz .LBB2_1148
; %bb.1145:                             ;   in Loop: Header=BB2_897 Depth=2
	v_bfe_u32 v11, v12, 16, 7
	v_cmp_ne_u32_e64 s[22:23], s75, v11
	v_mov_b32_e32 v4, 0x7f800001
	s_and_saveexec_b64 s[62:63], s[22:23]
	s_cbranch_execz .LBB2_1147
; %bb.1146:                             ;   in Loop: Header=BB2_897 Depth=2
	v_and_b32_e32 v4, 7, v10
	v_ffbh_u32_e32 v6, v4
	v_min_u32_e32 v9, 32, v6
	v_subrev_u32_e32 v6, 28, v9
	v_lshlrev_b64 v[6:7], v6, v[10:11]
	v_lshrrev_b32_e32 v8, 3, v11
	v_sub_u32_e32 v7, 29, v9
	v_and_b32_e32 v6, 7, v6
	v_cmp_gt_u32_e64 s[22:23], 8, v11
	v_cndmask_b32_e64 v7, v8, v7, s[22:23]
	v_cndmask_b32_e64 v4, v4, v6, s[22:23]
	v_lshlrev_b32_e32 v6, 8, v12
	v_lshlrev_b32_e32 v4, 20, v4
	v_and_b32_e32 v6, 0x80000000, v6
	v_lshl_add_u32 v7, v7, 23, v51
	v_or3_b32 v4, v6, v7, v4
.LBB2_1147:                             ;   in Loop: Header=BB2_897 Depth=2
	s_or_b64 exec, exec, s[62:63]
.LBB2_1148:                             ;   in Loop: Header=BB2_897 Depth=2
	s_or_b64 exec, exec, s[60:61]
.LBB2_1149:                             ;   in Loop: Header=BB2_897 Depth=2
	s_or_b64 exec, exec, s[24:25]
	v_add_f32_e32 v5, v5, v4
	v_and_b32_sdwa v4, v5, s74 dst_sel:DWORD dst_unused:UNUSED_PAD src0_sel:BYTE_3 src1_sel:DWORD
	v_and_b32_e32 v6, 0x7f800000, v5
	v_mov_b32_e32 v7, v57
	v_and_b32_e32 v56, 0x7fffff, v5
	v_or_b32_e32 v30, 0x7e, v4
	v_cmp_ne_u64_e64 s[22:23], s[42:43], v[6:7]
	s_and_saveexec_b64 s[24:25], s[22:23]
	s_xor_b64 s[60:61], exec, s[24:25]
	s_cbranch_execz .LBB2_1159
; %bb.1150:                             ;   in Loop: Header=BB2_897 Depth=2
	v_and_b32_e32 v6, 0x7fffffff, v5
	v_mov_b32_e32 v7, v57
	v_cmp_gt_u64_e64 s[22:23], s[44:45], v[6:7]
	s_and_saveexec_b64 s[62:63], s[22:23]
	s_cbranch_execz .LBB2_1158
; %bb.1151:                             ;   in Loop: Header=BB2_897 Depth=2
	v_cmp_ne_u32_e64 s[22:23], 0, v5
	v_mov_b32_e32 v30, 0
	s_and_saveexec_b64 s[64:65], s[22:23]
	s_cbranch_execz .LBB2_1157
; %bb.1152:                             ;   in Loop: Header=BB2_897 Depth=2
	v_bfe_u32 v5, v5, 23, 8
	v_sub_u32_e32 v7, 0x79, v5
	v_cmp_gt_u32_e64 s[22:23], s76, v5
	v_add_u32_e32 v6, 0xffffff81, v5
	v_cndmask_b32_e64 v7, 0, v7, s[22:23]
	v_cmp_eq_u32_e64 s[22:23], 0, v5
	v_mov_b32_e32 v5, 0xffffff82
	v_cndmask_b32_e64 v5, v6, v5, s[22:23]
	v_mov_b32_e32 v6, 0x78
	v_or_b32_e32 v8, 0x800000, v56
	v_cndmask_b32_e64 v14, v7, v6, s[22:23]
	v_cndmask_b32_e64 v56, v8, v56, s[22:23]
	v_add_u32_e32 v6, 20, v14
	v_lshlrev_b64 v[6:7], v6, -1
	v_lshrrev_b64 v[10:11], v14, v[56:57]
	v_not_b32_e32 v7, v7
	v_not_b32_e32 v6, v6
	v_add_u32_e32 v8, 19, v14
	v_lshrrev_b32_e32 v29, 23, v10
	v_and_b32_e32 v7, 0, v7
	v_and_b32_e32 v6, v56, v6
	v_lshlrev_b64 v[8:9], v8, 1
	v_add3_u32 v29, v14, v5, v29
	v_bfe_u32 v5, v10, 20, 1
	v_add_u32_e32 v5, -1, v5
	v_cmp_eq_u64_e64 s[22:23], v[6:7], v[8:9]
	v_cndmask_b32_e64 v5, 0, v5, s[22:23]
	v_add_u32_e32 v5, v5, v10
	v_and_b32_e32 v5, 0xfffff, v5
	v_add_co_u32_e64 v10, s[22:23], v5, v10
	v_add_u32_e32 v14, 6, v29
	v_addc_co_u32_e64 v11, s[22:23], 0, v11, s[22:23]
	v_cmp_ne_u32_e64 s[22:23], 0, v14
                                        ; implicit-def: $vgpr5
	s_and_saveexec_b64 s[24:25], s[22:23]
	s_xor_b64 s[24:25], exec, s[24:25]
; %bb.1153:                             ;   in Loop: Header=BB2_897 Depth=2
	v_cmp_lt_u64_e64 s[22:23], s[48:49], v[10:11]
	v_add_u32_e32 v5, 7, v29
	v_cndmask_b32_e64 v6, 0, 1, s[22:23]
	v_cndmask_b32_e64 v5, v14, v5, s[22:23]
	v_lshrrev_b64 v[10:11], v6, v[10:11]
; %bb.1154:                             ;   in Loop: Header=BB2_897 Depth=2
	s_andn2_saveexec_b64 s[22:23], s[24:25]
; %bb.1155:                             ;   in Loop: Header=BB2_897 Depth=2
	v_bfe_u32 v5, v10, 23, 1
; %bb.1156:                             ;   in Loop: Header=BB2_897 Depth=2
	s_or_b64 exec, exec, s[22:23]
	v_lshrrev_b64 v[6:7], 20, v[10:11]
	v_cmp_gt_i32_e64 s[22:23], 16, v5
	v_cndmask_b32_e64 v7, 0, v7, s[22:23]
	v_cndmask_b32_e64 v6, 7, v6, s[22:23]
	v_cmp_eq_u32_e64 s[22:23], 0, v5
	v_min_i32_e32 v5, 15, v5
	v_cmp_eq_u64_e64 s[24:25], 0, v[6:7]
	v_lshlrev_b32_e32 v5, 3, v5
	v_and_or_b32 v5, v6, 7, v5
	s_and_b64 s[22:23], s[22:23], s[24:25]
	v_cndmask_b32_e64 v5, v5, 0, s[22:23]
	v_or_b32_e32 v30, v5, v4
.LBB2_1157:                             ;   in Loop: Header=BB2_897 Depth=2
	s_or_b64 exec, exec, s[64:65]
.LBB2_1158:                             ;   in Loop: Header=BB2_897 Depth=2
	s_or_b64 exec, exec, s[62:63]
                                        ; implicit-def: $vgpr5
.LBB2_1159:                             ;   in Loop: Header=BB2_897 Depth=2
	s_andn2_saveexec_b64 s[24:25], s[60:61]
; %bb.1160:                             ;   in Loop: Header=BB2_897 Depth=2
	v_or_b32_sdwa v4, v5, s75 dst_sel:DWORD dst_unused:UNUSED_PAD src0_sel:BYTE_3 src1_sel:DWORD
	v_cmp_eq_u64_e64 s[22:23], 0, v[56:57]
	v_cndmask_b32_e64 v30, v4, v30, s[22:23]
; %bb.1161:                             ;   in Loop: Header=BB2_897 Depth=2
	s_or_b64 exec, exec, s[24:25]
	v_cmp_lt_u32_e64 s[22:23], s47, v16
	v_mov_b32_e32 v4, 0
	v_mov_b32_e32 v5, 0
	s_and_saveexec_b64 s[24:25], s[22:23]
	s_cbranch_execz .LBB2_1167
; %bb.1162:                             ;   in Loop: Header=BB2_897 Depth=2
	v_lshrrev_b32_e32 v10, 24, v16
	v_cmp_ne_u32_e64 s[22:23], s74, v10
	v_bfrev_b32_e32 v5, 1
	s_and_saveexec_b64 s[60:61], s[22:23]
	s_cbranch_execz .LBB2_1166
; %bb.1163:                             ;   in Loop: Header=BB2_897 Depth=2
	v_bfe_u32 v11, v16, 24, 7
	v_cmp_ne_u32_e64 s[22:23], s75, v11
	v_mov_b32_e32 v5, 0x7f800001
	s_and_saveexec_b64 s[62:63], s[22:23]
	s_cbranch_execz .LBB2_1165
; %bb.1164:                             ;   in Loop: Header=BB2_897 Depth=2
	v_and_b32_e32 v5, 7, v10
	v_ffbh_u32_e32 v6, v5
	v_min_u32_e32 v9, 32, v6
	v_subrev_u32_e32 v6, 28, v9
	v_lshlrev_b64 v[6:7], v6, v[10:11]
	v_lshrrev_b32_e32 v8, 3, v11
	v_sub_u32_e32 v7, 29, v9
	v_and_b32_e32 v6, 7, v6
	v_cmp_gt_u32_e64 s[22:23], 8, v11
	v_cndmask_b32_e64 v7, v8, v7, s[22:23]
	v_cndmask_b32_e64 v5, v5, v6, s[22:23]
	v_lshlrev_b32_e32 v6, 24, v10
	v_lshlrev_b32_e32 v5, 20, v5
	v_and_b32_e32 v6, 0x80000000, v6
	v_lshl_add_u32 v7, v7, 23, v51
	v_or3_b32 v5, v6, v7, v5
.LBB2_1165:                             ;   in Loop: Header=BB2_897 Depth=2
	s_or_b64 exec, exec, s[62:63]
.LBB2_1166:                             ;   in Loop: Header=BB2_897 Depth=2
	s_or_b64 exec, exec, s[60:61]
.LBB2_1167:                             ;   in Loop: Header=BB2_897 Depth=2
	s_or_b64 exec, exec, s[24:25]
	v_cmp_lt_u32_e64 s[22:23], s47, v12
	s_and_saveexec_b64 s[24:25], s[22:23]
	s_cbranch_execz .LBB2_1173
; %bb.1168:                             ;   in Loop: Header=BB2_897 Depth=2
	v_lshrrev_b32_e32 v10, 24, v12
	v_cmp_ne_u32_e64 s[22:23], s74, v10
	v_bfrev_b32_e32 v4, 1
	s_and_saveexec_b64 s[60:61], s[22:23]
	s_cbranch_execz .LBB2_1172
; %bb.1169:                             ;   in Loop: Header=BB2_897 Depth=2
	v_bfe_u32 v11, v12, 24, 7
	v_cmp_ne_u32_e64 s[22:23], s75, v11
	v_mov_b32_e32 v4, 0x7f800001
	s_and_saveexec_b64 s[62:63], s[22:23]
	s_cbranch_execz .LBB2_1171
; %bb.1170:                             ;   in Loop: Header=BB2_897 Depth=2
	v_and_b32_e32 v4, 7, v10
	v_ffbh_u32_e32 v6, v4
	v_min_u32_e32 v9, 32, v6
	v_subrev_u32_e32 v6, 28, v9
	v_lshlrev_b64 v[6:7], v6, v[10:11]
	v_lshrrev_b32_e32 v8, 3, v11
	v_sub_u32_e32 v7, 29, v9
	v_and_b32_e32 v6, 7, v6
	v_cmp_gt_u32_e64 s[22:23], 8, v11
	v_cndmask_b32_e64 v7, v8, v7, s[22:23]
	v_cndmask_b32_e64 v4, v4, v6, s[22:23]
	v_lshlrev_b32_e32 v6, 24, v10
	v_lshlrev_b32_e32 v4, 20, v4
	v_and_b32_e32 v6, 0x80000000, v6
	v_lshl_add_u32 v7, v7, 23, v51
	v_or3_b32 v4, v6, v7, v4
.LBB2_1171:                             ;   in Loop: Header=BB2_897 Depth=2
	s_or_b64 exec, exec, s[62:63]
.LBB2_1172:                             ;   in Loop: Header=BB2_897 Depth=2
	s_or_b64 exec, exec, s[60:61]
.LBB2_1173:                             ;   in Loop: Header=BB2_897 Depth=2
	s_or_b64 exec, exec, s[24:25]
	v_add_f32_e32 v10, v5, v4
	v_and_b32_sdwa v5, v10, s74 dst_sel:DWORD dst_unused:UNUSED_PAD src0_sel:BYTE_3 src1_sel:DWORD
	v_and_b32_e32 v6, 0x7f800000, v10
	v_mov_b32_e32 v7, v57
	v_and_b32_e32 v56, 0x7fffff, v10
	v_or_b32_e32 v4, 0x7e, v5
	v_cmp_ne_u64_e64 s[22:23], s[42:43], v[6:7]
	s_and_saveexec_b64 s[24:25], s[22:23]
	s_xor_b64 s[60:61], exec, s[24:25]
	s_cbranch_execz .LBB2_1183
; %bb.1174:                             ;   in Loop: Header=BB2_897 Depth=2
	v_and_b32_e32 v6, 0x7fffffff, v10
	v_mov_b32_e32 v7, v57
	v_cmp_gt_u64_e64 s[22:23], s[44:45], v[6:7]
	s_and_saveexec_b64 s[62:63], s[22:23]
	s_cbranch_execz .LBB2_1182
; %bb.1175:                             ;   in Loop: Header=BB2_897 Depth=2
	v_cmp_ne_u32_e64 s[22:23], 0, v10
	v_mov_b32_e32 v4, 0
	s_and_saveexec_b64 s[64:65], s[22:23]
	s_cbranch_execz .LBB2_1181
; %bb.1176:                             ;   in Loop: Header=BB2_897 Depth=2
	v_bfe_u32 v4, v10, 23, 8
	v_sub_u32_e32 v7, 0x79, v4
	v_cmp_gt_u32_e64 s[22:23], s76, v4
	v_add_u32_e32 v6, 0xffffff81, v4
	v_cndmask_b32_e64 v7, 0, v7, s[22:23]
	v_cmp_eq_u32_e64 s[22:23], 0, v4
	v_mov_b32_e32 v4, 0xffffff82
	v_cndmask_b32_e64 v4, v6, v4, s[22:23]
	v_mov_b32_e32 v6, 0x78
	v_or_b32_e32 v8, 0x800000, v56
	v_cndmask_b32_e64 v14, v7, v6, s[22:23]
	v_cndmask_b32_e64 v56, v8, v56, s[22:23]
	v_add_u32_e32 v6, 20, v14
	v_lshlrev_b64 v[6:7], v6, -1
	v_lshrrev_b64 v[10:11], v14, v[56:57]
	v_not_b32_e32 v7, v7
	v_not_b32_e32 v6, v6
	v_add_u32_e32 v8, 19, v14
	v_lshrrev_b32_e32 v29, 23, v10
	v_and_b32_e32 v7, 0, v7
	v_and_b32_e32 v6, v56, v6
	v_lshlrev_b64 v[8:9], v8, 1
	v_add3_u32 v29, v14, v4, v29
	v_bfe_u32 v4, v10, 20, 1
	v_add_u32_e32 v4, -1, v4
	v_cmp_eq_u64_e64 s[22:23], v[6:7], v[8:9]
	v_cndmask_b32_e64 v4, 0, v4, s[22:23]
	v_add_u32_e32 v4, v4, v10
	v_and_b32_e32 v4, 0xfffff, v4
	v_add_co_u32_e64 v10, s[22:23], v4, v10
	v_add_u32_e32 v14, 6, v29
	v_addc_co_u32_e64 v11, s[22:23], 0, v11, s[22:23]
	v_cmp_ne_u32_e64 s[22:23], 0, v14
                                        ; implicit-def: $vgpr4
	s_and_saveexec_b64 s[24:25], s[22:23]
	s_xor_b64 s[24:25], exec, s[24:25]
; %bb.1177:                             ;   in Loop: Header=BB2_897 Depth=2
	v_cmp_lt_u64_e64 s[22:23], s[48:49], v[10:11]
	v_add_u32_e32 v4, 7, v29
	v_cndmask_b32_e64 v6, 0, 1, s[22:23]
	v_cndmask_b32_e64 v4, v14, v4, s[22:23]
	v_lshrrev_b64 v[10:11], v6, v[10:11]
; %bb.1178:                             ;   in Loop: Header=BB2_897 Depth=2
	s_andn2_saveexec_b64 s[22:23], s[24:25]
; %bb.1179:                             ;   in Loop: Header=BB2_897 Depth=2
	v_bfe_u32 v4, v10, 23, 1
; %bb.1180:                             ;   in Loop: Header=BB2_897 Depth=2
	s_or_b64 exec, exec, s[22:23]
	v_lshrrev_b64 v[6:7], 20, v[10:11]
	v_cmp_gt_i32_e64 s[22:23], 16, v4
	v_cndmask_b32_e64 v7, 0, v7, s[22:23]
	v_cndmask_b32_e64 v6, 7, v6, s[22:23]
	v_cmp_eq_u32_e64 s[22:23], 0, v4
	v_min_i32_e32 v4, 15, v4
	v_cmp_eq_u64_e64 s[24:25], 0, v[6:7]
	v_lshlrev_b32_e32 v4, 3, v4
	v_and_or_b32 v4, v6, 7, v4
	s_and_b64 s[22:23], s[22:23], s[24:25]
	v_cndmask_b32_e64 v4, v4, 0, s[22:23]
	v_or_b32_e32 v4, v4, v5
.LBB2_1181:                             ;   in Loop: Header=BB2_897 Depth=2
	s_or_b64 exec, exec, s[64:65]
.LBB2_1182:                             ;   in Loop: Header=BB2_897 Depth=2
	s_or_b64 exec, exec, s[62:63]
                                        ; implicit-def: $vgpr10
.LBB2_1183:                             ;   in Loop: Header=BB2_897 Depth=2
	s_andn2_saveexec_b64 s[24:25], s[60:61]
; %bb.1184:                             ;   in Loop: Header=BB2_897 Depth=2
	v_or_b32_sdwa v5, v10, s75 dst_sel:DWORD dst_unused:UNUSED_PAD src0_sel:BYTE_3 src1_sel:DWORD
	v_cmp_eq_u64_e64 s[22:23], 0, v[56:57]
	v_cndmask_b32_e64 v4, v5, v4, s[22:23]
; %bb.1185:                             ;   in Loop: Header=BB2_897 Depth=2
	s_or_b64 exec, exec, s[24:25]
	v_mov_b32_e32 v56, v17
	v_cmp_ne_u16_sdwa s[22:23], v17, v57 src0_sel:BYTE_0 src1_sel:DWORD
	v_mov_b32_e32 v10, 0
	v_mov_b32_e32 v5, 0
	s_and_saveexec_b64 s[24:25], s[22:23]
	s_cbranch_execz .LBB2_1191
; %bb.1186:                             ;   in Loop: Header=BB2_897 Depth=2
	v_cmp_ne_u16_sdwa s[22:23], v17, s74 src0_sel:BYTE_0 src1_sel:DWORD
	v_bfrev_b32_e32 v5, 1
	s_and_saveexec_b64 s[60:61], s[22:23]
	s_cbranch_execz .LBB2_1190
; %bb.1187:                             ;   in Loop: Header=BB2_897 Depth=2
	v_and_b32_e32 v11, 0x7f, v17
	v_cmp_ne_u32_e64 s[22:23], s75, v11
	v_mov_b32_e32 v5, 0x7f800001
	s_and_saveexec_b64 s[62:63], s[22:23]
	s_cbranch_execz .LBB2_1189
; %bb.1188:                             ;   in Loop: Header=BB2_897 Depth=2
	v_and_b32_e32 v5, 7, v17
	v_ffbh_u32_e32 v5, v5
	v_min_u32_e32 v5, 32, v5
	v_lshrrev_b32_e32 v6, 3, v11
	v_subrev_u32_e32 v7, 28, v5
	v_sub_u32_e32 v5, 29, v5
	v_cmp_gt_u32_e64 s[22:23], 8, v11
	v_cndmask_b32_e64 v5, v6, v5, s[22:23]
	v_cndmask_b32_e64 v6, 0, v7, s[22:23]
	v_lshlrev_b64 v[6:7], v6, v[56:57]
	v_lshlrev_b32_e32 v6, 20, v6
	v_lshlrev_b32_e32 v7, 24, v56
	v_and_b32_e32 v6, 0x700000, v6
	v_and_b32_e32 v7, 0x80000000, v7
	v_lshl_add_u32 v5, v5, 23, v51
	v_or3_b32 v5, v7, v5, v6
.LBB2_1189:                             ;   in Loop: Header=BB2_897 Depth=2
	s_or_b64 exec, exec, s[62:63]
.LBB2_1190:                             ;   in Loop: Header=BB2_897 Depth=2
	s_or_b64 exec, exec, s[60:61]
.LBB2_1191:                             ;   in Loop: Header=BB2_897 Depth=2
	s_or_b64 exec, exec, s[24:25]
	v_cmp_ne_u16_sdwa s[22:23], v13, v57 src0_sel:BYTE_0 src1_sel:DWORD
	s_and_saveexec_b64 s[24:25], s[22:23]
	s_cbranch_execz .LBB2_1197
; %bb.1192:                             ;   in Loop: Header=BB2_897 Depth=2
	v_cmp_ne_u16_sdwa s[22:23], v13, s74 src0_sel:BYTE_0 src1_sel:DWORD
	v_bfrev_b32_e32 v10, 1
	s_and_saveexec_b64 s[60:61], s[22:23]
	s_cbranch_execz .LBB2_1196
; %bb.1193:                             ;   in Loop: Header=BB2_897 Depth=2
	v_and_b32_e32 v11, 0x7f, v13
	v_cmp_ne_u32_e64 s[22:23], s75, v11
	v_mov_b32_e32 v10, 0x7f800001
	s_and_saveexec_b64 s[62:63], s[22:23]
	s_cbranch_execz .LBB2_1195
; %bb.1194:                             ;   in Loop: Header=BB2_897 Depth=2
	v_and_b32_e32 v8, 7, v13
	v_ffbh_u32_e32 v8, v8
	v_min_u32_e32 v8, 32, v8
	v_lshrrev_b32_e32 v9, 3, v11
	v_subrev_u32_e32 v10, 28, v8
	v_sub_u32_e32 v8, 29, v8
	v_cmp_gt_u32_e64 s[22:23], 8, v11
	v_mov_b32_e32 v6, v13
	v_mov_b32_e32 v7, v57
	v_cndmask_b32_e64 v11, v9, v8, s[22:23]
	v_cndmask_b32_e64 v8, 0, v10, s[22:23]
	v_lshlrev_b64 v[8:9], v8, v[6:7]
	v_lshlrev_b32_e32 v7, 20, v8
	v_lshlrev_b32_e32 v6, 24, v6
	v_and_b32_e32 v7, 0x700000, v7
	v_and_b32_e32 v6, 0x80000000, v6
	v_lshl_add_u32 v8, v11, 23, v51
	v_or3_b32 v10, v6, v8, v7
.LBB2_1195:                             ;   in Loop: Header=BB2_897 Depth=2
	s_or_b64 exec, exec, s[62:63]
.LBB2_1196:                             ;   in Loop: Header=BB2_897 Depth=2
	s_or_b64 exec, exec, s[60:61]
.LBB2_1197:                             ;   in Loop: Header=BB2_897 Depth=2
	s_or_b64 exec, exec, s[24:25]
	v_add_f32_e32 v48, v5, v10
	v_and_b32_sdwa v14, v48, s74 dst_sel:DWORD dst_unused:UNUSED_PAD src0_sel:BYTE_3 src1_sel:DWORD
	v_and_b32_e32 v6, 0x7f800000, v48
	v_mov_b32_e32 v7, v57
	v_and_b32_e32 v10, 0x7fffff, v48
	v_mov_b32_e32 v11, v57
	v_or_b32_e32 v5, 0x7e, v14
	v_cmp_ne_u64_e64 s[22:23], s[42:43], v[6:7]
	s_and_saveexec_b64 s[24:25], s[22:23]
	s_xor_b64 s[60:61], exec, s[24:25]
	s_cbranch_execz .LBB2_1207
; %bb.1198:                             ;   in Loop: Header=BB2_897 Depth=2
	v_and_b32_e32 v6, 0x7fffffff, v48
	v_mov_b32_e32 v7, v57
	v_cmp_gt_u64_e64 s[22:23], s[44:45], v[6:7]
	s_and_saveexec_b64 s[62:63], s[22:23]
	s_cbranch_execz .LBB2_1206
; %bb.1199:                             ;   in Loop: Header=BB2_897 Depth=2
	v_cmp_ne_u32_e64 s[22:23], 0, v48
	v_mov_b32_e32 v5, 0
	s_and_saveexec_b64 s[64:65], s[22:23]
	s_cbranch_execz .LBB2_1205
; %bb.1200:                             ;   in Loop: Header=BB2_897 Depth=2
	v_bfe_u32 v5, v48, 23, 8
	v_sub_u32_e32 v7, 0x79, v5
	v_cmp_gt_u32_e64 s[22:23], s76, v5
	v_add_u32_e32 v6, 0xffffff81, v5
	v_cndmask_b32_e64 v7, 0, v7, s[22:23]
	v_cmp_eq_u32_e64 s[22:23], 0, v5
	v_mov_b32_e32 v5, 0xffffff82
	v_cndmask_b32_e64 v5, v6, v5, s[22:23]
	v_mov_b32_e32 v6, 0x78
	v_cndmask_b32_e64 v29, v7, v6, s[22:23]
	v_add_u32_e32 v6, 20, v29
	v_or_b32_e32 v8, 0x800000, v10
	v_lshlrev_b64 v[6:7], v6, -1
	v_cndmask_b32_e64 v10, v8, v10, s[22:23]
	v_not_b32_e32 v6, v6
	v_and_b32_e32 v6, v10, v6
	v_lshrrev_b64 v[10:11], v29, v[10:11]
	v_not_b32_e32 v7, v7
	v_add_u32_e32 v8, 19, v29
	v_lshrrev_b32_e32 v48, 23, v10
	v_and_b32_e32 v7, 0, v7
	v_lshlrev_b64 v[8:9], v8, 1
	v_add3_u32 v29, v29, v5, v48
	v_bfe_u32 v5, v10, 20, 1
	v_add_u32_e32 v5, -1, v5
	v_cmp_eq_u64_e64 s[22:23], v[6:7], v[8:9]
	v_cndmask_b32_e64 v5, 0, v5, s[22:23]
	v_add_u32_e32 v5, v5, v10
	v_and_b32_e32 v5, 0xfffff, v5
	v_add_co_u32_e64 v10, s[22:23], v5, v10
	v_add_u32_e32 v48, 6, v29
	v_addc_co_u32_e64 v11, s[22:23], 0, v11, s[22:23]
	v_cmp_ne_u32_e64 s[22:23], 0, v48
                                        ; implicit-def: $vgpr5
	s_and_saveexec_b64 s[24:25], s[22:23]
	s_xor_b64 s[24:25], exec, s[24:25]
; %bb.1201:                             ;   in Loop: Header=BB2_897 Depth=2
	v_cmp_lt_u64_e64 s[22:23], s[48:49], v[10:11]
	v_add_u32_e32 v5, 7, v29
	v_cndmask_b32_e64 v6, 0, 1, s[22:23]
	v_cndmask_b32_e64 v5, v48, v5, s[22:23]
	v_lshrrev_b64 v[10:11], v6, v[10:11]
; %bb.1202:                             ;   in Loop: Header=BB2_897 Depth=2
	s_andn2_saveexec_b64 s[22:23], s[24:25]
; %bb.1203:                             ;   in Loop: Header=BB2_897 Depth=2
	v_bfe_u32 v5, v10, 23, 1
; %bb.1204:                             ;   in Loop: Header=BB2_897 Depth=2
	s_or_b64 exec, exec, s[22:23]
	v_lshrrev_b64 v[6:7], 20, v[10:11]
	v_cmp_gt_i32_e64 s[22:23], 16, v5
	v_cndmask_b32_e64 v7, 0, v7, s[22:23]
	v_cndmask_b32_e64 v6, 7, v6, s[22:23]
	v_cmp_eq_u32_e64 s[22:23], 0, v5
	v_min_i32_e32 v5, 15, v5
	v_cmp_eq_u64_e64 s[24:25], 0, v[6:7]
	v_lshlrev_b32_e32 v5, 3, v5
	v_and_or_b32 v5, v6, 7, v5
	s_and_b64 s[22:23], s[22:23], s[24:25]
	v_cndmask_b32_e64 v5, v5, 0, s[22:23]
	v_or_b32_e32 v5, v5, v14
.LBB2_1205:                             ;   in Loop: Header=BB2_897 Depth=2
	s_or_b64 exec, exec, s[64:65]
.LBB2_1206:                             ;   in Loop: Header=BB2_897 Depth=2
	s_or_b64 exec, exec, s[62:63]
                                        ; implicit-def: $vgpr48
                                        ; implicit-def: $vgpr10_vgpr11
.LBB2_1207:                             ;   in Loop: Header=BB2_897 Depth=2
	s_andn2_saveexec_b64 s[24:25], s[60:61]
; %bb.1208:                             ;   in Loop: Header=BB2_897 Depth=2
	v_or_b32_sdwa v6, v48, s75 dst_sel:DWORD dst_unused:UNUSED_PAD src0_sel:BYTE_3 src1_sel:DWORD
	v_cmp_eq_u64_e64 s[22:23], 0, v[10:11]
	v_cndmask_b32_e64 v5, v6, v5, s[22:23]
; %bb.1209:                             ;   in Loop: Header=BB2_897 Depth=2
	s_or_b64 exec, exec, s[24:25]
	v_lshrrev_b16_e32 v10, 8, v56
	v_cmp_ne_u16_e64 s[22:23], 0, v10
	v_mov_b32_e32 v11, 0
	v_mov_b32_e32 v48, 0
	s_and_saveexec_b64 s[24:25], s[22:23]
	s_cbranch_execz .LBB2_1215
; %bb.1210:                             ;   in Loop: Header=BB2_897 Depth=2
	v_cmp_ne_u16_e64 s[22:23], s74, v10
	v_bfrev_b32_e32 v48, 1
	s_and_saveexec_b64 s[60:61], s[22:23]
	s_cbranch_execz .LBB2_1214
; %bb.1211:                             ;   in Loop: Header=BB2_897 Depth=2
	v_and_b32_e32 v14, 0x7f, v10
	v_cmp_ne_u32_e64 s[22:23], s75, v14
	v_mov_b32_e32 v48, 0x7f800001
	s_and_saveexec_b64 s[62:63], s[22:23]
	s_cbranch_execz .LBB2_1213
; %bb.1212:                             ;   in Loop: Header=BB2_897 Depth=2
	v_and_b32_e32 v8, 7, v10
	v_ffbh_u32_e32 v6, v8
	v_min_u32_e32 v29, 32, v6
	v_subrev_u32_e32 v6, 28, v29
	v_lshlrev_b64 v[6:7], v6, v[10:11]
	v_lshrrev_b32_e32 v9, 3, v14
	v_sub_u32_e32 v7, 29, v29
	v_and_b32_e32 v6, 7, v6
	v_cmp_gt_u32_e64 s[22:23], 8, v14
	v_cndmask_b32_e64 v7, v9, v7, s[22:23]
	v_cndmask_b32_e64 v6, v8, v6, s[22:23]
	v_lshlrev_b32_e32 v8, 16, v56
	v_lshlrev_b32_e32 v6, 20, v6
	v_and_b32_e32 v8, 0x80000000, v8
	v_lshl_add_u32 v7, v7, 23, v51
	v_or3_b32 v48, v8, v7, v6
.LBB2_1213:                             ;   in Loop: Header=BB2_897 Depth=2
	s_or_b64 exec, exec, s[62:63]
.LBB2_1214:                             ;   in Loop: Header=BB2_897 Depth=2
	s_or_b64 exec, exec, s[60:61]
.LBB2_1215:                             ;   in Loop: Header=BB2_897 Depth=2
	s_or_b64 exec, exec, s[24:25]
	v_mov_b32_e32 v10, v13
	v_lshrrev_b16_e32 v14, 8, v10
	v_cmp_ne_u16_e64 s[22:23], 0, v14
	s_and_saveexec_b64 s[24:25], s[22:23]
	s_cbranch_execz .LBB2_1221
; %bb.1216:                             ;   in Loop: Header=BB2_897 Depth=2
	v_cmp_ne_u16_e64 s[22:23], s74, v14
	v_bfrev_b32_e32 v11, 1
	s_and_saveexec_b64 s[60:61], s[22:23]
	s_cbranch_execz .LBB2_1220
; %bb.1217:                             ;   in Loop: Header=BB2_897 Depth=2
	v_and_b32_e32 v29, 0x7f, v14
	v_cmp_ne_u32_e64 s[22:23], s75, v29
	v_mov_b32_e32 v11, 0x7f800001
	s_and_saveexec_b64 s[62:63], s[22:23]
	s_cbranch_execz .LBB2_1219
; %bb.1218:                             ;   in Loop: Header=BB2_897 Depth=2
	v_and_b32_e32 v8, 7, v14
	v_ffbh_u32_e32 v6, v8
	v_min_u32_e32 v11, 32, v6
	v_subrev_u32_e32 v6, 28, v11
	v_lshlrev_b64 v[6:7], v6, v[14:15]
	v_lshrrev_b32_e32 v9, 3, v29
	v_sub_u32_e32 v7, 29, v11
	v_and_b32_e32 v6, 7, v6
	v_cmp_gt_u32_e64 s[22:23], 8, v29
	v_cndmask_b32_e64 v7, v9, v7, s[22:23]
	v_cndmask_b32_e64 v6, v8, v6, s[22:23]
	v_lshlrev_b32_e32 v8, 16, v10
	v_lshlrev_b32_e32 v6, 20, v6
	v_and_b32_e32 v8, 0x80000000, v8
	v_lshl_add_u32 v7, v7, 23, v51
	v_or3_b32 v11, v8, v7, v6
.LBB2_1219:                             ;   in Loop: Header=BB2_897 Depth=2
	s_or_b64 exec, exec, s[62:63]
.LBB2_1220:                             ;   in Loop: Header=BB2_897 Depth=2
	s_or_b64 exec, exec, s[60:61]
.LBB2_1221:                             ;   in Loop: Header=BB2_897 Depth=2
	s_or_b64 exec, exec, s[24:25]
	v_add_f32_e32 v10, v48, v11
	v_and_b32_sdwa v48, v10, s74 dst_sel:DWORD dst_unused:UNUSED_PAD src0_sel:BYTE_3 src1_sel:DWORD
	v_and_b32_e32 v6, 0x7f800000, v10
	v_mov_b32_e32 v7, v57
	v_and_b32_e32 v56, 0x7fffff, v10
	v_or_b32_e32 v14, 0x7e, v48
	v_cmp_ne_u64_e64 s[22:23], s[42:43], v[6:7]
	s_and_saveexec_b64 s[24:25], s[22:23]
	s_xor_b64 s[60:61], exec, s[24:25]
	s_cbranch_execz .LBB2_1231
; %bb.1222:                             ;   in Loop: Header=BB2_897 Depth=2
	v_and_b32_e32 v6, 0x7fffffff, v10
	v_mov_b32_e32 v7, v57
	v_cmp_gt_u64_e64 s[22:23], s[44:45], v[6:7]
	s_and_saveexec_b64 s[62:63], s[22:23]
	s_cbranch_execz .LBB2_1230
; %bb.1223:                             ;   in Loop: Header=BB2_897 Depth=2
	v_cmp_ne_u32_e64 s[22:23], 0, v10
	v_mov_b32_e32 v14, 0
	s_and_saveexec_b64 s[64:65], s[22:23]
	s_cbranch_execz .LBB2_1229
; %bb.1224:                             ;   in Loop: Header=BB2_897 Depth=2
	v_bfe_u32 v6, v10, 23, 8
	v_sub_u32_e32 v8, 0x79, v6
	v_cmp_gt_u32_e64 s[22:23], s76, v6
	v_add_u32_e32 v7, 0xffffff81, v6
	v_cndmask_b32_e64 v8, 0, v8, s[22:23]
	v_cmp_eq_u32_e64 s[22:23], 0, v6
	v_mov_b32_e32 v6, 0xffffff82
	v_cndmask_b32_e64 v14, v7, v6, s[22:23]
	v_mov_b32_e32 v6, 0x78
	v_or_b32_e32 v9, 0x800000, v56
	v_cndmask_b32_e64 v29, v8, v6, s[22:23]
	v_cndmask_b32_e64 v56, v9, v56, s[22:23]
	v_add_u32_e32 v6, 20, v29
	v_lshlrev_b64 v[6:7], v6, -1
	v_lshrrev_b64 v[10:11], v29, v[56:57]
	v_not_b32_e32 v7, v7
	v_not_b32_e32 v6, v6
	v_add_u32_e32 v8, 19, v29
	v_lshrrev_b32_e32 v49, 23, v10
	v_and_b32_e32 v7, 0, v7
	v_and_b32_e32 v6, v56, v6
	v_lshlrev_b64 v[8:9], v8, 1
	v_add3_u32 v29, v29, v14, v49
	v_bfe_u32 v14, v10, 20, 1
	v_add_u32_e32 v14, -1, v14
	v_cmp_eq_u64_e64 s[22:23], v[6:7], v[8:9]
	v_cndmask_b32_e64 v6, 0, v14, s[22:23]
	v_add_u32_e32 v6, v6, v10
	v_and_b32_e32 v6, 0xfffff, v6
	v_add_co_u32_e64 v10, s[22:23], v6, v10
	v_add_u32_e32 v49, 6, v29
	v_addc_co_u32_e64 v11, s[22:23], 0, v11, s[22:23]
	v_cmp_ne_u32_e64 s[22:23], 0, v49
                                        ; implicit-def: $vgpr14
	s_and_saveexec_b64 s[24:25], s[22:23]
	s_xor_b64 s[24:25], exec, s[24:25]
; %bb.1225:                             ;   in Loop: Header=BB2_897 Depth=2
	v_add_u32_e32 v6, 7, v29
	v_cmp_lt_u64_e64 s[22:23], s[48:49], v[10:11]
	v_cndmask_b32_e64 v14, v49, v6, s[22:23]
	v_cndmask_b32_e64 v6, 0, 1, s[22:23]
	v_lshrrev_b64 v[10:11], v6, v[10:11]
; %bb.1226:                             ;   in Loop: Header=BB2_897 Depth=2
	s_andn2_saveexec_b64 s[22:23], s[24:25]
; %bb.1227:                             ;   in Loop: Header=BB2_897 Depth=2
	v_bfe_u32 v14, v10, 23, 1
; %bb.1228:                             ;   in Loop: Header=BB2_897 Depth=2
	s_or_b64 exec, exec, s[22:23]
	v_lshrrev_b64 v[6:7], 20, v[10:11]
	v_cmp_gt_i32_e64 s[22:23], 16, v14
	v_cndmask_b32_e64 v7, 0, v7, s[22:23]
	v_cndmask_b32_e64 v6, 7, v6, s[22:23]
	v_cmp_eq_u64_e64 s[24:25], 0, v[6:7]
	v_min_i32_e32 v7, 15, v14
	v_cmp_eq_u32_e64 s[22:23], 0, v14
	v_lshlrev_b32_e32 v7, 3, v7
	v_and_or_b32 v6, v6, 7, v7
	s_and_b64 s[22:23], s[22:23], s[24:25]
	v_cndmask_b32_e64 v6, v6, 0, s[22:23]
	v_or_b32_e32 v14, v6, v48
.LBB2_1229:                             ;   in Loop: Header=BB2_897 Depth=2
	s_or_b64 exec, exec, s[64:65]
.LBB2_1230:                             ;   in Loop: Header=BB2_897 Depth=2
	s_or_b64 exec, exec, s[62:63]
                                        ; implicit-def: $vgpr10
.LBB2_1231:                             ;   in Loop: Header=BB2_897 Depth=2
	s_andn2_saveexec_b64 s[24:25], s[60:61]
; %bb.1232:                             ;   in Loop: Header=BB2_897 Depth=2
	v_or_b32_sdwa v6, v10, s75 dst_sel:DWORD dst_unused:UNUSED_PAD src0_sel:BYTE_3 src1_sel:DWORD
	v_cmp_eq_u64_e64 s[22:23], 0, v[56:57]
	v_cndmask_b32_e64 v14, v6, v14, s[22:23]
; %bb.1233:                             ;   in Loop: Header=BB2_897 Depth=2
	s_or_b64 exec, exec, s[24:25]
	v_lshrrev_b32_e32 v10, 16, v17
	v_cmp_ne_u16_sdwa s[22:23], v10, v57 src0_sel:BYTE_0 src1_sel:DWORD
	v_mov_b32_e32 v11, 0
	v_mov_b32_e32 v48, 0
	s_and_saveexec_b64 s[24:25], s[22:23]
	s_cbranch_execz .LBB2_1239
; %bb.1234:                             ;   in Loop: Header=BB2_897 Depth=2
	v_cmp_ne_u16_sdwa s[22:23], v10, s74 src0_sel:BYTE_0 src1_sel:DWORD
	v_bfrev_b32_e32 v48, 1
	s_and_saveexec_b64 s[60:61], s[22:23]
	s_cbranch_execz .LBB2_1238
; %bb.1235:                             ;   in Loop: Header=BB2_897 Depth=2
	v_bfe_u32 v29, v17, 16, 7
	v_cmp_ne_u32_e64 s[22:23], s75, v29
	v_mov_b32_e32 v48, 0x7f800001
	s_and_saveexec_b64 s[62:63], s[22:23]
	s_cbranch_execz .LBB2_1237
; %bb.1236:                             ;   in Loop: Header=BB2_897 Depth=2
	v_and_b32_e32 v8, 7, v10
	v_ffbh_u32_e32 v6, v8
	v_min_u32_e32 v48, 32, v6
	v_subrev_u32_e32 v6, 28, v48
	v_lshlrev_b64 v[6:7], v6, v[10:11]
	v_lshrrev_b32_e32 v9, 3, v29
	v_sub_u32_e32 v7, 29, v48
	v_and_b32_e32 v6, 7, v6
	v_cmp_gt_u32_e64 s[22:23], 8, v29
	v_cndmask_b32_e64 v7, v9, v7, s[22:23]
	v_cndmask_b32_e64 v6, v8, v6, s[22:23]
	v_lshlrev_b32_e32 v8, 24, v10
	v_lshlrev_b32_e32 v6, 20, v6
	v_and_b32_e32 v8, 0x80000000, v8
	v_lshl_add_u32 v7, v7, 23, v51
	v_or3_b32 v48, v8, v7, v6
.LBB2_1237:                             ;   in Loop: Header=BB2_897 Depth=2
	s_or_b64 exec, exec, s[62:63]
.LBB2_1238:                             ;   in Loop: Header=BB2_897 Depth=2
	s_or_b64 exec, exec, s[60:61]
.LBB2_1239:                             ;   in Loop: Header=BB2_897 Depth=2
	s_or_b64 exec, exec, s[24:25]
	v_lshrrev_b32_e32 v10, 16, v13
	v_cmp_ne_u16_sdwa s[22:23], v10, v57 src0_sel:BYTE_0 src1_sel:DWORD
	s_and_saveexec_b64 s[24:25], s[22:23]
	s_cbranch_execz .LBB2_1245
; %bb.1240:                             ;   in Loop: Header=BB2_897 Depth=2
	v_cmp_ne_u16_sdwa s[22:23], v10, s74 src0_sel:BYTE_0 src1_sel:DWORD
	v_bfrev_b32_e32 v11, 1
	s_and_saveexec_b64 s[60:61], s[22:23]
	s_cbranch_execz .LBB2_1244
; %bb.1241:                             ;   in Loop: Header=BB2_897 Depth=2
	v_bfe_u32 v29, v13, 16, 7
	v_cmp_ne_u32_e64 s[22:23], s75, v29
	v_mov_b32_e32 v11, 0x7f800001
	s_and_saveexec_b64 s[62:63], s[22:23]
	s_cbranch_execz .LBB2_1243
; %bb.1242:                             ;   in Loop: Header=BB2_897 Depth=2
	v_and_b32_e32 v8, 7, v10
	v_ffbh_u32_e32 v6, v8
	v_min_u32_e32 v11, 32, v6
	v_subrev_u32_e32 v6, 28, v11
	v_lshlrev_b64 v[6:7], v6, v[10:11]
	v_lshrrev_b32_e32 v9, 3, v29
	v_sub_u32_e32 v7, 29, v11
	v_and_b32_e32 v6, 7, v6
	v_cmp_gt_u32_e64 s[22:23], 8, v29
	v_cndmask_b32_e64 v7, v9, v7, s[22:23]
	v_cndmask_b32_e64 v6, v8, v6, s[22:23]
	v_lshlrev_b32_e32 v8, 8, v13
	v_lshlrev_b32_e32 v6, 20, v6
	v_and_b32_e32 v8, 0x80000000, v8
	v_lshl_add_u32 v7, v7, 23, v51
	v_or3_b32 v11, v8, v7, v6
.LBB2_1243:                             ;   in Loop: Header=BB2_897 Depth=2
	s_or_b64 exec, exec, s[62:63]
.LBB2_1244:                             ;   in Loop: Header=BB2_897 Depth=2
	s_or_b64 exec, exec, s[60:61]
.LBB2_1245:                             ;   in Loop: Header=BB2_897 Depth=2
	s_or_b64 exec, exec, s[24:25]
	v_add_f32_e32 v10, v48, v11
	v_and_b32_sdwa v49, v10, s74 dst_sel:DWORD dst_unused:UNUSED_PAD src0_sel:BYTE_3 src1_sel:DWORD
	v_and_b32_e32 v6, 0x7f800000, v10
	v_mov_b32_e32 v7, v57
	v_and_b32_e32 v56, 0x7fffff, v10
	v_or_b32_e32 v48, 0x7e, v49
	v_cmp_ne_u64_e64 s[22:23], s[42:43], v[6:7]
	s_and_saveexec_b64 s[24:25], s[22:23]
	s_xor_b64 s[60:61], exec, s[24:25]
	s_cbranch_execz .LBB2_1255
; %bb.1246:                             ;   in Loop: Header=BB2_897 Depth=2
	v_and_b32_e32 v6, 0x7fffffff, v10
	v_mov_b32_e32 v7, v57
	v_cmp_gt_u64_e64 s[22:23], s[44:45], v[6:7]
	s_and_saveexec_b64 s[62:63], s[22:23]
	s_cbranch_execz .LBB2_1254
; %bb.1247:                             ;   in Loop: Header=BB2_897 Depth=2
	v_cmp_ne_u32_e64 s[22:23], 0, v10
	v_mov_b32_e32 v48, 0
	s_and_saveexec_b64 s[64:65], s[22:23]
	s_cbranch_execz .LBB2_1253
; %bb.1248:                             ;   in Loop: Header=BB2_897 Depth=2
	v_bfe_u32 v6, v10, 23, 8
	v_sub_u32_e32 v8, 0x79, v6
	v_cmp_gt_u32_e64 s[22:23], s76, v6
	v_add_u32_e32 v7, 0xffffff81, v6
	v_cndmask_b32_e64 v8, 0, v8, s[22:23]
	v_cmp_eq_u32_e64 s[22:23], 0, v6
	v_mov_b32_e32 v6, 0xffffff82
	v_cndmask_b32_e64 v29, v7, v6, s[22:23]
	v_mov_b32_e32 v6, 0x78
	v_or_b32_e32 v9, 0x800000, v56
	v_cndmask_b32_e64 v48, v8, v6, s[22:23]
	v_cndmask_b32_e64 v56, v9, v56, s[22:23]
	v_add_u32_e32 v6, 20, v48
	v_lshlrev_b64 v[6:7], v6, -1
	v_lshrrev_b64 v[10:11], v48, v[56:57]
	v_not_b32_e32 v7, v7
	v_not_b32_e32 v6, v6
	v_add_u32_e32 v8, 19, v48
	v_lshrrev_b32_e32 v53, 23, v10
	v_and_b32_e32 v7, 0, v7
	v_and_b32_e32 v6, v56, v6
	v_lshlrev_b64 v[8:9], v8, 1
	v_add3_u32 v29, v48, v29, v53
	v_bfe_u32 v48, v10, 20, 1
	v_add_u32_e32 v48, -1, v48
	v_cmp_eq_u64_e64 s[22:23], v[6:7], v[8:9]
	v_cndmask_b32_e64 v6, 0, v48, s[22:23]
	v_add_u32_e32 v6, v6, v10
	v_and_b32_e32 v6, 0xfffff, v6
	v_add_co_u32_e64 v10, s[22:23], v6, v10
	v_add_u32_e32 v53, 6, v29
	v_addc_co_u32_e64 v11, s[22:23], 0, v11, s[22:23]
	v_cmp_ne_u32_e64 s[22:23], 0, v53
                                        ; implicit-def: $vgpr48
	s_and_saveexec_b64 s[24:25], s[22:23]
	s_xor_b64 s[24:25], exec, s[24:25]
; %bb.1249:                             ;   in Loop: Header=BB2_897 Depth=2
	v_add_u32_e32 v6, 7, v29
	v_cmp_lt_u64_e64 s[22:23], s[48:49], v[10:11]
	v_cndmask_b32_e64 v48, v53, v6, s[22:23]
	v_cndmask_b32_e64 v6, 0, 1, s[22:23]
	v_lshrrev_b64 v[10:11], v6, v[10:11]
; %bb.1250:                             ;   in Loop: Header=BB2_897 Depth=2
	s_andn2_saveexec_b64 s[22:23], s[24:25]
; %bb.1251:                             ;   in Loop: Header=BB2_897 Depth=2
	v_bfe_u32 v48, v10, 23, 1
; %bb.1252:                             ;   in Loop: Header=BB2_897 Depth=2
	s_or_b64 exec, exec, s[22:23]
	v_lshrrev_b64 v[6:7], 20, v[10:11]
	v_cmp_gt_i32_e64 s[22:23], 16, v48
	v_cndmask_b32_e64 v7, 0, v7, s[22:23]
	v_cndmask_b32_e64 v6, 7, v6, s[22:23]
	v_cmp_eq_u64_e64 s[24:25], 0, v[6:7]
	v_min_i32_e32 v7, 15, v48
	v_lshlrev_b32_e32 v7, 3, v7
	v_cmp_eq_u32_e64 s[22:23], 0, v48
	v_and_b32_e32 v7, 0xf8, v7
	v_and_or_b32 v6, v6, 7, v7
	s_and_b64 s[22:23], s[22:23], s[24:25]
	v_cndmask_b32_e64 v6, v6, 0, s[22:23]
	v_or_b32_e32 v48, v6, v49
.LBB2_1253:                             ;   in Loop: Header=BB2_897 Depth=2
	s_or_b64 exec, exec, s[64:65]
.LBB2_1254:                             ;   in Loop: Header=BB2_897 Depth=2
	s_or_b64 exec, exec, s[62:63]
                                        ; implicit-def: $vgpr10
.LBB2_1255:                             ;   in Loop: Header=BB2_897 Depth=2
	s_andn2_saveexec_b64 s[24:25], s[60:61]
; %bb.1256:                             ;   in Loop: Header=BB2_897 Depth=2
	v_or_b32_sdwa v6, v10, s75 dst_sel:DWORD dst_unused:UNUSED_PAD src0_sel:BYTE_3 src1_sel:DWORD
	v_cmp_eq_u64_e64 s[22:23], 0, v[56:57]
	v_cndmask_b32_e64 v48, v6, v48, s[22:23]
; %bb.1257:                             ;   in Loop: Header=BB2_897 Depth=2
	s_or_b64 exec, exec, s[24:25]
	v_cmp_lt_u64_e64 s[22:23], s[46:47], v[16:17]
	v_mov_b32_e32 v11, 0
	v_mov_b32_e32 v16, 0
	s_and_saveexec_b64 s[24:25], s[22:23]
	s_cbranch_execz .LBB2_1263
; %bb.1258:                             ;   in Loop: Header=BB2_897 Depth=2
	v_lshrrev_b32_e32 v10, 24, v17
	v_cmp_ne_u32_e64 s[22:23], s74, v10
	v_bfrev_b32_e32 v16, 1
	s_and_saveexec_b64 s[60:61], s[22:23]
	s_cbranch_execz .LBB2_1262
; %bb.1259:                             ;   in Loop: Header=BB2_897 Depth=2
	v_bfe_u32 v17, v17, 24, 7
	v_cmp_ne_u32_e64 s[22:23], s75, v17
	v_mov_b32_e32 v16, 0x7f800001
	s_and_saveexec_b64 s[62:63], s[22:23]
	s_cbranch_execz .LBB2_1261
; %bb.1260:                             ;   in Loop: Header=BB2_897 Depth=2
	v_and_b32_e32 v8, 7, v10
	v_ffbh_u32_e32 v6, v8
	v_min_u32_e32 v16, 32, v6
	v_subrev_u32_e32 v6, 28, v16
	v_lshlrev_b64 v[6:7], v6, v[10:11]
	v_lshrrev_b32_e32 v9, 3, v17
	v_sub_u32_e32 v7, 29, v16
	v_and_b32_e32 v6, 7, v6
	v_cmp_gt_u32_e64 s[22:23], 8, v17
	v_cndmask_b32_e64 v7, v9, v7, s[22:23]
	v_cndmask_b32_e64 v6, v8, v6, s[22:23]
	v_lshlrev_b32_e32 v8, 24, v10
	v_lshlrev_b32_e32 v6, 20, v6
	v_and_b32_e32 v8, 0x80000000, v8
	v_lshl_add_u32 v7, v7, 23, v51
	v_or3_b32 v16, v8, v7, v6
.LBB2_1261:                             ;   in Loop: Header=BB2_897 Depth=2
	s_or_b64 exec, exec, s[62:63]
.LBB2_1262:                             ;   in Loop: Header=BB2_897 Depth=2
	s_or_b64 exec, exec, s[60:61]
.LBB2_1263:                             ;   in Loop: Header=BB2_897 Depth=2
	s_or_b64 exec, exec, s[24:25]
	v_cmp_lt_u64_e64 s[22:23], s[46:47], v[12:13]
	s_and_saveexec_b64 s[24:25], s[22:23]
	s_cbranch_execz .LBB2_1269
; %bb.1264:                             ;   in Loop: Header=BB2_897 Depth=2
	v_lshrrev_b32_e32 v10, 24, v13
	v_cmp_ne_u32_e64 s[22:23], s74, v10
	v_bfrev_b32_e32 v11, 1
	s_and_saveexec_b64 s[60:61], s[22:23]
	s_cbranch_execz .LBB2_1268
; %bb.1265:                             ;   in Loop: Header=BB2_897 Depth=2
	v_bfe_u32 v12, v13, 24, 7
	v_cmp_ne_u32_e64 s[22:23], s75, v12
	v_mov_b32_e32 v11, 0x7f800001
	s_and_saveexec_b64 s[62:63], s[22:23]
	s_cbranch_execz .LBB2_1267
; %bb.1266:                             ;   in Loop: Header=BB2_897 Depth=2
	v_and_b32_e32 v8, 7, v10
	v_ffbh_u32_e32 v6, v8
	v_min_u32_e32 v11, 32, v6
	v_subrev_u32_e32 v6, 28, v11
	v_lshlrev_b64 v[6:7], v6, v[10:11]
	v_lshrrev_b32_e32 v9, 3, v12
	v_sub_u32_e32 v7, 29, v11
	v_and_b32_e32 v6, 7, v6
	v_cmp_gt_u32_e64 s[22:23], 8, v12
	v_cndmask_b32_e64 v7, v9, v7, s[22:23]
	v_cndmask_b32_e64 v6, v8, v6, s[22:23]
	v_lshlrev_b32_e32 v8, 24, v10
	v_lshlrev_b32_e32 v6, 20, v6
	v_and_b32_e32 v8, 0x80000000, v8
	v_lshl_add_u32 v7, v7, 23, v51
	v_or3_b32 v11, v8, v7, v6
.LBB2_1267:                             ;   in Loop: Header=BB2_897 Depth=2
	s_or_b64 exec, exec, s[62:63]
.LBB2_1268:                             ;   in Loop: Header=BB2_897 Depth=2
	s_or_b64 exec, exec, s[60:61]
.LBB2_1269:                             ;   in Loop: Header=BB2_897 Depth=2
	s_or_b64 exec, exec, s[24:25]
	v_add_f32_e32 v11, v16, v11
	v_and_b32_sdwa v12, v11, s74 dst_sel:DWORD dst_unused:UNUSED_PAD src0_sel:BYTE_3 src1_sel:DWORD
	v_and_b32_e32 v6, 0x7f800000, v11
	v_mov_b32_e32 v7, v57
	v_and_b32_e32 v56, 0x7fffff, v11
	v_or_b32_e32 v10, 0x7e, v12
	v_cmp_ne_u64_e64 s[22:23], s[42:43], v[6:7]
	s_and_saveexec_b64 s[24:25], s[22:23]
	s_xor_b64 s[60:61], exec, s[24:25]
	s_cbranch_execz .LBB2_1279
; %bb.1270:                             ;   in Loop: Header=BB2_897 Depth=2
	v_and_b32_e32 v6, 0x7fffffff, v11
	v_mov_b32_e32 v7, v57
	v_cmp_gt_u64_e64 s[22:23], s[44:45], v[6:7]
	s_and_saveexec_b64 s[62:63], s[22:23]
	s_cbranch_execz .LBB2_1278
; %bb.1271:                             ;   in Loop: Header=BB2_897 Depth=2
	v_cmp_ne_u32_e64 s[22:23], 0, v11
	v_mov_b32_e32 v10, 0
	s_and_saveexec_b64 s[64:65], s[22:23]
	s_cbranch_execz .LBB2_1277
; %bb.1272:                             ;   in Loop: Header=BB2_897 Depth=2
	v_bfe_u32 v6, v11, 23, 8
	v_sub_u32_e32 v8, 0x79, v6
	v_cmp_gt_u32_e64 s[22:23], s76, v6
	v_add_u32_e32 v7, 0xffffff81, v6
	v_cndmask_b32_e64 v8, 0, v8, s[22:23]
	v_cmp_eq_u32_e64 s[22:23], 0, v6
	v_mov_b32_e32 v6, 0xffffff82
	v_cndmask_b32_e64 v13, v7, v6, s[22:23]
	v_mov_b32_e32 v6, 0x78
	v_or_b32_e32 v9, 0x800000, v56
	v_cndmask_b32_e64 v16, v8, v6, s[22:23]
	v_cndmask_b32_e64 v56, v9, v56, s[22:23]
	v_add_u32_e32 v6, 20, v16
	v_lshlrev_b64 v[6:7], v6, -1
	v_lshrrev_b64 v[10:11], v16, v[56:57]
	v_not_b32_e32 v7, v7
	v_not_b32_e32 v6, v6
	v_add_u32_e32 v8, 19, v16
	v_lshrrev_b32_e32 v17, 23, v10
	v_and_b32_e32 v7, 0, v7
	v_and_b32_e32 v6, v56, v6
	v_lshlrev_b64 v[8:9], v8, 1
	v_add3_u32 v17, v16, v13, v17
	v_bfe_u32 v13, v10, 20, 1
	v_add_u32_e32 v13, -1, v13
	v_cmp_eq_u64_e64 s[22:23], v[6:7], v[8:9]
	v_cndmask_b32_e64 v6, 0, v13, s[22:23]
	v_add_u32_e32 v6, v6, v10
	v_and_b32_e32 v6, 0xfffff, v6
	v_add_co_u32_e64 v10, s[22:23], v6, v10
	v_add_u32_e32 v16, 6, v17
	v_addc_co_u32_e64 v11, s[22:23], 0, v11, s[22:23]
	v_cmp_ne_u32_e64 s[22:23], 0, v16
                                        ; implicit-def: $vgpr13
	s_and_saveexec_b64 s[24:25], s[22:23]
	s_xor_b64 s[24:25], exec, s[24:25]
; %bb.1273:                             ;   in Loop: Header=BB2_897 Depth=2
	v_add_u32_e32 v6, 7, v17
	v_cmp_lt_u64_e64 s[22:23], s[48:49], v[10:11]
	v_cndmask_b32_e64 v13, v16, v6, s[22:23]
	v_cndmask_b32_e64 v6, 0, 1, s[22:23]
	v_lshrrev_b64 v[10:11], v6, v[10:11]
; %bb.1274:                             ;   in Loop: Header=BB2_897 Depth=2
	s_andn2_saveexec_b64 s[22:23], s[24:25]
; %bb.1275:                             ;   in Loop: Header=BB2_897 Depth=2
	v_bfe_u32 v13, v10, 23, 1
; %bb.1276:                             ;   in Loop: Header=BB2_897 Depth=2
	s_or_b64 exec, exec, s[22:23]
	v_lshrrev_b64 v[6:7], 20, v[10:11]
	v_cmp_gt_i32_e64 s[22:23], 16, v13
	v_cndmask_b32_e64 v7, 0, v7, s[22:23]
	v_cndmask_b32_e64 v6, 7, v6, s[22:23]
	v_cmp_eq_u64_e64 s[24:25], 0, v[6:7]
	v_min_i32_e32 v7, 15, v13
	v_lshlrev_b32_e32 v7, 3, v7
	v_cmp_eq_u32_e64 s[22:23], 0, v13
	v_and_b32_e32 v7, 0xf8, v7
	v_and_or_b32 v6, v6, 7, v7
	s_and_b64 s[22:23], s[22:23], s[24:25]
	v_cndmask_b32_e64 v6, v6, 0, s[22:23]
	v_or_b32_e32 v10, v6, v12
.LBB2_1277:                             ;   in Loop: Header=BB2_897 Depth=2
	s_or_b64 exec, exec, s[64:65]
.LBB2_1278:                             ;   in Loop: Header=BB2_897 Depth=2
	s_or_b64 exec, exec, s[62:63]
                                        ; implicit-def: $vgpr11
.LBB2_1279:                             ;   in Loop: Header=BB2_897 Depth=2
	s_andn2_saveexec_b64 s[24:25], s[60:61]
	s_cbranch_execz .LBB2_896
; %bb.1280:                             ;   in Loop: Header=BB2_897 Depth=2
	v_or_b32_sdwa v6, v11, s75 dst_sel:DWORD dst_unused:UNUSED_PAD src0_sel:BYTE_3 src1_sel:DWORD
	v_cmp_eq_u64_e64 s[22:23], 0, v[56:57]
	v_cndmask_b32_e64 v10, v6, v10, s[22:23]
	s_branch .LBB2_896
.LBB2_1281:                             ;   in Loop: Header=BB2_49 Depth=1
	s_or_b64 exec, exec, s[58:59]
.LBB2_1282:                             ;   in Loop: Header=BB2_49 Depth=1
	s_or_b64 exec, exec, s[56:57]
	v_accvgpr_read_b32 v2, a37
	v_and_b32_e32 v5, 15, v2
	v_cndmask_b32_e32 v18, v3, v5, vcc
	v_cmp_ne_u32_e64 s[22:23], 0, v18
	s_mov_b64 s[24:25], 0
	v_mov_b32_e32 v2, 0
                                        ; implicit-def: $vgpr19
                                        ; implicit-def: $vgpr4
	s_and_saveexec_b64 s[56:57], s[22:23]
	s_cbranch_execz .LBB2_1284
; %bb.1283:                             ;   in Loop: Header=BB2_49 Depth=1
	v_accvgpr_read_b32 v2, a37
	v_sub_u32_e32 v3, v3, v5
	v_and_b32_e32 v2, 0x3ffffc00, v2
	v_cndmask_b32_e32 v3, 0, v3, vcc
	v_cmp_lt_i32_e32 vcc, 0, v1
	v_add_u32_e32 v2, v3, v2
	v_cndmask_b32_e32 v3, 0, v40, vcc
	v_sub_u32_e32 v1, v3, v1
	v_lshl_add_u32 v19, v1, 6, v0
	v_ashrrev_i32_e32 v0, 31, v19
	v_lshrrev_b32_e32 v0, 26, v0
	v_add_u32_e32 v0, v19, v0
	s_mov_b64 s[24:25], exec
	v_ashrrev_i32_e32 v4, 6, v0
.LBB2_1284:                             ;   in Loop: Header=BB2_49 Depth=1
	s_or_b64 exec, exec, s[56:57]
	s_and_b64 s[22:23], s[24:25], exec
	v_accvgpr_read_b32 v30, a26
	v_accvgpr_read_b32 v48, a34
	v_mov_b32_e32 v53, 1
	v_accvgpr_read_b32 v55, a37
.LBB2_1285:                             ;   in Loop: Header=BB2_49 Depth=1
	s_or_b64 exec, exec, s[54:55]
	v_accvgpr_read_b32 v29, a17
	v_accvgpr_read_b32 v28, a24
	;; [unrolled: 1-line block ×9, first 2 shown]
	s_and_saveexec_b64 s[24:25], s[22:23]
	s_cbranch_execz .LBB2_1434
.LBB2_1286:                             ;   in Loop: Header=BB2_49 Depth=1
	v_ashrrev_i32_e32 v0, 31, v18
	v_add_u32_sdwa v0, v18, v0 dst_sel:DWORD dst_unused:UNUSED_PAD src0_sel:DWORD src1_sel:BYTE_3
	v_ashrrev_i32_e32 v3, 8, v0
	v_sub_u32_e32 v0, v3, v4
	v_ashrrev_i32_e32 v1, 31, v19
	v_cmp_lt_i32_e32 vcc, 0, v0
	v_lshrrev_b32_e32 v1, 26, v1
	s_and_saveexec_b64 s[54:55], vcc
	s_cbranch_execz .LBB2_1402
; %bb.1287:                             ;   in Loop: Header=BB2_49 Depth=1
	v_add_u32_e32 v5, v19, v1
	v_and_b32_e32 v5, 0xffffffc0, v5
	s_trap 2
	v_sub_u32_e32 v8, v19, v5
	v_lshlrev_b32_e32 v9, 8, v4
	ds_read_b128 v[4:7], v0
	v_add3_u32 v14, v2, v8, v9
	ds_read_b64 v[8:9], v0
	v_ashrrev_i32_e32 v15, 31, v14
	s_mov_b64 s[56:57], 0
	s_waitcnt lgkmcnt(0)
	v_add_co_u32_e32 v10, vcc, v4, v14
	v_addc_co_u32_e32 v11, vcc, v5, v15, vcc
	v_add_co_u32_e32 v12, vcc, v6, v14
	v_addc_co_u32_e32 v13, vcc, v7, v15, vcc
	;; [unrolled: 2-line block ×3, first 2 shown]
	s_branch .LBB2_1289
.LBB2_1288:                             ;   in Loop: Header=BB2_1289 Depth=2
	s_or_b64 exec, exec, s[22:23]
	v_add_co_u32_e32 v10, vcc, v10, v48
	v_addc_co_u32_e32 v11, vcc, v11, v50, vcc
	v_add_co_u32_e32 v12, vcc, v12, v48
	v_addc_co_u32_e32 v13, vcc, v13, v50, vcc
	v_sub_u32_e32 v0, v0, v28
	v_cmp_gt_i32_e32 vcc, 1, v0
	flat_store_byte v[14:15], v4 glc slc
	flat_store_byte v[14:15], v21 offset:64 glc slc
	flat_store_byte v[14:15], v22 offset:128 glc slc
	;; [unrolled: 1-line block ×3, first 2 shown]
	s_or_b64 s[56:57], vcc, s[56:57]
	v_add_co_u32_e32 v14, vcc, v14, v48
	v_addc_co_u32_e32 v15, vcc, v15, v50, vcc
	s_andn2_b64 exec, exec, s[56:57]
	s_cbranch_execz .LBB2_1401
.LBB2_1289:                             ;   Parent Loop BB2_49 Depth=1
                                        ; =>  This Inner Loop Header: Depth=2
	flat_load_ubyte v26, v[10:11] glc slc
	flat_load_ubyte v24, v[10:11] offset:64 glc slc
	flat_load_ubyte v23, v[10:11] offset:128 glc slc
	;; [unrolled: 1-line block ×3, first 2 shown]
	flat_load_ubyte v4, v[12:13] glc slc
	flat_load_ubyte v21, v[12:13] offset:64 glc slc
	flat_load_ubyte v22, v[12:13] offset:128 glc slc
	;; [unrolled: 1-line block ×3, first 2 shown]
	v_mov_b32_e32 v17, 0
	v_mov_b32_e32 v25, 0
	s_waitcnt vmcnt(0) lgkmcnt(0)
	v_cmp_ne_u16_e32 vcc, 0, v26
	s_and_saveexec_b64 s[22:23], vcc
	s_cbranch_execz .LBB2_1295
; %bb.1290:                             ;   in Loop: Header=BB2_1289 Depth=2
	v_cmp_ne_u16_e32 vcc, s74, v26
	v_bfrev_b32_e32 v25, 1
	s_and_saveexec_b64 s[58:59], vcc
	s_cbranch_execz .LBB2_1294
; %bb.1291:                             ;   in Loop: Header=BB2_1289 Depth=2
	v_and_b32_e32 v16, 0xffff, v26
	v_and_b32_e32 v27, 0x7f, v16
	v_cmp_ne_u32_e32 vcc, s75, v27
	v_mov_b32_e32 v25, 0x7f800001
	s_and_saveexec_b64 s[60:61], vcc
	s_cbranch_execz .LBB2_1293
; %bb.1292:                             ;   in Loop: Header=BB2_1289 Depth=2
	v_and_b32_e32 v8, 7, v16
	v_ffbh_u32_e32 v6, v8
	v_min_u32_e32 v25, 32, v6
	v_subrev_u32_e32 v6, 28, v25
	v_lshlrev_b64 v[6:7], v6, v[16:17]
	v_lshrrev_b32_e32 v9, 3, v27
	v_sub_u32_e32 v7, 29, v25
	v_and_b32_e32 v6, 7, v6
	v_cmp_gt_u32_e32 vcc, 8, v27
	v_cndmask_b32_e32 v7, v9, v7, vcc
	v_cndmask_b32_e32 v6, v8, v6, vcc
	v_lshlrev_b32_e32 v8, 24, v26
	v_lshlrev_b32_e32 v6, 20, v6
	v_and_b32_e32 v8, 0x80000000, v8
	v_lshl_add_u32 v7, v7, 23, v51
	v_or3_b32 v25, v8, v7, v6
.LBB2_1293:                             ;   in Loop: Header=BB2_1289 Depth=2
	s_or_b64 exec, exec, s[60:61]
.LBB2_1294:                             ;   in Loop: Header=BB2_1289 Depth=2
	s_or_b64 exec, exec, s[58:59]
.LBB2_1295:                             ;   in Loop: Header=BB2_1289 Depth=2
	s_or_b64 exec, exec, s[22:23]
	v_and_b32_e32 v16, 0xff, v4
	v_cmp_ne_u16_e32 vcc, 0, v16
	s_and_saveexec_b64 s[22:23], vcc
	s_cbranch_execz .LBB2_1301
; %bb.1296:                             ;   in Loop: Header=BB2_1289 Depth=2
	v_cmp_ne_u16_e32 vcc, s74, v16
	v_bfrev_b32_e32 v17, 1
	s_and_saveexec_b64 s[58:59], vcc
	s_cbranch_execz .LBB2_1300
; %bb.1297:                             ;   in Loop: Header=BB2_1289 Depth=2
	v_and_b32_e32 v26, 0x7f, v4
	v_cmp_ne_u32_e32 vcc, s75, v26
	v_mov_b32_e32 v17, 0x7f800001
	s_and_saveexec_b64 s[60:61], vcc
	s_cbranch_execz .LBB2_1299
; %bb.1298:                             ;   in Loop: Header=BB2_1289 Depth=2
	v_and_b32_e32 v8, 7, v16
	v_ffbh_u32_e32 v6, v8
	v_min_u32_e32 v17, 32, v6
	v_subrev_u32_e32 v6, 28, v17
	v_lshlrev_b64 v[6:7], v6, v[16:17]
	v_lshrrev_b32_e32 v9, 3, v26
	v_sub_u32_e32 v7, 29, v17
	v_and_b32_e32 v6, 7, v6
	v_cmp_gt_u32_e32 vcc, 8, v26
	v_cndmask_b32_e32 v7, v9, v7, vcc
	v_cndmask_b32_e32 v6, v8, v6, vcc
	v_lshlrev_b32_e32 v4, 24, v4
	v_lshlrev_b32_e32 v6, 20, v6
	v_and_b32_e32 v4, 0x80000000, v4
	v_lshl_add_u32 v7, v7, 23, v51
	v_or3_b32 v17, v4, v7, v6
.LBB2_1299:                             ;   in Loop: Header=BB2_1289 Depth=2
	s_or_b64 exec, exec, s[60:61]
.LBB2_1300:                             ;   in Loop: Header=BB2_1289 Depth=2
	s_or_b64 exec, exec, s[58:59]
.LBB2_1301:                             ;   in Loop: Header=BB2_1289 Depth=2
	s_or_b64 exec, exec, s[22:23]
	v_add_f32_e32 v16, v25, v17
	v_and_b32_sdwa v25, v16, s74 dst_sel:DWORD dst_unused:UNUSED_PAD src0_sel:BYTE_3 src1_sel:DWORD
	v_and_b32_e32 v6, 0x7f800000, v16
	v_mov_b32_e32 v7, v57
	v_and_b32_e32 v56, 0x7fffff, v16
	v_or_b32_e32 v4, 0x7e, v25
	v_cmp_ne_u64_e32 vcc, s[42:43], v[6:7]
	s_and_saveexec_b64 s[22:23], vcc
	s_xor_b64 s[58:59], exec, s[22:23]
	s_cbranch_execz .LBB2_1315
; %bb.1302:                             ;   in Loop: Header=BB2_1289 Depth=2
	v_and_b32_e32 v6, 0x7fffffff, v16
	v_mov_b32_e32 v7, v57
	v_cmp_gt_u64_e32 vcc, s[44:45], v[6:7]
	s_and_saveexec_b64 s[22:23], vcc
	s_xor_b64 s[60:61], exec, s[22:23]
	s_cbranch_execz .LBB2_1314
; %bb.1303:                             ;   in Loop: Header=BB2_1289 Depth=2
	v_cmp_ne_u32_e32 vcc, 0, v16
	v_mov_b32_e32 v4, 0
	s_and_saveexec_b64 s[62:63], vcc
	s_cbranch_execz .LBB2_1313
; %bb.1304:                             ;   in Loop: Header=BB2_1289 Depth=2
	v_bfe_u32 v4, v16, 23, 8
	v_sub_u32_e32 v7, 0x79, v4
	v_cmp_gt_u32_e32 vcc, s76, v4
	v_add_u32_e32 v6, 0xffffff81, v4
	v_cndmask_b32_e32 v7, 0, v7, vcc
	v_cmp_eq_u32_e32 vcc, 0, v4
	v_mov_b32_e32 v4, 0xffffff82
	v_cndmask_b32_e32 v4, v6, v4, vcc
	v_mov_b32_e32 v6, 0x78
	v_or_b32_e32 v8, 0x800000, v56
	v_cndmask_b32_e32 v26, v7, v6, vcc
	v_cndmask_b32_e32 v56, v8, v56, vcc
	v_add_u32_e32 v6, 20, v26
	v_lshlrev_b64 v[6:7], v6, -1
	v_lshrrev_b64 v[16:17], v26, v[56:57]
	v_not_b32_e32 v7, v7
	v_not_b32_e32 v6, v6
	v_add_u32_e32 v8, 19, v26
	v_lshrrev_b32_e32 v27, 23, v16
	v_and_b32_e32 v7, 0, v7
	v_and_b32_e32 v6, v56, v6
	v_lshlrev_b64 v[8:9], v8, 1
	v_add3_u32 v27, v26, v4, v27
	v_bfe_u32 v26, v16, 20, 1
	v_add_u32_e32 v26, -1, v26
	v_cmp_eq_u64_e32 vcc, v[6:7], v[8:9]
	v_cndmask_b32_e32 v6, 0, v26, vcc
	v_add_u32_e32 v6, v6, v16
	v_and_b32_e32 v6, 0xfffff, v6
	v_add_co_u32_e32 v16, vcc, v6, v16
	v_add_u32_e32 v4, 6, v27
	v_addc_co_u32_e32 v17, vcc, 0, v17, vcc
	v_cmp_ne_u32_e32 vcc, 0, v4
                                        ; implicit-def: $vgpr26
	s_and_saveexec_b64 s[22:23], vcc
	s_xor_b64 s[22:23], exec, s[22:23]
; %bb.1305:                             ;   in Loop: Header=BB2_1289 Depth=2
	v_add_u32_e32 v6, 7, v27
	v_cmp_lt_u64_e32 vcc, s[48:49], v[16:17]
	v_cndmask_b32_e32 v26, v4, v6, vcc
	v_cndmask_b32_e64 v4, 0, 1, vcc
	v_lshrrev_b64 v[16:17], v4, v[16:17]
; %bb.1306:                             ;   in Loop: Header=BB2_1289 Depth=2
	s_andn2_saveexec_b64 s[22:23], s[22:23]
; %bb.1307:                             ;   in Loop: Header=BB2_1289 Depth=2
	v_bfe_u32 v26, v16, 23, 1
; %bb.1308:                             ;   in Loop: Header=BB2_1289 Depth=2
	s_or_b64 exec, exec, s[22:23]
	v_lshrrev_b64 v[6:7], 20, v[16:17]
	v_cmp_gt_i32_e32 vcc, 16, v26
	v_cndmask_b32_e32 v17, 0, v7, vcc
	v_cndmask_b32_e32 v16, 7, v6, vcc
	v_cmp_ne_u32_e32 vcc, 0, v26
	v_cmp_ne_u64_e64 s[22:23], 0, v[16:17]
	s_or_b64 s[22:23], vcc, s[22:23]
                                        ; implicit-def: $vgpr4
	s_and_saveexec_b64 vcc, s[22:23]
	s_xor_b64 s[22:23], exec, vcc
; %bb.1309:                             ;   in Loop: Header=BB2_1289 Depth=2
	v_min_i32_e32 v4, 15, v26
	v_lshl_or_b32 v4, v4, 3, v25
	v_and_or_b32 v4, v16, 7, v4
                                        ; implicit-def: $vgpr25
; %bb.1310:                             ;   in Loop: Header=BB2_1289 Depth=2
	s_andn2_saveexec_b64 s[22:23], s[22:23]
; %bb.1311:                             ;   in Loop: Header=BB2_1289 Depth=2
	v_mov_b32_e32 v4, v25
; %bb.1312:                             ;   in Loop: Header=BB2_1289 Depth=2
	s_or_b64 exec, exec, s[22:23]
.LBB2_1313:                             ;   in Loop: Header=BB2_1289 Depth=2
	s_or_b64 exec, exec, s[62:63]
.LBB2_1314:                             ;   in Loop: Header=BB2_1289 Depth=2
	s_andn2_saveexec_b64 s[22:23], s[60:61]
	s_or_b64 exec, exec, s[22:23]
                                        ; implicit-def: $vgpr16
.LBB2_1315:                             ;   in Loop: Header=BB2_1289 Depth=2
	s_andn2_saveexec_b64 s[22:23], s[58:59]
; %bb.1316:                             ;   in Loop: Header=BB2_1289 Depth=2
	v_or_b32_sdwa v6, v16, s75 dst_sel:DWORD dst_unused:UNUSED_PAD src0_sel:BYTE_3 src1_sel:DWORD
	v_cmp_eq_u64_e32 vcc, 0, v[56:57]
	v_cndmask_b32_e32 v4, v6, v4, vcc
; %bb.1317:                             ;   in Loop: Header=BB2_1289 Depth=2
	s_or_b64 exec, exec, s[22:23]
	v_and_b32_e32 v16, 0xff, v24
	v_cmp_ne_u16_e32 vcc, 0, v16
	v_mov_b32_e32 v17, 0
	v_mov_b32_e32 v25, 0
	s_and_saveexec_b64 s[22:23], vcc
	s_cbranch_execz .LBB2_1323
; %bb.1318:                             ;   in Loop: Header=BB2_1289 Depth=2
	v_cmp_ne_u16_e32 vcc, s74, v16
	v_bfrev_b32_e32 v25, 1
	s_and_saveexec_b64 s[58:59], vcc
	s_cbranch_execz .LBB2_1322
; %bb.1319:                             ;   in Loop: Header=BB2_1289 Depth=2
	v_and_b32_e32 v26, 0x7f, v24
	v_cmp_ne_u32_e32 vcc, s75, v26
	v_mov_b32_e32 v25, 0x7f800001
	s_and_saveexec_b64 s[60:61], vcc
	s_cbranch_execz .LBB2_1321
; %bb.1320:                             ;   in Loop: Header=BB2_1289 Depth=2
	v_and_b32_e32 v8, 7, v16
	v_ffbh_u32_e32 v6, v8
	v_min_u32_e32 v25, 32, v6
	v_subrev_u32_e32 v6, 28, v25
	v_lshlrev_b64 v[6:7], v6, v[16:17]
	v_lshrrev_b32_e32 v9, 3, v26
	v_sub_u32_e32 v7, 29, v25
	v_and_b32_e32 v6, 7, v6
	v_cmp_gt_u32_e32 vcc, 8, v26
	v_cndmask_b32_e32 v7, v9, v7, vcc
	v_cndmask_b32_e32 v6, v8, v6, vcc
	v_lshlrev_b32_e32 v8, 24, v24
	v_lshlrev_b32_e32 v6, 20, v6
	v_and_b32_e32 v8, 0x80000000, v8
	v_lshl_add_u32 v7, v7, 23, v51
	v_or3_b32 v25, v8, v7, v6
.LBB2_1321:                             ;   in Loop: Header=BB2_1289 Depth=2
	s_or_b64 exec, exec, s[60:61]
.LBB2_1322:                             ;   in Loop: Header=BB2_1289 Depth=2
	s_or_b64 exec, exec, s[58:59]
.LBB2_1323:                             ;   in Loop: Header=BB2_1289 Depth=2
	s_or_b64 exec, exec, s[22:23]
	v_and_b32_e32 v16, 0xff, v21
	v_cmp_ne_u16_e32 vcc, 0, v16
	s_and_saveexec_b64 s[22:23], vcc
	s_cbranch_execz .LBB2_1329
; %bb.1324:                             ;   in Loop: Header=BB2_1289 Depth=2
	v_cmp_ne_u16_e32 vcc, s74, v16
	v_bfrev_b32_e32 v17, 1
	s_and_saveexec_b64 s[58:59], vcc
	s_cbranch_execz .LBB2_1328
; %bb.1325:                             ;   in Loop: Header=BB2_1289 Depth=2
	v_and_b32_e32 v24, 0x7f, v21
	v_cmp_ne_u32_e32 vcc, s75, v24
	v_mov_b32_e32 v17, 0x7f800001
	s_and_saveexec_b64 s[60:61], vcc
	s_cbranch_execz .LBB2_1327
; %bb.1326:                             ;   in Loop: Header=BB2_1289 Depth=2
	v_and_b32_e32 v8, 7, v16
	v_ffbh_u32_e32 v6, v8
	v_min_u32_e32 v17, 32, v6
	v_subrev_u32_e32 v6, 28, v17
	v_lshlrev_b64 v[6:7], v6, v[16:17]
	v_lshrrev_b32_e32 v9, 3, v24
	v_sub_u32_e32 v7, 29, v17
	v_and_b32_e32 v6, 7, v6
	v_cmp_gt_u32_e32 vcc, 8, v24
	v_cndmask_b32_e32 v7, v9, v7, vcc
	v_cndmask_b32_e32 v6, v8, v6, vcc
	v_lshlrev_b32_e32 v8, 24, v21
	v_lshlrev_b32_e32 v6, 20, v6
	v_and_b32_e32 v8, 0x80000000, v8
	v_lshl_add_u32 v7, v7, 23, v51
	v_or3_b32 v17, v8, v7, v6
.LBB2_1327:                             ;   in Loop: Header=BB2_1289 Depth=2
	s_or_b64 exec, exec, s[60:61]
.LBB2_1328:                             ;   in Loop: Header=BB2_1289 Depth=2
	s_or_b64 exec, exec, s[58:59]
.LBB2_1329:                             ;   in Loop: Header=BB2_1289 Depth=2
	s_or_b64 exec, exec, s[22:23]
	v_add_f32_e32 v16, v25, v17
	v_and_b32_sdwa v24, v16, s74 dst_sel:DWORD dst_unused:UNUSED_PAD src0_sel:BYTE_3 src1_sel:DWORD
	v_and_b32_e32 v6, 0x7f800000, v16
	v_mov_b32_e32 v7, v57
	v_and_b32_e32 v56, 0x7fffff, v16
	v_or_b32_e32 v21, 0x7e, v24
	v_cmp_ne_u64_e32 vcc, s[42:43], v[6:7]
	s_and_saveexec_b64 s[22:23], vcc
	s_xor_b64 s[58:59], exec, s[22:23]
	s_cbranch_execz .LBB2_1343
; %bb.1330:                             ;   in Loop: Header=BB2_1289 Depth=2
	v_and_b32_e32 v6, 0x7fffffff, v16
	v_mov_b32_e32 v7, v57
	v_cmp_gt_u64_e32 vcc, s[44:45], v[6:7]
	s_and_saveexec_b64 s[22:23], vcc
	s_xor_b64 s[60:61], exec, s[22:23]
	s_cbranch_execz .LBB2_1342
; %bb.1331:                             ;   in Loop: Header=BB2_1289 Depth=2
	v_cmp_ne_u32_e32 vcc, 0, v16
	v_mov_b32_e32 v21, 0
	s_and_saveexec_b64 s[62:63], vcc
	s_cbranch_execz .LBB2_1341
; %bb.1332:                             ;   in Loop: Header=BB2_1289 Depth=2
	v_bfe_u32 v6, v16, 23, 8
	v_sub_u32_e32 v8, 0x79, v6
	v_cmp_gt_u32_e32 vcc, s76, v6
	v_add_u32_e32 v7, 0xffffff81, v6
	v_cndmask_b32_e32 v8, 0, v8, vcc
	v_cmp_eq_u32_e32 vcc, 0, v6
	v_mov_b32_e32 v6, 0xffffff82
	v_cndmask_b32_e32 v21, v7, v6, vcc
	v_mov_b32_e32 v6, 0x78
	v_or_b32_e32 v9, 0x800000, v56
	v_cndmask_b32_e32 v25, v8, v6, vcc
	v_cndmask_b32_e32 v56, v9, v56, vcc
	v_add_u32_e32 v6, 20, v25
	v_lshlrev_b64 v[6:7], v6, -1
	v_lshrrev_b64 v[16:17], v25, v[56:57]
	v_not_b32_e32 v7, v7
	v_not_b32_e32 v6, v6
	v_add_u32_e32 v8, 19, v25
	v_lshrrev_b32_e32 v26, 23, v16
	v_and_b32_e32 v7, 0, v7
	v_and_b32_e32 v6, v56, v6
	v_lshlrev_b64 v[8:9], v8, 1
	v_add3_u32 v26, v25, v21, v26
	v_bfe_u32 v25, v16, 20, 1
	v_add_u32_e32 v25, -1, v25
	v_cmp_eq_u64_e32 vcc, v[6:7], v[8:9]
	v_cndmask_b32_e32 v6, 0, v25, vcc
	v_add_u32_e32 v6, v6, v16
	v_and_b32_e32 v6, 0xfffff, v6
	v_add_co_u32_e32 v16, vcc, v6, v16
	v_add_u32_e32 v21, 6, v26
	v_addc_co_u32_e32 v17, vcc, 0, v17, vcc
	v_cmp_ne_u32_e32 vcc, 0, v21
                                        ; implicit-def: $vgpr25
	s_and_saveexec_b64 s[22:23], vcc
	s_xor_b64 s[22:23], exec, s[22:23]
; %bb.1333:                             ;   in Loop: Header=BB2_1289 Depth=2
	v_add_u32_e32 v6, 7, v26
	v_cmp_lt_u64_e32 vcc, s[48:49], v[16:17]
	v_cndmask_b32_e32 v25, v21, v6, vcc
	v_cndmask_b32_e64 v6, 0, 1, vcc
	v_lshrrev_b64 v[16:17], v6, v[16:17]
; %bb.1334:                             ;   in Loop: Header=BB2_1289 Depth=2
	s_andn2_saveexec_b64 s[22:23], s[22:23]
; %bb.1335:                             ;   in Loop: Header=BB2_1289 Depth=2
	v_bfe_u32 v25, v16, 23, 1
; %bb.1336:                             ;   in Loop: Header=BB2_1289 Depth=2
	s_or_b64 exec, exec, s[22:23]
	v_lshrrev_b64 v[6:7], 20, v[16:17]
	v_cmp_gt_i32_e32 vcc, 16, v25
	v_cndmask_b32_e32 v17, 0, v7, vcc
	v_cndmask_b32_e32 v16, 7, v6, vcc
	v_cmp_ne_u32_e32 vcc, 0, v25
	v_cmp_ne_u64_e64 s[22:23], 0, v[16:17]
	s_or_b64 s[22:23], vcc, s[22:23]
                                        ; implicit-def: $vgpr21
	s_and_saveexec_b64 vcc, s[22:23]
	s_xor_b64 s[22:23], exec, vcc
; %bb.1337:                             ;   in Loop: Header=BB2_1289 Depth=2
	v_min_i32_e32 v6, 15, v25
	v_lshl_or_b32 v6, v6, 3, v24
	v_and_or_b32 v21, v16, 7, v6
                                        ; implicit-def: $vgpr24
; %bb.1338:                             ;   in Loop: Header=BB2_1289 Depth=2
	s_andn2_saveexec_b64 s[22:23], s[22:23]
; %bb.1339:                             ;   in Loop: Header=BB2_1289 Depth=2
	v_mov_b32_e32 v21, v24
; %bb.1340:                             ;   in Loop: Header=BB2_1289 Depth=2
	s_or_b64 exec, exec, s[22:23]
.LBB2_1341:                             ;   in Loop: Header=BB2_1289 Depth=2
	s_or_b64 exec, exec, s[62:63]
.LBB2_1342:                             ;   in Loop: Header=BB2_1289 Depth=2
	s_andn2_saveexec_b64 s[22:23], s[60:61]
	s_or_b64 exec, exec, s[22:23]
                                        ; implicit-def: $vgpr16
.LBB2_1343:                             ;   in Loop: Header=BB2_1289 Depth=2
	s_andn2_saveexec_b64 s[22:23], s[58:59]
; %bb.1344:                             ;   in Loop: Header=BB2_1289 Depth=2
	v_or_b32_sdwa v6, v16, s75 dst_sel:DWORD dst_unused:UNUSED_PAD src0_sel:BYTE_3 src1_sel:DWORD
	v_cmp_eq_u64_e32 vcc, 0, v[56:57]
	v_cndmask_b32_e32 v21, v6, v21, vcc
; %bb.1345:                             ;   in Loop: Header=BB2_1289 Depth=2
	s_or_b64 exec, exec, s[22:23]
	v_and_b32_e32 v16, 0xff, v23
	v_cmp_ne_u16_e32 vcc, 0, v16
	v_mov_b32_e32 v17, 0
	v_mov_b32_e32 v24, 0
	s_and_saveexec_b64 s[22:23], vcc
	s_cbranch_execz .LBB2_1351
; %bb.1346:                             ;   in Loop: Header=BB2_1289 Depth=2
	v_cmp_ne_u16_e32 vcc, s74, v16
	v_bfrev_b32_e32 v24, 1
	s_and_saveexec_b64 s[58:59], vcc
	s_cbranch_execz .LBB2_1350
; %bb.1347:                             ;   in Loop: Header=BB2_1289 Depth=2
	v_and_b32_e32 v25, 0x7f, v23
	v_cmp_ne_u32_e32 vcc, s75, v25
	v_mov_b32_e32 v24, 0x7f800001
	s_and_saveexec_b64 s[60:61], vcc
	s_cbranch_execz .LBB2_1349
; %bb.1348:                             ;   in Loop: Header=BB2_1289 Depth=2
	v_and_b32_e32 v8, 7, v16
	v_ffbh_u32_e32 v6, v8
	v_min_u32_e32 v24, 32, v6
	v_subrev_u32_e32 v6, 28, v24
	v_lshlrev_b64 v[6:7], v6, v[16:17]
	v_lshrrev_b32_e32 v9, 3, v25
	v_sub_u32_e32 v7, 29, v24
	v_and_b32_e32 v6, 7, v6
	v_cmp_gt_u32_e32 vcc, 8, v25
	v_cndmask_b32_e32 v7, v9, v7, vcc
	v_cndmask_b32_e32 v6, v8, v6, vcc
	v_lshlrev_b32_e32 v8, 24, v23
	v_lshlrev_b32_e32 v6, 20, v6
	v_and_b32_e32 v8, 0x80000000, v8
	v_lshl_add_u32 v7, v7, 23, v51
	v_or3_b32 v24, v8, v7, v6
.LBB2_1349:                             ;   in Loop: Header=BB2_1289 Depth=2
	s_or_b64 exec, exec, s[60:61]
.LBB2_1350:                             ;   in Loop: Header=BB2_1289 Depth=2
	s_or_b64 exec, exec, s[58:59]
.LBB2_1351:                             ;   in Loop: Header=BB2_1289 Depth=2
	s_or_b64 exec, exec, s[22:23]
	v_and_b32_e32 v16, 0xff, v22
	v_cmp_ne_u16_e32 vcc, 0, v16
	s_and_saveexec_b64 s[22:23], vcc
	s_cbranch_execz .LBB2_1357
; %bb.1352:                             ;   in Loop: Header=BB2_1289 Depth=2
	v_cmp_ne_u16_e32 vcc, s74, v16
	v_bfrev_b32_e32 v17, 1
	s_and_saveexec_b64 s[58:59], vcc
	s_cbranch_execz .LBB2_1356
; %bb.1353:                             ;   in Loop: Header=BB2_1289 Depth=2
	v_and_b32_e32 v23, 0x7f, v22
	v_cmp_ne_u32_e32 vcc, s75, v23
	v_mov_b32_e32 v17, 0x7f800001
	s_and_saveexec_b64 s[60:61], vcc
	s_cbranch_execz .LBB2_1355
; %bb.1354:                             ;   in Loop: Header=BB2_1289 Depth=2
	v_and_b32_e32 v8, 7, v16
	v_ffbh_u32_e32 v6, v8
	v_min_u32_e32 v17, 32, v6
	v_subrev_u32_e32 v6, 28, v17
	v_lshlrev_b64 v[6:7], v6, v[16:17]
	v_lshrrev_b32_e32 v9, 3, v23
	v_sub_u32_e32 v7, 29, v17
	v_and_b32_e32 v6, 7, v6
	v_cmp_gt_u32_e32 vcc, 8, v23
	v_cndmask_b32_e32 v7, v9, v7, vcc
	v_cndmask_b32_e32 v6, v8, v6, vcc
	v_lshlrev_b32_e32 v8, 24, v22
	v_lshlrev_b32_e32 v6, 20, v6
	v_and_b32_e32 v8, 0x80000000, v8
	v_lshl_add_u32 v7, v7, 23, v51
	v_or3_b32 v17, v8, v7, v6
.LBB2_1355:                             ;   in Loop: Header=BB2_1289 Depth=2
	s_or_b64 exec, exec, s[60:61]
.LBB2_1356:                             ;   in Loop: Header=BB2_1289 Depth=2
	s_or_b64 exec, exec, s[58:59]
.LBB2_1357:                             ;   in Loop: Header=BB2_1289 Depth=2
	s_or_b64 exec, exec, s[22:23]
	v_add_f32_e32 v16, v24, v17
	v_and_b32_sdwa v23, v16, s74 dst_sel:DWORD dst_unused:UNUSED_PAD src0_sel:BYTE_3 src1_sel:DWORD
	v_and_b32_e32 v6, 0x7f800000, v16
	v_mov_b32_e32 v7, v57
	v_and_b32_e32 v56, 0x7fffff, v16
	v_or_b32_e32 v22, 0x7e, v23
	v_cmp_ne_u64_e32 vcc, s[42:43], v[6:7]
	s_and_saveexec_b64 s[22:23], vcc
	s_xor_b64 s[58:59], exec, s[22:23]
	s_cbranch_execz .LBB2_1371
; %bb.1358:                             ;   in Loop: Header=BB2_1289 Depth=2
	v_and_b32_e32 v6, 0x7fffffff, v16
	v_mov_b32_e32 v7, v57
	v_cmp_gt_u64_e32 vcc, s[44:45], v[6:7]
	s_and_saveexec_b64 s[22:23], vcc
	s_xor_b64 s[60:61], exec, s[22:23]
	s_cbranch_execz .LBB2_1370
; %bb.1359:                             ;   in Loop: Header=BB2_1289 Depth=2
	v_cmp_ne_u32_e32 vcc, 0, v16
	v_mov_b32_e32 v22, 0
	s_and_saveexec_b64 s[62:63], vcc
	s_cbranch_execz .LBB2_1369
; %bb.1360:                             ;   in Loop: Header=BB2_1289 Depth=2
	v_bfe_u32 v6, v16, 23, 8
	v_sub_u32_e32 v8, 0x79, v6
	v_cmp_gt_u32_e32 vcc, s76, v6
	v_add_u32_e32 v7, 0xffffff81, v6
	v_cndmask_b32_e32 v8, 0, v8, vcc
	v_cmp_eq_u32_e32 vcc, 0, v6
	v_mov_b32_e32 v6, 0xffffff82
	v_cndmask_b32_e32 v22, v7, v6, vcc
	v_mov_b32_e32 v6, 0x78
	v_or_b32_e32 v9, 0x800000, v56
	v_cndmask_b32_e32 v24, v8, v6, vcc
	v_cndmask_b32_e32 v56, v9, v56, vcc
	v_add_u32_e32 v6, 20, v24
	v_lshlrev_b64 v[6:7], v6, -1
	v_lshrrev_b64 v[16:17], v24, v[56:57]
	v_not_b32_e32 v7, v7
	v_not_b32_e32 v6, v6
	v_add_u32_e32 v8, 19, v24
	v_lshrrev_b32_e32 v25, 23, v16
	v_and_b32_e32 v7, 0, v7
	v_and_b32_e32 v6, v56, v6
	v_lshlrev_b64 v[8:9], v8, 1
	v_add3_u32 v25, v24, v22, v25
	v_bfe_u32 v24, v16, 20, 1
	v_add_u32_e32 v24, -1, v24
	v_cmp_eq_u64_e32 vcc, v[6:7], v[8:9]
	v_cndmask_b32_e32 v6, 0, v24, vcc
	v_add_u32_e32 v6, v6, v16
	v_and_b32_e32 v6, 0xfffff, v6
	v_add_co_u32_e32 v16, vcc, v6, v16
	v_add_u32_e32 v22, 6, v25
	v_addc_co_u32_e32 v17, vcc, 0, v17, vcc
	v_cmp_ne_u32_e32 vcc, 0, v22
                                        ; implicit-def: $vgpr24
	s_and_saveexec_b64 s[22:23], vcc
	s_xor_b64 s[22:23], exec, s[22:23]
; %bb.1361:                             ;   in Loop: Header=BB2_1289 Depth=2
	v_add_u32_e32 v6, 7, v25
	v_cmp_lt_u64_e32 vcc, s[48:49], v[16:17]
	v_cndmask_b32_e32 v24, v22, v6, vcc
	v_cndmask_b32_e64 v6, 0, 1, vcc
	v_lshrrev_b64 v[16:17], v6, v[16:17]
; %bb.1362:                             ;   in Loop: Header=BB2_1289 Depth=2
	s_andn2_saveexec_b64 s[22:23], s[22:23]
; %bb.1363:                             ;   in Loop: Header=BB2_1289 Depth=2
	v_bfe_u32 v24, v16, 23, 1
; %bb.1364:                             ;   in Loop: Header=BB2_1289 Depth=2
	s_or_b64 exec, exec, s[22:23]
	v_lshrrev_b64 v[6:7], 20, v[16:17]
	v_cmp_gt_i32_e32 vcc, 16, v24
	v_cndmask_b32_e32 v17, 0, v7, vcc
	v_cndmask_b32_e32 v16, 7, v6, vcc
	v_cmp_ne_u32_e32 vcc, 0, v24
	v_cmp_ne_u64_e64 s[22:23], 0, v[16:17]
	s_or_b64 s[22:23], vcc, s[22:23]
                                        ; implicit-def: $vgpr22
	s_and_saveexec_b64 vcc, s[22:23]
	s_xor_b64 s[22:23], exec, vcc
; %bb.1365:                             ;   in Loop: Header=BB2_1289 Depth=2
	v_min_i32_e32 v6, 15, v24
	v_lshl_or_b32 v6, v6, 3, v23
	v_and_or_b32 v22, v16, 7, v6
                                        ; implicit-def: $vgpr23
; %bb.1366:                             ;   in Loop: Header=BB2_1289 Depth=2
	s_andn2_saveexec_b64 s[22:23], s[22:23]
; %bb.1367:                             ;   in Loop: Header=BB2_1289 Depth=2
	v_mov_b32_e32 v22, v23
; %bb.1368:                             ;   in Loop: Header=BB2_1289 Depth=2
	s_or_b64 exec, exec, s[22:23]
.LBB2_1369:                             ;   in Loop: Header=BB2_1289 Depth=2
	s_or_b64 exec, exec, s[62:63]
.LBB2_1370:                             ;   in Loop: Header=BB2_1289 Depth=2
	s_andn2_saveexec_b64 s[22:23], s[60:61]
	s_or_b64 exec, exec, s[22:23]
                                        ; implicit-def: $vgpr16
.LBB2_1371:                             ;   in Loop: Header=BB2_1289 Depth=2
	s_andn2_saveexec_b64 s[22:23], s[58:59]
; %bb.1372:                             ;   in Loop: Header=BB2_1289 Depth=2
	v_or_b32_sdwa v6, v16, s75 dst_sel:DWORD dst_unused:UNUSED_PAD src0_sel:BYTE_3 src1_sel:DWORD
	v_cmp_eq_u64_e32 vcc, 0, v[56:57]
	v_cndmask_b32_e32 v22, v6, v22, vcc
; %bb.1373:                             ;   in Loop: Header=BB2_1289 Depth=2
	s_or_b64 exec, exec, s[22:23]
	v_and_b32_e32 v16, 0xff, v20
	v_cmp_ne_u16_e32 vcc, 0, v16
	v_mov_b32_e32 v17, 0
	v_mov_b32_e32 v23, 0
	s_and_saveexec_b64 s[22:23], vcc
	s_cbranch_execz .LBB2_1379
; %bb.1374:                             ;   in Loop: Header=BB2_1289 Depth=2
	v_cmp_ne_u16_e32 vcc, s74, v16
	v_bfrev_b32_e32 v23, 1
	s_and_saveexec_b64 s[58:59], vcc
	s_cbranch_execz .LBB2_1378
; %bb.1375:                             ;   in Loop: Header=BB2_1289 Depth=2
	v_and_b32_e32 v24, 0x7f, v20
	v_cmp_ne_u32_e32 vcc, s75, v24
	v_mov_b32_e32 v23, 0x7f800001
	s_and_saveexec_b64 s[60:61], vcc
	s_cbranch_execz .LBB2_1377
; %bb.1376:                             ;   in Loop: Header=BB2_1289 Depth=2
	v_and_b32_e32 v8, 7, v16
	v_ffbh_u32_e32 v6, v8
	v_min_u32_e32 v23, 32, v6
	v_subrev_u32_e32 v6, 28, v23
	v_lshlrev_b64 v[6:7], v6, v[16:17]
	v_lshrrev_b32_e32 v9, 3, v24
	v_sub_u32_e32 v7, 29, v23
	v_and_b32_e32 v6, 7, v6
	v_cmp_gt_u32_e32 vcc, 8, v24
	v_cndmask_b32_e32 v7, v9, v7, vcc
	v_cndmask_b32_e32 v6, v8, v6, vcc
	v_lshlrev_b32_e32 v8, 24, v20
	v_lshlrev_b32_e32 v6, 20, v6
	v_and_b32_e32 v8, 0x80000000, v8
	v_lshl_add_u32 v7, v7, 23, v51
	v_or3_b32 v23, v8, v7, v6
.LBB2_1377:                             ;   in Loop: Header=BB2_1289 Depth=2
	s_or_b64 exec, exec, s[60:61]
.LBB2_1378:                             ;   in Loop: Header=BB2_1289 Depth=2
	s_or_b64 exec, exec, s[58:59]
.LBB2_1379:                             ;   in Loop: Header=BB2_1289 Depth=2
	s_or_b64 exec, exec, s[22:23]
	v_and_b32_e32 v16, 0xff, v5
	v_cmp_ne_u16_e32 vcc, 0, v16
	s_and_saveexec_b64 s[22:23], vcc
	s_cbranch_execz .LBB2_1385
; %bb.1380:                             ;   in Loop: Header=BB2_1289 Depth=2
	v_cmp_ne_u16_e32 vcc, s74, v16
	v_bfrev_b32_e32 v17, 1
	s_and_saveexec_b64 s[58:59], vcc
	s_cbranch_execz .LBB2_1384
; %bb.1381:                             ;   in Loop: Header=BB2_1289 Depth=2
	v_and_b32_e32 v20, 0x7f, v5
	v_cmp_ne_u32_e32 vcc, s75, v20
	v_mov_b32_e32 v17, 0x7f800001
	s_and_saveexec_b64 s[60:61], vcc
	s_cbranch_execz .LBB2_1383
; %bb.1382:                             ;   in Loop: Header=BB2_1289 Depth=2
	v_and_b32_e32 v8, 7, v16
	v_ffbh_u32_e32 v6, v8
	v_min_u32_e32 v17, 32, v6
	v_subrev_u32_e32 v6, 28, v17
	v_lshlrev_b64 v[6:7], v6, v[16:17]
	v_lshrrev_b32_e32 v9, 3, v20
	v_sub_u32_e32 v7, 29, v17
	v_and_b32_e32 v6, 7, v6
	v_cmp_gt_u32_e32 vcc, 8, v20
	v_cndmask_b32_e32 v7, v9, v7, vcc
	v_cndmask_b32_e32 v6, v8, v6, vcc
	v_lshlrev_b32_e32 v5, 24, v5
	v_lshlrev_b32_e32 v6, 20, v6
	v_and_b32_e32 v5, 0x80000000, v5
	v_lshl_add_u32 v7, v7, 23, v51
	v_or3_b32 v17, v5, v7, v6
.LBB2_1383:                             ;   in Loop: Header=BB2_1289 Depth=2
	s_or_b64 exec, exec, s[60:61]
.LBB2_1384:                             ;   in Loop: Header=BB2_1289 Depth=2
	s_or_b64 exec, exec, s[58:59]
.LBB2_1385:                             ;   in Loop: Header=BB2_1289 Depth=2
	s_or_b64 exec, exec, s[22:23]
	v_add_f32_e32 v16, v23, v17
	v_and_b32_sdwa v5, v16, s74 dst_sel:DWORD dst_unused:UNUSED_PAD src0_sel:BYTE_3 src1_sel:DWORD
	v_and_b32_e32 v6, 0x7f800000, v16
	v_mov_b32_e32 v7, v57
	v_and_b32_e32 v56, 0x7fffff, v16
	v_or_b32_e32 v17, 0x7e, v5
	v_cmp_ne_u64_e32 vcc, s[42:43], v[6:7]
	s_and_saveexec_b64 s[22:23], vcc
	s_xor_b64 s[58:59], exec, s[22:23]
	s_cbranch_execz .LBB2_1399
; %bb.1386:                             ;   in Loop: Header=BB2_1289 Depth=2
	v_and_b32_e32 v6, 0x7fffffff, v16
	v_mov_b32_e32 v7, v57
	v_cmp_gt_u64_e32 vcc, s[44:45], v[6:7]
	s_and_saveexec_b64 s[22:23], vcc
	s_xor_b64 s[60:61], exec, s[22:23]
	s_cbranch_execz .LBB2_1398
; %bb.1387:                             ;   in Loop: Header=BB2_1289 Depth=2
	v_cmp_ne_u32_e32 vcc, 0, v16
	v_mov_b32_e32 v17, 0
	s_and_saveexec_b64 s[62:63], vcc
	s_cbranch_execz .LBB2_1397
; %bb.1388:                             ;   in Loop: Header=BB2_1289 Depth=2
	v_bfe_u32 v6, v16, 23, 8
	v_sub_u32_e32 v8, 0x79, v6
	v_cmp_gt_u32_e32 vcc, s76, v6
	v_add_u32_e32 v7, 0xffffff81, v6
	v_cndmask_b32_e32 v8, 0, v8, vcc
	v_cmp_eq_u32_e32 vcc, 0, v6
	v_mov_b32_e32 v6, 0xffffff82
	v_cndmask_b32_e32 v20, v7, v6, vcc
	v_mov_b32_e32 v6, 0x78
	v_or_b32_e32 v9, 0x800000, v56
	v_cndmask_b32_e32 v23, v8, v6, vcc
	v_cndmask_b32_e32 v56, v9, v56, vcc
	v_add_u32_e32 v6, 20, v23
	v_lshlrev_b64 v[6:7], v6, -1
	v_lshrrev_b64 v[16:17], v23, v[56:57]
	v_not_b32_e32 v7, v7
	v_not_b32_e32 v6, v6
	v_add_u32_e32 v8, 19, v23
	v_lshrrev_b32_e32 v24, 23, v16
	v_and_b32_e32 v7, 0, v7
	v_and_b32_e32 v6, v56, v6
	v_lshlrev_b64 v[8:9], v8, 1
	v_add3_u32 v24, v23, v20, v24
	v_bfe_u32 v20, v16, 20, 1
	v_add_u32_e32 v20, -1, v20
	v_cmp_eq_u64_e32 vcc, v[6:7], v[8:9]
	v_cndmask_b32_e32 v6, 0, v20, vcc
	v_add_u32_e32 v6, v6, v16
	v_and_b32_e32 v6, 0xfffff, v6
	v_add_co_u32_e32 v16, vcc, v6, v16
	v_add_u32_e32 v23, 6, v24
	v_addc_co_u32_e32 v17, vcc, 0, v17, vcc
	v_cmp_ne_u32_e32 vcc, 0, v23
                                        ; implicit-def: $vgpr20
	s_and_saveexec_b64 s[22:23], vcc
	s_xor_b64 s[22:23], exec, s[22:23]
; %bb.1389:                             ;   in Loop: Header=BB2_1289 Depth=2
	v_add_u32_e32 v6, 7, v24
	v_cmp_lt_u64_e32 vcc, s[48:49], v[16:17]
	v_cndmask_b32_e32 v20, v23, v6, vcc
	v_cndmask_b32_e64 v6, 0, 1, vcc
	v_lshrrev_b64 v[16:17], v6, v[16:17]
; %bb.1390:                             ;   in Loop: Header=BB2_1289 Depth=2
	s_andn2_saveexec_b64 s[22:23], s[22:23]
; %bb.1391:                             ;   in Loop: Header=BB2_1289 Depth=2
	v_bfe_u32 v20, v16, 23, 1
; %bb.1392:                             ;   in Loop: Header=BB2_1289 Depth=2
	s_or_b64 exec, exec, s[22:23]
	v_lshrrev_b64 v[6:7], 20, v[16:17]
	v_cmp_gt_i32_e32 vcc, 16, v20
	v_cndmask_b32_e32 v17, 0, v7, vcc
	v_cndmask_b32_e32 v16, 7, v6, vcc
	v_cmp_ne_u32_e32 vcc, 0, v20
	v_cmp_ne_u64_e64 s[22:23], 0, v[16:17]
	s_or_b64 s[22:23], vcc, s[22:23]
                                        ; implicit-def: $vgpr17
	s_and_saveexec_b64 vcc, s[22:23]
	s_xor_b64 s[22:23], exec, vcc
; %bb.1393:                             ;   in Loop: Header=BB2_1289 Depth=2
	v_min_i32_e32 v6, 15, v20
	v_lshl_or_b32 v5, v6, 3, v5
	v_and_or_b32 v17, v16, 7, v5
                                        ; implicit-def: $vgpr5
; %bb.1394:                             ;   in Loop: Header=BB2_1289 Depth=2
	s_andn2_saveexec_b64 s[22:23], s[22:23]
; %bb.1395:                             ;   in Loop: Header=BB2_1289 Depth=2
	v_mov_b32_e32 v17, v5
; %bb.1396:                             ;   in Loop: Header=BB2_1289 Depth=2
	s_or_b64 exec, exec, s[22:23]
.LBB2_1397:                             ;   in Loop: Header=BB2_1289 Depth=2
	s_or_b64 exec, exec, s[62:63]
.LBB2_1398:                             ;   in Loop: Header=BB2_1289 Depth=2
	s_andn2_saveexec_b64 s[22:23], s[60:61]
	s_or_b64 exec, exec, s[22:23]
                                        ; implicit-def: $vgpr16
.LBB2_1399:                             ;   in Loop: Header=BB2_1289 Depth=2
	s_andn2_saveexec_b64 s[22:23], s[58:59]
	s_cbranch_execz .LBB2_1288
; %bb.1400:                             ;   in Loop: Header=BB2_1289 Depth=2
	v_or_b32_sdwa v5, v16, s75 dst_sel:DWORD dst_unused:UNUSED_PAD src0_sel:BYTE_3 src1_sel:DWORD
	v_cmp_eq_u64_e32 vcc, 0, v[56:57]
	v_cndmask_b32_e32 v17, v5, v17, vcc
	s_branch .LBB2_1288
.LBB2_1401:                             ;   in Loop: Header=BB2_49 Depth=1
	s_or_b64 exec, exec, s[56:57]
.LBB2_1402:                             ;   in Loop: Header=BB2_49 Depth=1
	s_or_b64 exec, exec, s[54:55]
	v_lshlrev_b32_e32 v3, 8, v3
	v_cmp_ne_u32_e32 vcc, v18, v3
	s_and_b64 exec, exec, vcc
	s_cbranch_execz .LBB2_1434
; %bb.1403:                             ;   in Loop: Header=BB2_49 Depth=1
	v_add_u32_e32 v1, v19, v1
	v_and_b32_e32 v1, 0xffffffc0, v1
	v_sub_u32_e32 v1, v19, v1
	v_lshlrev_b32_e32 v0, 6, v0
	v_sub_u32_e32 v0, v1, v0
	v_add_u32_e32 v1, v3, v0
	v_sub_u32_e32 v0, v18, v1
	v_cmp_lt_i32_e32 vcc, 0, v0
	s_and_b64 exec, exec, vcc
	s_cbranch_execz .LBB2_1434
; %bb.1404:                             ;   in Loop: Header=BB2_49 Depth=1
	s_trap 2
	ds_read_b128 v[4:7], v0
	v_add_u32_e32 v1, v1, v2
	ds_read_b64 v[2:3], v0
	v_ashrrev_i32_e32 v8, 31, v1
	s_mov_b64 s[54:55], 0
	s_waitcnt lgkmcnt(0)
	v_add_co_u32_e32 v10, vcc, v4, v1
	v_addc_co_u32_e32 v11, vcc, v5, v8, vcc
	v_add_co_u32_e32 v12, vcc, v6, v1
	v_addc_co_u32_e32 v13, vcc, v7, v8, vcc
	;; [unrolled: 2-line block ×3, first 2 shown]
	s_branch .LBB2_1406
.LBB2_1405:                             ;   in Loop: Header=BB2_1406 Depth=2
	s_or_b64 exec, exec, s[22:23]
	v_add_co_u32_e32 v10, vcc, v10, v52
	v_addc_co_u32_e32 v11, vcc, v11, v49, vcc
	v_add_co_u32_e32 v12, vcc, v12, v52
	v_addc_co_u32_e32 v13, vcc, v13, v49, vcc
	v_sub_u32_e32 v0, v0, v52
	v_cmp_gt_i32_e32 vcc, 1, v0
	flat_store_byte v[14:15], v2 glc slc
	s_or_b64 s[54:55], vcc, s[54:55]
	v_add_co_u32_e32 v14, vcc, v14, v52
	v_addc_co_u32_e32 v15, vcc, v15, v49, vcc
	s_andn2_b64 exec, exec, s[54:55]
	s_cbranch_execz .LBB2_1434
.LBB2_1406:                             ;   Parent Loop BB2_49 Depth=1
                                        ; =>  This Inner Loop Header: Depth=2
	flat_load_ubyte v4, v[10:11] glc slc
	flat_load_ubyte v2, v[12:13] glc slc
	v_mov_b32_e32 v1, 0
	v_mov_b32_e32 v3, 0
	s_waitcnt vmcnt(0) lgkmcnt(0)
	v_cmp_ne_u16_e32 vcc, 0, v4
	s_and_saveexec_b64 s[22:23], vcc
	s_cbranch_execz .LBB2_1412
; %bb.1407:                             ;   in Loop: Header=BB2_1406 Depth=2
	v_cmp_ne_u16_e32 vcc, s74, v4
	v_bfrev_b32_e32 v3, 1
	s_and_saveexec_b64 s[56:57], vcc
	s_cbranch_execz .LBB2_1411
; %bb.1408:                             ;   in Loop: Header=BB2_1406 Depth=2
	v_and_b32_e32 v16, 0xffff, v4
	v_and_b32_e32 v5, 0x7f, v16
	v_cmp_ne_u32_e32 vcc, s75, v5
	v_mov_b32_e32 v3, 0x7f800001
	s_and_saveexec_b64 s[58:59], vcc
	s_cbranch_execz .LBB2_1410
; %bb.1409:                             ;   in Loop: Header=BB2_1406 Depth=2
	v_and_b32_e32 v3, 7, v16
	v_ffbh_u32_e32 v6, v3
	v_min_u32_e32 v9, 32, v6
	v_subrev_u32_e32 v6, 28, v9
	v_lshlrev_b64 v[6:7], v6, v[16:17]
	v_lshrrev_b32_e32 v8, 3, v5
	v_sub_u32_e32 v7, 29, v9
	v_and_b32_e32 v6, 7, v6
	v_cmp_gt_u32_e32 vcc, 8, v5
	v_cndmask_b32_e32 v5, v8, v7, vcc
	v_cndmask_b32_e32 v3, v3, v6, vcc
	v_lshlrev_b32_e32 v4, 24, v4
	v_lshlrev_b32_e32 v3, 20, v3
	v_and_b32_e32 v4, 0x80000000, v4
	v_lshl_add_u32 v5, v5, 23, v51
	v_or3_b32 v3, v4, v5, v3
.LBB2_1410:                             ;   in Loop: Header=BB2_1406 Depth=2
	s_or_b64 exec, exec, s[58:59]
.LBB2_1411:                             ;   in Loop: Header=BB2_1406 Depth=2
	s_or_b64 exec, exec, s[56:57]
.LBB2_1412:                             ;   in Loop: Header=BB2_1406 Depth=2
	s_or_b64 exec, exec, s[22:23]
	v_and_b32_e32 v16, 0xff, v2
	v_cmp_ne_u16_e32 vcc, 0, v16
	s_and_saveexec_b64 s[22:23], vcc
	s_cbranch_execz .LBB2_1418
; %bb.1413:                             ;   in Loop: Header=BB2_1406 Depth=2
	v_cmp_ne_u16_e32 vcc, s74, v16
	v_bfrev_b32_e32 v1, 1
	s_and_saveexec_b64 s[56:57], vcc
	s_cbranch_execz .LBB2_1417
; %bb.1414:                             ;   in Loop: Header=BB2_1406 Depth=2
	v_and_b32_e32 v4, 0x7f, v2
	v_cmp_ne_u32_e32 vcc, s75, v4
	v_mov_b32_e32 v1, 0x7f800001
	s_and_saveexec_b64 s[58:59], vcc
	s_cbranch_execz .LBB2_1416
; %bb.1415:                             ;   in Loop: Header=BB2_1406 Depth=2
	v_and_b32_e32 v1, 7, v16
	v_ffbh_u32_e32 v6, v1
	v_min_u32_e32 v8, 32, v6
	v_subrev_u32_e32 v6, 28, v8
	v_lshlrev_b64 v[6:7], v6, v[16:17]
	v_lshrrev_b32_e32 v5, 3, v4
	v_sub_u32_e32 v7, 29, v8
	v_and_b32_e32 v6, 7, v6
	v_cmp_gt_u32_e32 vcc, 8, v4
	v_lshlrev_b32_e32 v2, 24, v2
	v_cndmask_b32_e32 v4, v5, v7, vcc
	v_cndmask_b32_e32 v1, v1, v6, vcc
	v_and_b32_e32 v2, 0x80000000, v2
	v_lshlrev_b32_e32 v1, 20, v1
	v_lshl_add_u32 v4, v4, 23, v51
	v_or3_b32 v1, v2, v4, v1
.LBB2_1416:                             ;   in Loop: Header=BB2_1406 Depth=2
	s_or_b64 exec, exec, s[58:59]
.LBB2_1417:                             ;   in Loop: Header=BB2_1406 Depth=2
	s_or_b64 exec, exec, s[56:57]
.LBB2_1418:                             ;   in Loop: Header=BB2_1406 Depth=2
	s_or_b64 exec, exec, s[22:23]
	v_add_f32_e32 v3, v3, v1
	v_and_b32_sdwa v1, v3, s74 dst_sel:DWORD dst_unused:UNUSED_PAD src0_sel:BYTE_3 src1_sel:DWORD
	v_and_b32_e32 v4, 0x7f800000, v3
	v_mov_b32_e32 v5, v57
	v_and_b32_e32 v56, 0x7fffff, v3
	v_or_b32_e32 v2, 0x7e, v1
	v_cmp_ne_u64_e32 vcc, s[42:43], v[4:5]
	s_and_saveexec_b64 s[22:23], vcc
	s_xor_b64 s[56:57], exec, s[22:23]
	s_cbranch_execz .LBB2_1432
; %bb.1419:                             ;   in Loop: Header=BB2_1406 Depth=2
	v_and_b32_e32 v4, 0x7fffffff, v3
	v_mov_b32_e32 v5, v57
	v_cmp_gt_u64_e32 vcc, s[44:45], v[4:5]
	s_and_saveexec_b64 s[22:23], vcc
	s_xor_b64 s[58:59], exec, s[22:23]
	s_cbranch_execz .LBB2_1431
; %bb.1420:                             ;   in Loop: Header=BB2_1406 Depth=2
	v_cmp_ne_u32_e32 vcc, 0, v3
	v_mov_b32_e32 v2, 0
	s_and_saveexec_b64 s[60:61], vcc
	s_cbranch_execz .LBB2_1430
; %bb.1421:                             ;   in Loop: Header=BB2_1406 Depth=2
	v_bfe_u32 v2, v3, 23, 8
	v_sub_u32_e32 v4, 0x79, v2
	v_cmp_gt_u32_e32 vcc, s76, v2
	v_add_u32_e32 v3, 0xffffff81, v2
	v_cndmask_b32_e32 v4, 0, v4, vcc
	v_cmp_eq_u32_e32 vcc, 0, v2
	v_mov_b32_e32 v2, 0xffffff82
	v_cndmask_b32_e32 v18, v3, v2, vcc
	v_mov_b32_e32 v2, 0x78
	v_cndmask_b32_e32 v4, v4, v2, vcc
	v_add_u32_e32 v2, 20, v4
	v_or_b32_e32 v5, 0x800000, v56
	v_lshlrev_b64 v[2:3], v2, -1
	v_cndmask_b32_e32 v56, v5, v56, vcc
	v_not_b32_e32 v2, v2
	v_not_b32_e32 v3, v3
	v_and_b32_e32 v6, v56, v2
	v_add_u32_e32 v2, 19, v4
	v_lshrrev_b64 v[16:17], v4, v[56:57]
	v_and_b32_e32 v7, 0, v3
	v_lshlrev_b64 v[8:9], v2, 1
	v_bfe_u32 v3, v16, 20, 1
	v_add_u32_e32 v3, -1, v3
	v_cmp_eq_u64_e32 vcc, v[6:7], v[8:9]
	v_cndmask_b32_e32 v3, 0, v3, vcc
	v_add_u32_e32 v3, v3, v16
	v_lshrrev_b32_e32 v2, 23, v16
	v_and_b32_e32 v3, 0xfffff, v3
	v_add3_u32 v4, v4, v18, v2
	v_add_co_u32_e32 v16, vcc, v3, v16
	v_add_u32_e32 v2, 6, v4
	v_addc_co_u32_e32 v17, vcc, 0, v17, vcc
	v_cmp_ne_u32_e32 vcc, 0, v2
                                        ; implicit-def: $vgpr3
	s_and_saveexec_b64 s[22:23], vcc
	s_xor_b64 s[22:23], exec, s[22:23]
; %bb.1422:                             ;   in Loop: Header=BB2_1406 Depth=2
	v_add_u32_e32 v3, 7, v4
	v_cmp_lt_u64_e32 vcc, s[48:49], v[16:17]
	v_cndmask_b32_e32 v3, v2, v3, vcc
	v_cndmask_b32_e64 v2, 0, 1, vcc
	v_lshrrev_b64 v[16:17], v2, v[16:17]
; %bb.1423:                             ;   in Loop: Header=BB2_1406 Depth=2
	s_andn2_saveexec_b64 s[22:23], s[22:23]
; %bb.1424:                             ;   in Loop: Header=BB2_1406 Depth=2
	v_bfe_u32 v3, v16, 23, 1
; %bb.1425:                             ;   in Loop: Header=BB2_1406 Depth=2
	s_or_b64 exec, exec, s[22:23]
	v_lshrrev_b64 v[4:5], 20, v[16:17]
	v_cmp_gt_i32_e32 vcc, 16, v3
	v_cndmask_b32_e32 v17, 0, v5, vcc
	v_cndmask_b32_e32 v16, 7, v4, vcc
	v_cmp_ne_u32_e32 vcc, 0, v3
	v_cmp_ne_u64_e64 s[22:23], 0, v[16:17]
	s_or_b64 s[22:23], vcc, s[22:23]
                                        ; implicit-def: $vgpr2
	s_and_saveexec_b64 vcc, s[22:23]
	s_xor_b64 s[22:23], exec, vcc
; %bb.1426:                             ;   in Loop: Header=BB2_1406 Depth=2
	v_min_i32_e32 v2, 15, v3
	v_lshl_or_b32 v1, v2, 3, v1
	v_and_or_b32 v2, v16, 7, v1
                                        ; implicit-def: $vgpr1
; %bb.1427:                             ;   in Loop: Header=BB2_1406 Depth=2
	s_andn2_saveexec_b64 s[22:23], s[22:23]
; %bb.1428:                             ;   in Loop: Header=BB2_1406 Depth=2
	v_mov_b32_e32 v2, v1
; %bb.1429:                             ;   in Loop: Header=BB2_1406 Depth=2
	s_or_b64 exec, exec, s[22:23]
.LBB2_1430:                             ;   in Loop: Header=BB2_1406 Depth=2
	s_or_b64 exec, exec, s[60:61]
.LBB2_1431:                             ;   in Loop: Header=BB2_1406 Depth=2
	s_andn2_saveexec_b64 s[22:23], s[58:59]
	s_or_b64 exec, exec, s[22:23]
                                        ; implicit-def: $vgpr3
.LBB2_1432:                             ;   in Loop: Header=BB2_1406 Depth=2
	s_andn2_saveexec_b64 s[22:23], s[56:57]
	s_cbranch_execz .LBB2_1405
; %bb.1433:                             ;   in Loop: Header=BB2_1406 Depth=2
	v_or_b32_sdwa v1, v3, s75 dst_sel:DWORD dst_unused:UNUSED_PAD src0_sel:BYTE_3 src1_sel:DWORD
	v_cmp_eq_u64_e32 vcc, 0, v[56:57]
	v_cndmask_b32_e32 v2, v1, v2, vcc
	s_branch .LBB2_1405
.LBB2_1434:                             ;   in Loop: Header=BB2_49 Depth=1
	s_or_b64 exec, exec, s[24:25]
	v_cmp_ne_u32_e64 s[22:23], 0, v55
.LBB2_1435:                             ;   in Loop: Header=BB2_49 Depth=1
	s_and_saveexec_b64 s[24:25], s[12:13]
	s_cbranch_execz .LBB2_1454
; %bb.1436:                             ;   in Loop: Header=BB2_49 Depth=1
	s_and_saveexec_b64 vcc, s[36:37]
	s_xor_b64 s[54:55], exec, vcc
	s_cbranch_execz .LBB2_1451
; %bb.1437:                             ;   in Loop: Header=BB2_49 Depth=1
	s_and_saveexec_b64 s[56:57], s[14:15]
	s_cbranch_execz .LBB2_1450
; %bb.1438:                             ;   in Loop: Header=BB2_49 Depth=1
	s_mov_b64 s[60:61], exec
	v_mbcnt_lo_u32_b32 v0, s60, 0
	v_mbcnt_hi_u32_b32 v0, s61, v0
	v_cmp_eq_u32_e32 vcc, 0, v0
	s_waitcnt vmcnt(0) lgkmcnt(0)
	buffer_wbinvl1_vol
	s_and_saveexec_b64 s[58:59], vcc
	s_cbranch_execz .LBB2_1440
; %bb.1439:                             ;   in Loop: Header=BB2_49 Depth=1
	s_bcnt1_i32_b64 vcc_lo, s[60:61]
	v_mov_b32_e32 v56, vcc_lo
	ds_add_u64 v0, v[56:57]
	s_trap 2
.LBB2_1440:                             ;   in Loop: Header=BB2_49 Depth=1
	s_or_b64 exec, exec, s[58:59]
	s_trap 2
	ds_read_b64 v[0:1], v0
	v_add_co_u32_e32 v38, vcc, v38, v28
	v_addc_co_u32_e32 v39, vcc, 0, v39, vcc
	s_waitcnt lgkmcnt(0)
	v_cmp_lt_u64_e32 vcc, v[0:1], v[38:39]
	s_and_saveexec_b64 s[58:59], vcc
	s_cbranch_execz .LBB2_1449
; %bb.1441:                             ;   in Loop: Header=BB2_49 Depth=1
	s_mov_b32 s78, 0
	s_mov_b64 s[60:61], 0
                                        ; implicit-def: $sgpr62_sgpr63
                                        ; implicit-def: $sgpr64_sgpr65
	s_branch .LBB2_1443
.LBB2_1442:                             ;   in Loop: Header=BB2_1443 Depth=2
	s_or_b64 exec, exec, s[68:69]
	s_and_b64 vcc, exec, vcc
	s_or_b64 s[60:61], vcc, s[60:61]
	s_andn2_b64 vcc, s[62:63], exec
	s_and_b64 s[62:63], s[64:65], exec
	s_or_b64 s[62:63], vcc, s[62:63]
	s_andn2_b64 exec, exec, s[60:61]
	s_cbranch_execz .LBB2_1447
.LBB2_1443:                             ;   Parent Loop BB2_49 Depth=1
                                        ; =>  This Inner Loop Header: Depth=2
	s_add_i32 s78, s78, 1
	s_cmpk_lg_i32 s78, 0x2710
	s_cselect_b64 s[66:67], -1, 0
	s_and_b64 vcc, exec, s[66:67]
                                        ; implicit-def: $sgpr68_sgpr69
	s_cbranch_vccnz .LBB2_1445
; %bb.1444:                             ;   in Loop: Header=BB2_1443 Depth=2
	s_trap 2
	ds_read_b64 v[0:1], v0
	s_andn2_b64 s[66:67], s[66:67], exec
	s_mov_b32 s78, 0
	s_mov_b64 s[68:69], -1
	s_waitcnt lgkmcnt(0)
	flat_load_dword v0, v[0:1] glc
	s_waitcnt vmcnt(0) lgkmcnt(0)
	buffer_invl2
	buffer_wbinvl1_vol
	v_cmp_eq_u32_e32 vcc, 0, v0
	s_and_b64 vcc, vcc, exec
	s_or_b64 s[66:67], s[66:67], vcc
.LBB2_1445:                             ;   in Loop: Header=BB2_1443 Depth=2
	s_andn2_b64 s[64:65], s[64:65], exec
	s_and_b64 s[68:69], s[68:69], exec
	s_mov_b64 vcc, -1
	s_or_b64 s[64:65], s[64:65], s[68:69]
	s_and_saveexec_b64 s[68:69], s[66:67]
	s_cbranch_execz .LBB2_1442
; %bb.1446:                             ;   in Loop: Header=BB2_1443 Depth=2
	s_sleep 1
	s_trap 2
	ds_read_b64 v[0:1], v0
	s_andn2_b64 s[64:65], s[64:65], exec
	s_waitcnt lgkmcnt(0)
	v_cmp_ge_u64_e32 vcc, v[0:1], v[38:39]
	s_orn2_b64 vcc, vcc, exec
	s_branch .LBB2_1442
.LBB2_1447:                             ;   in Loop: Header=BB2_49 Depth=1
	s_or_b64 exec, exec, s[60:61]
	s_and_saveexec_b64 vcc, s[62:63]
	s_xor_b64 vcc, exec, vcc
	s_cbranch_execz .LBB2_1449
; %bb.1448:                             ;   in Loop: Header=BB2_49 Depth=1
	ds_write_b32 v0, v53
	s_trap 2
.LBB2_1449:                             ;   in Loop: Header=BB2_49 Depth=1
	s_or_b64 exec, exec, s[58:59]
	;;#ASMSTART
	s_wakeup
	;;#ASMEND
.LBB2_1450:                             ;   in Loop: Header=BB2_49 Depth=1
	s_or_b64 exec, exec, s[56:57]
.LBB2_1451:                             ;   in Loop: Header=BB2_49 Depth=1
	s_andn2_saveexec_b64 vcc, s[54:55]
	s_cbranch_execz .LBB2_1453
; %bb.1452:                             ;   in Loop: Header=BB2_49 Depth=1
	s_waitcnt vmcnt(0) lgkmcnt(0)
	buffer_wbinvl1_vol
	s_barrier
.LBB2_1453:                             ;   in Loop: Header=BB2_49 Depth=1
	s_or_b64 exec, exec, vcc
.LBB2_1454:                             ;   in Loop: Header=BB2_49 Depth=1
	s_or_b64 exec, exec, s[24:25]
	v_and_b32_e32 v0, 16, v62
	v_cmp_ne_u32_e32 vcc, 0, v0
	s_and_b64 s[24:25], vcc, s[22:23]
	s_and_saveexec_b64 s[22:23], s[24:25]
	s_cbranch_execz .LBB2_1456
; %bb.1455:                             ;   in Loop: Header=BB2_49 Depth=1
	s_waitcnt vmcnt(0) lgkmcnt(0)
	buffer_wbinvl1_vol
.LBB2_1456:                             ;   in Loop: Header=BB2_49 Depth=1
	s_or_b64 exec, exec, s[22:23]
	v_cmp_ne_u32_e32 vcc, 0, v0
	s_xor_b64 s[22:23], s[20:21], -1
	s_and_b64 s[24:25], vcc, s[22:23]
	s_and_saveexec_b64 s[22:23], s[24:25]
	s_cbranch_execz .LBB2_1458
; %bb.1457:                             ;   in Loop: Header=BB2_49 Depth=1
	v_accvgpr_read_b32 v0, a22
	v_accvgpr_read_b32 v1, a23
	flat_store_dword v[0:1], v53
.LBB2_1458:                             ;   in Loop: Header=BB2_49 Depth=1
	s_or_b64 exec, exec, s[22:23]
	v_and_b32_e32 v0, 48, v62
	v_cmp_ne_u32_e32 vcc, 0, v0
	s_and_saveexec_b64 s[22:23], vcc
	s_cbranch_execz .LBB2_1460
; %bb.1459:                             ;   in Loop: Header=BB2_49 Depth=1
	v_accvgpr_read_b32 v0, a12
	v_accvgpr_read_b32 v2, a14
	;; [unrolled: 1-line block ×3, first 2 shown]
	v_add_co_u32_e32 v2, vcc, 1, v2
	v_addc_co_u32_e32 v3, vcc, 0, v3, vcc
	v_accvgpr_read_b32 v1, a13
	v_accvgpr_write_b32 a15, v3
	v_accvgpr_write_b32 a14, v2
	;; [unrolled: 1-line block ×4, first 2 shown]
	flat_store_dwordx2 v[32:33], v[2:3]
.LBB2_1460:                             ;   in Loop: Header=BB2_49 Depth=1
	s_or_b64 exec, exec, s[22:23]
	v_mov_b32_e32 v0, v46
.LBB2_1461:                             ;   in Loop: Header=BB2_49 Depth=1
	s_or_b64 exec, exec, s[52:53]
	s_and_saveexec_b64 s[24:25], s[50:51]
	s_cbranch_execz .LBB2_48
; %bb.1462:                             ;   in Loop: Header=BB2_49 Depth=1
	v_and_b32_e32 v1, 12, v62
	v_cmp_ne_u32_e32 vcc, 0, v1
	s_mov_b64 s[50:51], -1
	s_and_saveexec_b64 s[22:23], vcc
	s_cbranch_execz .LBB2_1474
; %bb.1463:                             ;   in Loop: Header=BB2_49 Depth=1
	v_and_b32_e32 v10, 8, v62
	v_add_co_u32_e32 v2, vcc, v36, v10
	v_accvgpr_read_b32 v4, a12
	v_addc_co_u32_e32 v3, vcc, 0, v37, vcc
	v_accvgpr_read_b32 v6, a14
	v_accvgpr_read_b32 v7, a15
	v_add_co_u32_e32 v12, vcc, 1, v6
	v_addc_co_u32_e32 v13, vcc, 0, v7, vcc
	v_cmp_lt_u64_e32 vcc, v[2:3], v[12:13]
	v_mov_b32_e32 v1, 1
	v_accvgpr_read_b32 v5, a13
	s_and_saveexec_b64 s[50:51], vcc
	s_cbranch_execz .LBB2_1473
; %bb.1464:                             ;   in Loop: Header=BB2_49 Depth=1
	s_mov_b64 s[52:53], 0
	v_mov_b32_e32 v1, 0
                                        ; implicit-def: $sgpr54_sgpr55
	s_branch .LBB2_1468
.LBB2_1465:                             ;   in Loop: Header=BB2_1468 Depth=2
	s_or_b64 exec, exec, s[62:63]
	v_mov_b32_e32 v2, 0
	s_orn2_b64 s[60:61], s[60:61], exec
.LBB2_1466:                             ;   in Loop: Header=BB2_1468 Depth=2
	s_or_b64 exec, exec, s[58:59]
	s_andn2_b64 vcc, s[54:55], exec
	s_and_b64 s[54:55], s[60:61], exec
	s_or_b64 s[54:55], vcc, s[54:55]
	v_mov_b32_e32 v1, v2
.LBB2_1467:                             ;   in Loop: Header=BB2_1468 Depth=2
	s_or_b64 exec, exec, s[56:57]
	s_waitcnt vmcnt(0) lgkmcnt(0)
	v_add_co_u32_e32 v2, vcc, v36, v10
	v_addc_co_u32_e32 v3, vcc, 0, v37, vcc
	v_cmp_ge_u64_e32 vcc, v[2:3], v[12:13]
	s_xor_b64 s[56:57], s[54:55], -1
	s_or_b64 vcc, s[56:57], vcc
	s_and_b64 vcc, exec, vcc
	s_or_b64 s[52:53], vcc, s[52:53]
	s_andn2_b64 exec, exec, s[52:53]
	s_cbranch_execz .LBB2_1472
.LBB2_1468:                             ;   Parent Loop BB2_49 Depth=1
                                        ; =>  This Inner Loop Header: Depth=2
	s_sleep 1
	flat_load_dwordx2 v[36:37], v[32:33] glc
	v_and_b32_e32 v2, 64, v62
	v_cmp_eq_u32_e32 vcc, 0, v2
	s_andn2_b64 s[54:55], s[54:55], exec
	s_and_saveexec_b64 s[56:57], vcc
	s_cbranch_execz .LBB2_1467
; %bb.1469:                             ;   in Loop: Header=BB2_1468 Depth=2
	v_add_u32_e32 v2, 1, v1
	v_cmp_lt_i32_e32 vcc, s72, v1
	s_mov_b64 s[60:61], -1
	s_and_saveexec_b64 s[58:59], vcc
	s_cbranch_execz .LBB2_1466
; %bb.1470:                             ;   in Loop: Header=BB2_1468 Depth=2
	s_trap 2
	ds_read_b64 v[2:3], v0
	s_waitcnt vmcnt(0) lgkmcnt(0)
	flat_load_dword v1, v[2:3] glc
	s_waitcnt vmcnt(0) lgkmcnt(0)
	buffer_invl2
	buffer_wbinvl1_vol
	v_cmp_ne_u32_e32 vcc, 0, v1
	s_and_saveexec_b64 s[62:63], vcc
	s_cbranch_execz .LBB2_1465
; %bb.1471:                             ;   in Loop: Header=BB2_1468 Depth=2
	v_or_b32_e32 v62, 64, v62
	s_xor_b64 s[60:61], exec, -1
	ds_write_b32 v0, v1
	s_trap 2
	s_branch .LBB2_1465
.LBB2_1472:                             ;   in Loop: Header=BB2_49 Depth=1
	s_or_b64 exec, exec, s[52:53]
	v_and_b32_e32 v1, 12, v62
.LBB2_1473:                             ;   in Loop: Header=BB2_49 Depth=1
	s_or_b64 exec, exec, s[50:51]
	v_cmp_eq_u32_e32 vcc, 0, v1
	s_orn2_b64 s[50:51], vcc, exec
	;;#ASMSTART
	s_wakeup
	;;#ASMEND
.LBB2_1474:                             ;   in Loop: Header=BB2_49 Depth=1
	s_or_b64 exec, exec, s[22:23]
	v_sub_u32_e32 v0, v54, v0
	s_xor_b64 s[22:23], s[50:51], -1
	v_min_i32_e32 v10, v46, v0
	s_and_saveexec_b64 s[50:51], s[22:23]
	s_cbranch_execz .LBB2_1486
; %bb.1475:                             ;   in Loop: Header=BB2_49 Depth=1
	v_and_b32_e32 v0, 0x108, v62
	v_cmp_ne_u32_e32 vcc, s73, v0
	v_accvgpr_read_b32 v0, a12
	v_accvgpr_read_b32 v2, a14
	v_and_b32_e32 v12, 7, v2
	v_accvgpr_read_b32 v1, a13
	v_accvgpr_read_b32 v3, a15
	s_and_saveexec_b64 s[22:23], vcc
	s_xor_b64 s[22:23], exec, s[22:23]
	s_andn2_saveexec_b64 s[22:23], s[22:23]
	s_cbranch_execz .LBB2_1477
; %bb.1476:                             ;   in Loop: Header=BB2_49 Depth=1
	v_accvgpr_read_b32 v0, a12
	v_accvgpr_read_b32 v1, a13
	v_mad_u64_u32 v[0:1], vcc, v12, 24, v[0:1]
	v_ashrrev_i32_e32 v11, 31, v10
	v_accvgpr_read_b32 v2, a14
	v_accvgpr_read_b32 v3, a15
	flat_store_dwordx2 v[0:1], v[10:11] offset:8
.LBB2_1477:                             ;   in Loop: Header=BB2_49 Depth=1
	s_or_b64 exec, exec, s[22:23]
	v_and_b32_e32 v0, 0x100, v62
	v_cmp_ne_u32_e32 vcc, 0, v0
	s_mov_b64 s[22:23], -1
                                        ; implicit-def: $vgpr2_vgpr3
	s_and_saveexec_b64 s[52:53], vcc
	s_cbranch_execz .LBB2_1481
; %bb.1478:                             ;   in Loop: Header=BB2_49 Depth=1
	v_accvgpr_read_b32 v0, a12
	v_accvgpr_read_b32 v1, a13
	v_mad_u64_u32 v[14:15], s[22:23], v12, 24, v[0:1]
	v_mov_b32_e32 v0, v15
	v_mad_u64_u32 v[0:1], s[22:23], v57, 24, v[0:1]
	v_mov_b32_e32 v15, v0
	flat_load_dword v0, v[14:15]
	v_accvgpr_read_b32 v2, a14
	v_accvgpr_read_b32 v3, a15
                                        ; implicit-def: $vgpr2_vgpr3
	s_waitcnt vmcnt(0) lgkmcnt(0)
	v_cmp_ne_u32_e32 vcc, 1, v0
	v_cmp_eq_u32_e64 s[22:23], 1, v0
	s_and_saveexec_b64 s[54:55], s[22:23]
	s_cbranch_execz .LBB2_1480
; %bb.1479:                             ;   in Loop: Header=BB2_49 Depth=1
	flat_load_dword v2, v[14:15] offset:4 glc
	s_waitcnt vmcnt(0) lgkmcnt(0)
	v_ashrrev_i32_e32 v3, 31, v2
.LBB2_1480:                             ;   in Loop: Header=BB2_49 Depth=1
	s_or_b64 exec, exec, s[54:55]
	s_orn2_b64 s[22:23], vcc, exec
.LBB2_1481:                             ;   in Loop: Header=BB2_49 Depth=1
	s_or_b64 exec, exec, s[52:53]
	s_and_saveexec_b64 vcc, s[22:23]
; %bb.1482:                             ;   in Loop: Header=BB2_49 Depth=1
	v_accvgpr_read_b32 v2, a16
	v_mul_lo_u32 v0, v57, v2
	v_mul_lo_u32 v1, v12, v29
	v_mad_u64_u32 v[2:3], s[22:23], v12, v2, 0
	v_add3_u32 v3, v3, v1, v0
; %bb.1483:                             ;   in Loop: Header=BB2_49 Depth=1
	s_or_b64 exec, exec, vcc
	v_add_co_u32_e32 v0, vcc, v42, v2
	v_addc_co_u32_e32 v1, vcc, v43, v3, vcc
	s_trap 2
	ds_write_b64 v0, v[0:1]
	v_and_b32_e32 v0, 0x2000, v62
	v_cmp_ne_u32_e32 vcc, 0, v0
	s_and_saveexec_b64 s[22:23], vcc
	s_cbranch_execz .LBB2_1485
; %bb.1484:                             ;   in Loop: Header=BB2_49 Depth=1
	ds_read_b64 v[0:1], v0 offset:584
	s_waitcnt lgkmcnt(0)
	v_add_co_u32_e32 v0, vcc, 1, v0
	v_addc_co_u32_e32 v1, vcc, 0, v1, vcc
	ds_write_b64 v0, v[0:1] offset:584
.LBB2_1485:                             ;   in Loop: Header=BB2_49 Depth=1
	s_or_b64 exec, exec, s[22:23]
	v_accvgpr_read_b32 v0, a12
	v_accvgpr_read_b32 v2, a14
	;; [unrolled: 1-line block ×3, first 2 shown]
	v_add_co_u32_e32 v2, vcc, 1, v2
	v_addc_co_u32_e32 v3, vcc, 0, v3, vcc
	v_accvgpr_read_b32 v1, a13
	v_accvgpr_write_b32 a15, v3
	v_accvgpr_write_b32 a14, v2
	;; [unrolled: 1-line block ×4, first 2 shown]
.LBB2_1486:                             ;   in Loop: Header=BB2_49 Depth=1
	s_or_b64 exec, exec, s[50:51]
	s_and_saveexec_b64 s[22:23], s[12:13]
	s_cbranch_execz .LBB2_1505
; %bb.1487:                             ;   in Loop: Header=BB2_49 Depth=1
	s_and_saveexec_b64 vcc, s[36:37]
	s_xor_b64 s[50:51], exec, vcc
	s_cbranch_execz .LBB2_1502
; %bb.1488:                             ;   in Loop: Header=BB2_49 Depth=1
	s_and_saveexec_b64 s[52:53], s[14:15]
	s_cbranch_execz .LBB2_1501
; %bb.1489:                             ;   in Loop: Header=BB2_49 Depth=1
	s_mov_b64 s[56:57], exec
	v_mbcnt_lo_u32_b32 v0, s56, 0
	v_mbcnt_hi_u32_b32 v0, s57, v0
	v_cmp_eq_u32_e32 vcc, 0, v0
	s_waitcnt vmcnt(0) lgkmcnt(0)
	buffer_wbinvl1_vol
	s_and_saveexec_b64 s[54:55], vcc
	s_cbranch_execz .LBB2_1491
; %bb.1490:                             ;   in Loop: Header=BB2_49 Depth=1
	s_bcnt1_i32_b64 vcc_lo, s[56:57]
	v_mov_b32_e32 v56, vcc_lo
	ds_add_u64 v0, v[56:57]
	s_trap 2
.LBB2_1491:                             ;   in Loop: Header=BB2_49 Depth=1
	s_or_b64 exec, exec, s[54:55]
	s_trap 2
	ds_read_b64 v[0:1], v0
	v_add_co_u32_e32 v38, vcc, v38, v28
	v_addc_co_u32_e32 v39, vcc, 0, v39, vcc
	s_waitcnt lgkmcnt(0)
	v_cmp_lt_u64_e32 vcc, v[0:1], v[38:39]
	s_and_saveexec_b64 s[54:55], vcc
	s_cbranch_execz .LBB2_1500
; %bb.1492:                             ;   in Loop: Header=BB2_49 Depth=1
	s_mov_b32 s66, 0
	s_mov_b64 s[56:57], 0
                                        ; implicit-def: $sgpr58_sgpr59
                                        ; implicit-def: $sgpr60_sgpr61
	s_branch .LBB2_1494
.LBB2_1493:                             ;   in Loop: Header=BB2_1494 Depth=2
	s_or_b64 exec, exec, s[64:65]
	s_and_b64 vcc, exec, vcc
	s_or_b64 s[56:57], vcc, s[56:57]
	s_andn2_b64 vcc, s[58:59], exec
	s_and_b64 s[58:59], s[60:61], exec
	s_or_b64 s[58:59], vcc, s[58:59]
	s_andn2_b64 exec, exec, s[56:57]
	s_cbranch_execz .LBB2_1498
.LBB2_1494:                             ;   Parent Loop BB2_49 Depth=1
                                        ; =>  This Inner Loop Header: Depth=2
	s_add_i32 s66, s66, 1
	s_cmpk_lg_i32 s66, 0x2710
	s_cselect_b64 s[62:63], -1, 0
	s_and_b64 vcc, exec, s[62:63]
                                        ; implicit-def: $sgpr64_sgpr65
	s_cbranch_vccnz .LBB2_1496
; %bb.1495:                             ;   in Loop: Header=BB2_1494 Depth=2
	s_trap 2
	ds_read_b64 v[0:1], v0
	s_andn2_b64 s[62:63], s[62:63], exec
	s_mov_b32 s66, 0
	s_mov_b64 s[64:65], -1
	s_waitcnt lgkmcnt(0)
	flat_load_dword v0, v[0:1] glc
	s_waitcnt vmcnt(0) lgkmcnt(0)
	buffer_invl2
	buffer_wbinvl1_vol
	v_cmp_eq_u32_e32 vcc, 0, v0
	s_and_b64 vcc, vcc, exec
	s_or_b64 s[62:63], s[62:63], vcc
.LBB2_1496:                             ;   in Loop: Header=BB2_1494 Depth=2
	s_andn2_b64 s[60:61], s[60:61], exec
	s_and_b64 s[64:65], s[64:65], exec
	s_mov_b64 vcc, -1
	s_or_b64 s[60:61], s[60:61], s[64:65]
	s_and_saveexec_b64 s[64:65], s[62:63]
	s_cbranch_execz .LBB2_1493
; %bb.1497:                             ;   in Loop: Header=BB2_1494 Depth=2
	s_sleep 1
	s_trap 2
	ds_read_b64 v[0:1], v0
	s_andn2_b64 s[60:61], s[60:61], exec
	s_waitcnt lgkmcnt(0)
	v_cmp_ge_u64_e32 vcc, v[0:1], v[38:39]
	s_orn2_b64 vcc, vcc, exec
	s_branch .LBB2_1493
.LBB2_1498:                             ;   in Loop: Header=BB2_49 Depth=1
	s_or_b64 exec, exec, s[56:57]
	s_and_saveexec_b64 vcc, s[58:59]
	s_xor_b64 vcc, exec, vcc
	s_cbranch_execz .LBB2_1500
; %bb.1499:                             ;   in Loop: Header=BB2_49 Depth=1
	ds_write_b32 v0, v53
	s_trap 2
.LBB2_1500:                             ;   in Loop: Header=BB2_49 Depth=1
	s_or_b64 exec, exec, s[54:55]
	;;#ASMSTART
	s_wakeup
	;;#ASMEND
.LBB2_1501:                             ;   in Loop: Header=BB2_49 Depth=1
	s_or_b64 exec, exec, s[52:53]
.LBB2_1502:                             ;   in Loop: Header=BB2_49 Depth=1
	s_andn2_saveexec_b64 vcc, s[50:51]
	s_cbranch_execz .LBB2_1504
; %bb.1503:                             ;   in Loop: Header=BB2_49 Depth=1
	s_waitcnt vmcnt(0) lgkmcnt(0)
	buffer_wbinvl1_vol
	s_barrier
.LBB2_1504:                             ;   in Loop: Header=BB2_49 Depth=1
	s_or_b64 exec, exec, vcc
.LBB2_1505:                             ;   in Loop: Header=BB2_49 Depth=1
	s_or_b64 exec, exec, s[22:23]
	s_trap 2
	ds_read_b32 v1, v0
	v_cmp_lt_i32_e32 vcc, 0, v10
	v_and_b32_e32 v0, 16, v62
	s_waitcnt lgkmcnt(0)
	v_readfirstlane_b32 s22, v1
	s_cmp_eq_u32 s22, 0
	s_cselect_b64 s[22:23], -1, 0
	s_and_b64 s[22:23], vcc, s[22:23]
	v_cmp_ne_u32_e32 vcc, 0, v0
	s_and_b64 vcc, vcc, s[22:23]
	s_and_saveexec_b64 s[22:23], vcc
	s_cbranch_execz .LBB2_1507
; %bb.1506:                             ;   in Loop: Header=BB2_49 Depth=1
	s_waitcnt vmcnt(0)
	buffer_wbinvl1_vol
.LBB2_1507:                             ;   in Loop: Header=BB2_49 Depth=1
	s_or_b64 exec, exec, s[22:23]
	v_cmp_ne_u32_e32 vcc, 0, v0
	s_xor_b64 s[22:23], s[20:21], -1
	s_and_b64 vcc, vcc, s[22:23]
	s_and_saveexec_b64 s[22:23], vcc
	s_cbranch_execz .LBB2_1509
; %bb.1508:                             ;   in Loop: Header=BB2_49 Depth=1
	v_accvgpr_read_b32 v0, a22
	v_accvgpr_read_b32 v1, a23
	flat_store_dword v[0:1], v53
.LBB2_1509:                             ;   in Loop: Header=BB2_49 Depth=1
	s_or_b64 exec, exec, s[22:23]
	v_and_b32_e32 v0, 48, v62
	v_cmp_ne_u32_e32 vcc, 0, v0
	s_and_saveexec_b64 s[22:23], vcc
	s_cbranch_execz .LBB2_47
; %bb.1510:                             ;   in Loop: Header=BB2_49 Depth=1
	v_accvgpr_read_b32 v0, a12
	v_accvgpr_read_b32 v2, a14
	;; [unrolled: 1-line block ×3, first 2 shown]
	v_add_co_u32_e32 v2, vcc, 1, v2
	v_addc_co_u32_e32 v3, vcc, 0, v3, vcc
	v_accvgpr_read_b32 v1, a13
	v_accvgpr_write_b32 a15, v3
	v_accvgpr_write_b32 a14, v2
	;; [unrolled: 1-line block ×4, first 2 shown]
	flat_store_dwordx2 v[32:33], v[2:3]
	s_branch .LBB2_47
.LBB2_1511:
	s_or_b64 exec, exec, s[38:39]
	v_accvgpr_read_b32 v47, a11
	v_accvgpr_read_b32 v51, a15
	;; [unrolled: 1-line block ×9, first 2 shown]
.LBB2_1512:
	s_or_b64 exec, exec, s[34:35]
                                        ; implicit-def: $vgpr58_vgpr59
                                        ; implicit-def: $vgpr44_vgpr45
                                        ; implicit-def: $vgpr56
                                        ; implicit-def: $vgpr36_vgpr37
                                        ; implicit-def: $vgpr42_vgpr43
                                        ; implicit-def: $vgpr32_vgpr33
                                        ; implicit-def: $vgpr41
                                        ; implicit-def: $vgpr1
                                        ; implicit-def: $vgpr60_vgpr61
.LBB2_1513:
	s_andn2_saveexec_b64 s[22:23], s[30:31]
	s_cbranch_execz .LBB2_2974
; %bb.1514:
	v_pk_mov_b32 v[38:39], 0, 0
	s_and_saveexec_b64 s[24:25], s[6:7]
	s_cbranch_execz .LBB2_2973
; %bb.1515:
	v_and_b32_e32 v0, 63, v31
	v_cmp_eq_u32_e64 s[12:13], 0, v0
	v_ashrrev_i32_e32 v0, 31, v41
	v_lshrrev_b32_e32 v0, 26, v0
	v_add_u32_e32 v0, v41, v0
	v_ashrrev_i32_e32 v57, 6, v0
	v_and_b32_e32 v0, 0xffffffc0, v0
	v_sub_u32_e32 v3, v41, v0
	v_lshlrev_b32_e32 v0, 11, v57
	v_lshl_add_u32 v0, v3, 4, v0
	v_lshrrev_b32_e32 v2, 6, v54
	v_cmp_le_i32_e64 s[14:15], v3, v1
	v_accvgpr_write_b32 a24, v0
	v_ashrrev_i32_e32 v1, 31, v0
	v_mov_b32_e32 v0, 0xfffff800
	v_lshl_add_u32 v0, v2, 11, v0
	s_movk_i32 s18, 0x800
	v_accvgpr_write_b32 a25, v1
	v_ashrrev_i32_e32 v1, 31, v0
	v_add_co_u32_e64 v4, s[18:19], s18, v0
	v_addc_co_u32_e64 v0, s[18:19], 0, v1, s[18:19]
	v_accvgpr_write_b32 a27, v0
	v_lshlrev_b32_e32 v0, 10, v2
	v_accvgpr_write_b32 a28, v0
	v_add_u32_e32 v0, 0xfffffc00, v0
	s_movk_i32 s18, 0x400
	v_ashrrev_i32_e32 v1, 31, v0
	v_add_co_u32_e64 v0, s[18:19], s18, v0
	v_accvgpr_write_b32 a29, v0
	v_addc_co_u32_e64 v0, s[18:19], 0, v1, s[18:19]
	v_accvgpr_write_b32 a30, v0
	v_mov_b32_e32 v0, 0xffffff00
	s_ashr_i32 s6, s70, 31
	v_lshl_add_u32 v0, v2, 8, v0
	s_movk_i32 s18, 0x100
	s_waitcnt vmcnt(0) lgkmcnt(0)
	v_accvgpr_write_b32 a18, v42
	s_lshr_b32 s6, s6, 24
	v_ashrrev_i32_e32 v1, 31, v0
	v_add_co_u32_e64 v29, s[18:19], s18, v0
	v_and_b32_e32 v0, 0xffffffc0, v54
	v_accvgpr_write_b32 a19, v43
	v_accvgpr_write_b32 a12, v48
	s_add_i32 s6, s70, s6
	v_cmp_eq_u32_e32 vcc, 64, v54
	v_cmp_gt_i32_e64 s[16:17], 1, v3
	v_accvgpr_write_b32 a23, v3
	v_accvgpr_write_b32 a22, v2
	v_pk_mov_b32 v[2:3], v[60:61], v[60:61] op_sel:[0,1]
	v_addc_co_u32_e64 v61, s[18:19], 0, v1, s[18:19]
	v_ashrrev_i32_e32 v1, 31, v0
	v_pk_mov_b32 v[42:43], 0, 0
	s_mov_b32 s42, -1
	v_accvgpr_write_b32 a13, v49
	v_accvgpr_write_b32 a14, v50
	;; [unrolled: 1-line block ×3, first 2 shown]
	s_ashr_i32 s66, s6, 8
	v_cmp_ge_i32_e64 s[6:7], v41, v54
	v_cmp_ne_u32_e64 s[10:11], 64, v54
	v_cmp_ne_u32_sdwa s[30:31], v40, v54 src0_sel:WORD_0 src1_sel:DWORD
	v_mov_b32_e32 v53, 0
	v_mov_b32_e32 v60, v4
	v_accvgpr_write_b32 a32, v0
	v_accvgpr_write_b32 a33, v1
	s_mov_b64 s[34:35], 0
	s_movk_i32 s67, 0x270e
	s_xor_b64 s[36:37], vcc, -1
	s_movk_i32 s68, 0x80
	s_movk_i32 s69, 0x7f
	s_mov_b64 s[38:39], 0x7f800000
	s_mov_b64 s[40:41], 0x43e00001
	s_movk_i32 s71, 0x7a
	s_mov_b32 s43, 0xffffff
	s_mov_b64 s[44:45], 0xffffff
	s_mov_b32 s72, 0xc0c0500
	v_bfrev_b32_e32 v27, 60
	v_pk_mov_b32 v[38:39], v[42:43], v[42:43] op_sel:[0,1]
	s_trap 2
	s_branch .LBB2_1518
.LBB2_1516:                             ;   in Loop: Header=BB2_1518 Depth=1
	s_or_b64 exec, exec, s[18:19]
.LBB2_1517:                             ;   in Loop: Header=BB2_1518 Depth=1
	s_or_b64 exec, exec, s[20:21]
	v_accvgpr_read_b32 v2, a20
	v_add_co_u32_e32 v42, vcc, v42, v2
	v_addc_co_u32_e32 v43, vcc, 0, v43, vcc
	v_cmp_ge_u64_e32 vcc, v[42:43], v[44:45]
	v_accvgpr_read_b32 v3, a21
	s_or_b64 s[34:35], vcc, s[34:35]
	s_andn2_b64 exec, exec, s[34:35]
	s_cbranch_execz .LBB2_2972
.LBB2_1518:                             ; =>This Loop Header: Depth=1
                                        ;     Child Loop BB2_1529 Depth 2
                                        ;     Child Loop BB2_1551 Depth 2
	;; [unrolled: 1-line block ×10, first 2 shown]
	v_sub_co_u32_e32 v0, vcc, v44, v42
	v_subb_co_u32_e32 v1, vcc, v45, v43, vcc
	v_cmp_lt_u64_e32 vcc, v[2:3], v[0:1]
	v_cndmask_b32_e64 v7, v1, 0, vcc
	v_cndmask_b32_e32 v6, v0, v2, vcc
	v_add_u32_e32 v0, 15, v6
	v_cmp_eq_u64_e32 vcc, 0, v[6:7]
	v_accvgpr_write_b32 a21, v3
	v_and_b32_e32 v0, 0x7ffffff0, v0
	s_or_b64 s[46:47], s[6:7], vcc
	v_accvgpr_write_b32 a20, v2
	v_max_i32_e32 v30, s66, v0
	s_xor_b64 s[18:19], s[46:47], -1
	v_mov_b32_e32 v0, v53
	s_and_saveexec_b64 s[48:49], s[18:19]
	s_cbranch_execz .LBB2_2926
; %bb.1519:                             ;   in Loop: Header=BB2_1518 Depth=1
	s_mov_b64 s[18:19], exec
	s_and_b64 s[20:21], s[18:19], s[4:5]
	v_accvgpr_write_b32 a34, v6
	s_mov_b64 exec, s[20:21]
	s_cbranch_execz .LBB2_1521
; %bb.1520:                             ;   in Loop: Header=BB2_1518 Depth=1
	s_trap 2
	ds_read2_b64 v[0:3], v0 offset1:1
	v_add_co_u32_e32 v6, vcc, v42, v58
	v_addc_co_u32_e32 v7, vcc, v43, v59, vcc
	s_waitcnt lgkmcnt(0)
	ds_read_b64 v[4:5], v0
	v_add_co_u32_e32 v0, vcc, v0, v6
	v_addc_co_u32_e32 v1, vcc, v1, v7, vcc
	ds_write_b64 v0, v[0:1]
	v_add_co_u32_e32 v0, vcc, v2, v6
	v_addc_co_u32_e32 v1, vcc, v3, v7, vcc
	ds_write_b64 v0, v[0:1]
	s_waitcnt lgkmcnt(0)
	v_add_co_u32_e32 v0, vcc, v4, v6
	v_addc_co_u32_e32 v1, vcc, v5, v7, vcc
	v_cmp_ne_u64_e32 vcc, 0, v[4:5]
	v_accvgpr_read_b32 v6, a34
	v_cndmask_b32_e32 v1, 0, v1, vcc
	v_cndmask_b32_e32 v0, 0, v0, vcc
	ds_write_b64 v0, v[0:1]
.LBB2_1521:                             ;   in Loop: Header=BB2_1518 Depth=1
	s_or_b64 exec, exec, s[18:19]
	v_and_b32_e32 v0, 4, v62
	v_cmp_ne_u32_e32 vcc, 0, v0
	s_mov_b64 s[20:21], -1
	s_and_saveexec_b64 s[18:19], vcc
	s_cbranch_execnz .LBB2_1524
; %bb.1522:                             ;   in Loop: Header=BB2_1518 Depth=1
	s_or_b64 exec, exec, s[18:19]
	s_xor_b64 s[18:19], s[20:21], -1
	s_and_saveexec_b64 s[20:21], s[18:19]
	s_cbranch_execnz .LBB2_1535
.LBB2_1523:                             ;   in Loop: Header=BB2_1518 Depth=1
	s_or_b64 exec, exec, s[20:21]
	s_and_saveexec_b64 s[18:19], s[10:11]
	s_cbranch_execnz .LBB2_1544
	s_branch .LBB2_1562
.LBB2_1524:                             ;   in Loop: Header=BB2_1518 Depth=1
	v_accvgpr_read_b32 v0, a12
	v_accvgpr_read_b32 v2, a14
	;; [unrolled: 1-line block ×3, first 2 shown]
	v_add_co_u32_e32 v10, vcc, 1, v2
	v_addc_co_u32_e32 v11, vcc, 0, v3, vcc
	v_cmp_lt_u64_e32 vcc, v[36:37], v[10:11]
	v_mov_b32_e32 v0, 1
	v_accvgpr_read_b32 v1, a13
	s_and_saveexec_b64 s[20:21], vcc
	s_cbranch_execz .LBB2_1534
; %bb.1525:                             ;   in Loop: Header=BB2_1518 Depth=1
	s_mov_b64 s[50:51], 0
	v_mov_b32_e32 v0, 0
                                        ; implicit-def: $sgpr52_sgpr53
	s_branch .LBB2_1529
.LBB2_1526:                             ;   in Loop: Header=BB2_1529 Depth=2
	s_or_b64 exec, exec, s[60:61]
	v_mov_b32_e32 v1, 0
	s_orn2_b64 s[58:59], s[58:59], exec
.LBB2_1527:                             ;   in Loop: Header=BB2_1529 Depth=2
	s_or_b64 exec, exec, s[56:57]
	s_andn2_b64 vcc, s[52:53], exec
	s_and_b64 s[52:53], s[58:59], exec
	s_or_b64 s[52:53], vcc, s[52:53]
	v_mov_b32_e32 v0, v1
.LBB2_1528:                             ;   in Loop: Header=BB2_1529 Depth=2
	s_or_b64 exec, exec, s[54:55]
	s_waitcnt vmcnt(0) lgkmcnt(0)
	v_cmp_ge_u64_e32 vcc, v[36:37], v[10:11]
	s_xor_b64 s[54:55], s[52:53], -1
	s_or_b64 vcc, s[54:55], vcc
	s_and_b64 vcc, exec, vcc
	s_or_b64 s[50:51], vcc, s[50:51]
	s_andn2_b64 exec, exec, s[50:51]
	s_cbranch_execz .LBB2_1533
.LBB2_1529:                             ;   Parent Loop BB2_1518 Depth=1
                                        ; =>  This Inner Loop Header: Depth=2
	s_sleep 1
	flat_load_dwordx2 v[36:37], v[32:33] glc
	v_and_b32_e32 v1, 64, v62
	v_cmp_eq_u32_e32 vcc, 0, v1
	s_andn2_b64 s[52:53], s[52:53], exec
	s_and_saveexec_b64 s[54:55], vcc
	s_cbranch_execz .LBB2_1528
; %bb.1530:                             ;   in Loop: Header=BB2_1529 Depth=2
	v_add_u32_e32 v1, 1, v0
	v_cmp_lt_i32_e32 vcc, s67, v0
	s_mov_b64 s[58:59], -1
	s_and_saveexec_b64 s[56:57], vcc
	s_cbranch_execz .LBB2_1527
; %bb.1531:                             ;   in Loop: Header=BB2_1529 Depth=2
	s_trap 2
	ds_read_b64 v[0:1], v0
	s_waitcnt vmcnt(0) lgkmcnt(0)
	flat_load_dword v0, v[0:1] glc
	s_waitcnt vmcnt(0) lgkmcnt(0)
	buffer_invl2
	buffer_wbinvl1_vol
	v_cmp_ne_u32_e32 vcc, 0, v0
	s_and_saveexec_b64 s[60:61], vcc
	s_cbranch_execz .LBB2_1526
; %bb.1532:                             ;   in Loop: Header=BB2_1529 Depth=2
	v_or_b32_e32 v62, 64, v62
	s_xor_b64 s[58:59], exec, -1
	ds_write_b32 v0, v0
	s_trap 2
	s_branch .LBB2_1526
.LBB2_1533:                             ;   in Loop: Header=BB2_1518 Depth=1
	s_or_b64 exec, exec, s[50:51]
	v_and_b32_e32 v0, 4, v62
.LBB2_1534:                             ;   in Loop: Header=BB2_1518 Depth=1
	s_or_b64 exec, exec, s[20:21]
	v_cmp_eq_u32_e32 vcc, 0, v0
	s_orn2_b64 s[20:21], vcc, exec
	;;#ASMSTART
	s_wakeup
	;;#ASMEND
	s_or_b64 exec, exec, s[18:19]
	s_xor_b64 s[18:19], s[20:21], -1
	s_and_saveexec_b64 s[20:21], s[18:19]
	s_cbranch_execz .LBB2_1523
.LBB2_1535:                             ;   in Loop: Header=BB2_1518 Depth=1
	v_and_b32_e32 v0, 0x100, v62
	v_cmp_ne_u32_e32 vcc, 0, v0
	v_accvgpr_read_b32 v0, a12
	v_accvgpr_read_b32 v2, a14
	;; [unrolled: 1-line block ×3, first 2 shown]
	v_and_b32_e32 v0, 7, v2
	s_mov_b64 s[18:19], -1
	v_accvgpr_read_b32 v1, a13
                                        ; implicit-def: $vgpr2_vgpr3
	s_and_saveexec_b64 s[50:51], vcc
	s_cbranch_execz .LBB2_1539
; %bb.1536:                             ;   in Loop: Header=BB2_1518 Depth=1
	v_accvgpr_read_b32 v2, a12
	v_accvgpr_read_b32 v3, a13
	v_mad_u64_u32 v[10:11], s[18:19], v0, 24, v[2:3]
	flat_load_dword v1, v[10:11]
	v_accvgpr_read_b32 v4, a14
	v_accvgpr_read_b32 v5, a15
                                        ; implicit-def: $vgpr2_vgpr3
	s_waitcnt vmcnt(0) lgkmcnt(0)
	v_cmp_ne_u32_e32 vcc, 1, v1
	v_cmp_eq_u32_e64 s[18:19], 1, v1
	s_and_saveexec_b64 s[52:53], s[18:19]
	s_cbranch_execz .LBB2_1538
; %bb.1537:                             ;   in Loop: Header=BB2_1518 Depth=1
	flat_load_dword v2, v[10:11] offset:4 glc
	s_waitcnt vmcnt(0) lgkmcnt(0)
	v_ashrrev_i32_e32 v3, 31, v2
.LBB2_1538:                             ;   in Loop: Header=BB2_1518 Depth=1
	s_or_b64 exec, exec, s[52:53]
	s_orn2_b64 s[18:19], vcc, exec
.LBB2_1539:                             ;   in Loop: Header=BB2_1518 Depth=1
	s_or_b64 exec, exec, s[50:51]
	s_and_saveexec_b64 vcc, s[18:19]
; %bb.1540:                             ;   in Loop: Header=BB2_1518 Depth=1
	v_mad_i64_i32 v[2:3], s[18:19], v0, v56, 0
; %bb.1541:                             ;   in Loop: Header=BB2_1518 Depth=1
	s_or_b64 exec, exec, vcc
	v_accvgpr_read_b32 v0, a18
	v_accvgpr_read_b32 v1, a19
	v_add_co_u32_e32 v0, vcc, v0, v2
	v_addc_co_u32_e32 v1, vcc, v1, v3, vcc
	ds_write_b64 v0, v[0:1] offset:728
	v_and_b32_e32 v0, 0x2000, v62
	v_cmp_ne_u32_e32 vcc, 0, v0
	s_and_saveexec_b64 s[18:19], vcc
	s_cbranch_execz .LBB2_1543
; %bb.1542:                             ;   in Loop: Header=BB2_1518 Depth=1
	ds_read_b64 v[0:1], v0 offset:584
	s_waitcnt lgkmcnt(0)
	v_add_co_u32_e32 v0, vcc, 1, v0
	v_addc_co_u32_e32 v1, vcc, 0, v1, vcc
	ds_write_b64 v0, v[0:1] offset:584
.LBB2_1543:                             ;   in Loop: Header=BB2_1518 Depth=1
	s_or_b64 exec, exec, s[18:19]
	v_accvgpr_read_b32 v0, a12
	v_accvgpr_read_b32 v2, a14
	;; [unrolled: 1-line block ×3, first 2 shown]
	v_add_co_u32_e32 v2, vcc, 1, v2
	v_addc_co_u32_e32 v3, vcc, 0, v3, vcc
	v_accvgpr_read_b32 v1, a13
	v_accvgpr_write_b32 a15, v3
	v_accvgpr_write_b32 a14, v2
	;; [unrolled: 1-line block ×4, first 2 shown]
	s_or_b64 exec, exec, s[20:21]
	s_and_saveexec_b64 s[18:19], s[10:11]
	s_cbranch_execz .LBB2_1562
.LBB2_1544:                             ;   in Loop: Header=BB2_1518 Depth=1
	s_and_saveexec_b64 s[20:21], s[30:31]
	s_xor_b64 s[20:21], exec, s[20:21]
	s_cbranch_execz .LBB2_1559
; %bb.1545:                             ;   in Loop: Header=BB2_1518 Depth=1
	s_and_saveexec_b64 s[50:51], s[12:13]
	s_cbranch_execz .LBB2_1558
; %bb.1546:                             ;   in Loop: Header=BB2_1518 Depth=1
	s_mov_b64 s[54:55], exec
	v_mbcnt_lo_u32_b32 v0, s54, 0
	v_mbcnt_hi_u32_b32 v0, s55, v0
	v_cmp_eq_u32_e32 vcc, 0, v0
	s_waitcnt vmcnt(0) lgkmcnt(0)
	buffer_wbinvl1_vol
	s_and_saveexec_b64 s[52:53], vcc
	s_cbranch_execz .LBB2_1548
; %bb.1547:                             ;   in Loop: Header=BB2_1518 Depth=1
	s_bcnt1_i32_b64 vcc_lo, s[54:55]
	v_mov_b32_e32 v52, vcc_lo
	ds_add_u64 v0, v[52:53]
	s_trap 2
.LBB2_1548:                             ;   in Loop: Header=BB2_1518 Depth=1
	s_or_b64 exec, exec, s[52:53]
	s_trap 2
	ds_read_b64 v[0:1], v0
	v_accvgpr_read_b32 v2, a22
	v_add_co_u32_e32 v38, vcc, v38, v2
	v_addc_co_u32_e32 v39, vcc, 0, v39, vcc
	s_waitcnt lgkmcnt(0)
	v_cmp_lt_u64_e32 vcc, v[0:1], v[38:39]
	s_and_saveexec_b64 s[52:53], vcc
	s_cbranch_execz .LBB2_1557
; %bb.1549:                             ;   in Loop: Header=BB2_1518 Depth=1
	s_mov_b32 s64, 0
	s_mov_b64 s[54:55], 0
                                        ; implicit-def: $sgpr56_sgpr57
                                        ; implicit-def: $sgpr58_sgpr59
	s_branch .LBB2_1551
.LBB2_1550:                             ;   in Loop: Header=BB2_1551 Depth=2
	s_or_b64 exec, exec, s[62:63]
	s_and_b64 vcc, exec, vcc
	s_or_b64 s[54:55], vcc, s[54:55]
	s_andn2_b64 vcc, s[56:57], exec
	s_and_b64 s[56:57], s[58:59], exec
	s_or_b64 s[56:57], vcc, s[56:57]
	s_andn2_b64 exec, exec, s[54:55]
	s_cbranch_execz .LBB2_1555
.LBB2_1551:                             ;   Parent Loop BB2_1518 Depth=1
                                        ; =>  This Inner Loop Header: Depth=2
	s_add_i32 s64, s64, 1
	s_cmpk_lg_i32 s64, 0x2710
	s_cselect_b64 s[60:61], -1, 0
	s_and_b64 vcc, exec, s[60:61]
                                        ; implicit-def: $sgpr62_sgpr63
	s_cbranch_vccnz .LBB2_1553
; %bb.1552:                             ;   in Loop: Header=BB2_1551 Depth=2
	s_trap 2
	ds_read_b64 v[0:1], v0
	s_andn2_b64 s[60:61], s[60:61], exec
	s_mov_b32 s64, 0
	s_mov_b64 s[62:63], -1
	s_waitcnt lgkmcnt(0)
	flat_load_dword v0, v[0:1] glc
	s_waitcnt vmcnt(0) lgkmcnt(0)
	buffer_invl2
	buffer_wbinvl1_vol
	v_cmp_eq_u32_e32 vcc, 0, v0
	s_and_b64 vcc, vcc, exec
	s_or_b64 s[60:61], s[60:61], vcc
.LBB2_1553:                             ;   in Loop: Header=BB2_1551 Depth=2
	s_andn2_b64 s[58:59], s[58:59], exec
	s_and_b64 s[62:63], s[62:63], exec
	s_mov_b64 vcc, -1
	s_or_b64 s[58:59], s[58:59], s[62:63]
	s_and_saveexec_b64 s[62:63], s[60:61]
	s_cbranch_execz .LBB2_1550
; %bb.1554:                             ;   in Loop: Header=BB2_1551 Depth=2
	s_sleep 1
	s_trap 2
	ds_read_b64 v[0:1], v0
	s_andn2_b64 s[58:59], s[58:59], exec
	s_waitcnt lgkmcnt(0)
	v_cmp_ge_u64_e32 vcc, v[0:1], v[38:39]
	s_orn2_b64 vcc, vcc, exec
	s_branch .LBB2_1550
.LBB2_1555:                             ;   in Loop: Header=BB2_1518 Depth=1
	s_or_b64 exec, exec, s[54:55]
	s_and_saveexec_b64 vcc, s[56:57]
	s_xor_b64 vcc, exec, vcc
	s_cbranch_execz .LBB2_1557
; %bb.1556:                             ;   in Loop: Header=BB2_1518 Depth=1
	v_mov_b32_e32 v0, 1
	ds_write_b32 v0, v0
	s_trap 2
.LBB2_1557:                             ;   in Loop: Header=BB2_1518 Depth=1
	s_or_b64 exec, exec, s[52:53]
	;;#ASMSTART
	s_wakeup
	;;#ASMEND
.LBB2_1558:                             ;   in Loop: Header=BB2_1518 Depth=1
	s_or_b64 exec, exec, s[50:51]
.LBB2_1559:                             ;   in Loop: Header=BB2_1518 Depth=1
	s_andn2_saveexec_b64 s[20:21], s[20:21]
	s_cbranch_execz .LBB2_1561
; %bb.1560:                             ;   in Loop: Header=BB2_1518 Depth=1
	s_waitcnt vmcnt(0) lgkmcnt(0)
	buffer_wbinvl1_vol
	s_barrier
.LBB2_1561:                             ;   in Loop: Header=BB2_1518 Depth=1
	s_or_b64 exec, exec, s[20:21]
.LBB2_1562:                             ;   in Loop: Header=BB2_1518 Depth=1
	s_or_b64 exec, exec, s[18:19]
	s_trap 2
	ds_read_b32 v0, v0
	v_and_b32_e32 v1, 0x4000, v62
	v_cmp_ne_u32_e32 vcc, 0, v1
	s_and_b64 s[20:21], s[36:37], vcc
	s_and_saveexec_b64 s[18:19], s[20:21]
	s_cbranch_execz .LBB2_1581
; %bb.1563:                             ;   in Loop: Header=BB2_1518 Depth=1
	s_and_saveexec_b64 s[20:21], s[30:31]
	s_xor_b64 s[20:21], exec, s[20:21]
	s_cbranch_execz .LBB2_1578
; %bb.1564:                             ;   in Loop: Header=BB2_1518 Depth=1
	s_and_saveexec_b64 s[50:51], s[12:13]
	s_cbranch_execz .LBB2_1577
; %bb.1565:                             ;   in Loop: Header=BB2_1518 Depth=1
	s_mov_b64 s[54:55], exec
	v_mbcnt_lo_u32_b32 v1, s54, 0
	v_mbcnt_hi_u32_b32 v1, s55, v1
	v_cmp_eq_u32_e32 vcc, 0, v1
	s_waitcnt vmcnt(0) lgkmcnt(0)
	buffer_wbinvl1_vol
	s_and_saveexec_b64 s[52:53], vcc
	s_cbranch_execz .LBB2_1567
; %bb.1566:                             ;   in Loop: Header=BB2_1518 Depth=1
	s_bcnt1_i32_b64 vcc_lo, s[54:55]
	v_mov_b32_e32 v52, vcc_lo
	ds_add_u64 v0, v[52:53]
	s_trap 2
.LBB2_1567:                             ;   in Loop: Header=BB2_1518 Depth=1
	s_or_b64 exec, exec, s[52:53]
	s_trap 2
	ds_read_b64 v[2:3], v0
	v_accvgpr_read_b32 v4, a22
	v_add_co_u32_e32 v38, vcc, v38, v4
	v_addc_co_u32_e32 v39, vcc, 0, v39, vcc
	s_waitcnt lgkmcnt(0)
	v_cmp_lt_u64_e32 vcc, v[2:3], v[38:39]
	s_and_saveexec_b64 s[52:53], vcc
	s_cbranch_execz .LBB2_1576
; %bb.1568:                             ;   in Loop: Header=BB2_1518 Depth=1
	s_mov_b32 s64, 0
	s_mov_b64 s[54:55], 0
                                        ; implicit-def: $sgpr56_sgpr57
                                        ; implicit-def: $sgpr58_sgpr59
	s_branch .LBB2_1570
.LBB2_1569:                             ;   in Loop: Header=BB2_1570 Depth=2
	s_or_b64 exec, exec, s[62:63]
	s_and_b64 vcc, exec, vcc
	s_or_b64 s[54:55], vcc, s[54:55]
	s_andn2_b64 vcc, s[56:57], exec
	s_and_b64 s[56:57], s[58:59], exec
	s_or_b64 s[56:57], vcc, s[56:57]
	s_andn2_b64 exec, exec, s[54:55]
	s_cbranch_execz .LBB2_1574
.LBB2_1570:                             ;   Parent Loop BB2_1518 Depth=1
                                        ; =>  This Inner Loop Header: Depth=2
	s_add_i32 s64, s64, 1
	s_cmpk_lg_i32 s64, 0x2710
	s_cselect_b64 s[60:61], -1, 0
	s_and_b64 vcc, exec, s[60:61]
                                        ; implicit-def: $sgpr62_sgpr63
	s_cbranch_vccnz .LBB2_1572
; %bb.1571:                             ;   in Loop: Header=BB2_1570 Depth=2
	s_trap 2
	ds_read_b64 v[2:3], v0
	s_andn2_b64 s[60:61], s[60:61], exec
	s_mov_b32 s64, 0
	s_mov_b64 s[62:63], -1
	s_waitcnt lgkmcnt(0)
	flat_load_dword v1, v[2:3] glc
	s_waitcnt vmcnt(0) lgkmcnt(0)
	buffer_invl2
	buffer_wbinvl1_vol
	v_cmp_eq_u32_e32 vcc, 0, v1
	s_and_b64 vcc, vcc, exec
	s_or_b64 s[60:61], s[60:61], vcc
.LBB2_1572:                             ;   in Loop: Header=BB2_1570 Depth=2
	s_andn2_b64 s[58:59], s[58:59], exec
	s_and_b64 s[62:63], s[62:63], exec
	s_mov_b64 vcc, -1
	s_or_b64 s[58:59], s[58:59], s[62:63]
	s_and_saveexec_b64 s[62:63], s[60:61]
	s_cbranch_execz .LBB2_1569
; %bb.1573:                             ;   in Loop: Header=BB2_1570 Depth=2
	s_sleep 1
	s_trap 2
	ds_read_b64 v[2:3], v0
	s_andn2_b64 s[58:59], s[58:59], exec
	s_waitcnt lgkmcnt(0)
	v_cmp_ge_u64_e32 vcc, v[2:3], v[38:39]
	s_orn2_b64 vcc, vcc, exec
	s_branch .LBB2_1569
.LBB2_1574:                             ;   in Loop: Header=BB2_1518 Depth=1
	s_or_b64 exec, exec, s[54:55]
	s_and_saveexec_b64 vcc, s[56:57]
	s_xor_b64 vcc, exec, vcc
	s_cbranch_execz .LBB2_1576
; %bb.1575:                             ;   in Loop: Header=BB2_1518 Depth=1
	v_mov_b32_e32 v1, 1
	ds_write_b32 v0, v1
	s_trap 2
.LBB2_1576:                             ;   in Loop: Header=BB2_1518 Depth=1
	s_or_b64 exec, exec, s[52:53]
	;;#ASMSTART
	s_wakeup
	;;#ASMEND
.LBB2_1577:                             ;   in Loop: Header=BB2_1518 Depth=1
	s_or_b64 exec, exec, s[50:51]
.LBB2_1578:                             ;   in Loop: Header=BB2_1518 Depth=1
	s_andn2_saveexec_b64 s[20:21], s[20:21]
	s_cbranch_execz .LBB2_1580
; %bb.1579:                             ;   in Loop: Header=BB2_1518 Depth=1
	s_waitcnt vmcnt(0) lgkmcnt(0)
	buffer_wbinvl1_vol
	s_barrier
.LBB2_1580:                             ;   in Loop: Header=BB2_1518 Depth=1
	s_or_b64 exec, exec, s[20:21]
.LBB2_1581:                             ;   in Loop: Header=BB2_1518 Depth=1
	s_or_b64 exec, exec, s[18:19]
	s_trap 2
	s_waitcnt lgkmcnt(0)
	ds_read_b64 v[2:3], v0
	v_min_u32_e32 v30, v30, v6
	s_waitcnt lgkmcnt(0)
	v_readfirstlane_b32 s18, v2
	v_readfirstlane_b32 s19, v3
	s_cmp_eq_u64 s[18:19], 0
	s_cselect_b64 s[18:19], -1, 0
	s_or_b64 s[20:21], s[18:19], s[18:19]
	s_mov_b64 s[18:19], 0
	s_and_b64 vcc, exec, s[20:21]
	s_cbranch_vccnz .LBB2_2902
; %bb.1582:                             ;   in Loop: Header=BB2_1518 Depth=1
	s_mov_b64 s[20:21], -1
	s_and_saveexec_b64 s[18:19], s[14:15]
	s_cbranch_execz .LBB2_1584
; %bb.1583:                             ;   in Loop: Header=BB2_1518 Depth=1
	ds_read_b32 v1, v0 offset:720
	s_waitcnt lgkmcnt(0)
	v_and_b32_e32 v1, 15, v1
	v_cmp_eq_u32_e32 vcc, 0, v1
	s_orn2_b64 s[20:21], vcc, exec
.LBB2_1584:                             ;   in Loop: Header=BB2_1518 Depth=1
	s_or_b64 exec, exec, s[18:19]
	s_and_saveexec_b64 s[18:19], s[16:17]
	s_cbranch_execz .LBB2_1586
; %bb.1585:                             ;   in Loop: Header=BB2_1518 Depth=1
	ds_read_b32 v1, v0 offset:784
	s_waitcnt lgkmcnt(0)
	v_and_b32_e32 v1, 15, v1
	v_cmp_eq_u32_e32 vcc, 0, v1
	s_and_b64 vcc, s[20:21], vcc
	s_andn2_b64 s[20:21], s[20:21], exec
	s_and_b64 vcc, vcc, exec
	s_or_b64 s[20:21], s[20:21], vcc
.LBB2_1586:                             ;   in Loop: Header=BB2_1518 Depth=1
	s_or_b64 exec, exec, s[18:19]
	v_cmp_eq_u32_e32 vcc, 0, v0
	s_xor_b64 s[20:21], s[20:21], -1
	v_cndmask_b32_e32 v17, 0, v30, vcc
	v_cndmask_b32_e64 v0, 0, 1, s[20:21]
	v_mov_b32_e32 v16, 0
	s_mov_b64 s[18:19], -1
	;;#ASMSTART
	;;#ASMEND
	v_cmp_ne_u32_e32 vcc, 0, v0
	v_accvgpr_write_b32 a36, v17
	v_mov_b32_e32 v18, v41
	v_mov_b32_e32 v2, v57
	s_cbranch_vccz .LBB2_1588
; %bb.1587:                             ;   in Loop: Header=BB2_1518 Depth=1
	s_and_saveexec_b64 s[20:21], s[18:19]
	s_cbranch_execnz .LBB2_2753
	s_branch .LBB2_2901
.LBB2_1588:                             ;   in Loop: Header=BB2_1518 Depth=1
	v_accvgpr_read_b32 v0, a36
	v_lshrrev_b32_e32 v0, 11, v0
	v_accvgpr_write_b32 a35, v30
	v_sub_u32_e32 v30, v0, v57
	v_accvgpr_write_b32 a31, v29
	v_cmp_lt_i32_e32 vcc, 0, v30
	s_and_saveexec_b64 s[20:21], vcc
	s_cbranch_execz .LBB2_2360
; %bb.1589:                             ;   in Loop: Header=BB2_1518 Depth=1
	s_trap 2
	ds_read_b128 v[0:3], v0
	v_accvgpr_write_b32 a10, v46
	v_accvgpr_read_b32 v6, a24
	v_accvgpr_write_b32 a11, v47
	v_accvgpr_read_b32 v7, a25
	s_waitcnt lgkmcnt(0)
	ds_read_b64 v[4:5], v0
	v_add_co_u32_e32 v46, vcc, v0, v6
	v_addc_co_u32_e32 v47, vcc, v1, v7, vcc
	v_accvgpr_write_b32 a16, v56
	v_add_co_u32_e32 v56, vcc, v2, v6
	v_accvgpr_write_b32 a17, v57
	v_accvgpr_write_b32 a6, v58
	v_addc_co_u32_e32 v57, vcc, v3, v7, vcc
	v_accvgpr_write_b32 a7, v59
	v_accvgpr_write_b32 a4, v44
	s_waitcnt lgkmcnt(0)
	v_add_co_u32_e32 v58, vcc, v4, v6
	v_accvgpr_write_b32 a5, v45
	v_accvgpr_write_b32 a3, v41
	;; [unrolled: 1-line block ×5, first 2 shown]
	v_addc_co_u32_e32 v59, vcc, v5, v7, vcc
	s_mov_b64 s[50:51], 0
	s_branch .LBB2_1591
.LBB2_1590:                             ;   in Loop: Header=BB2_1591 Depth=2
	s_or_b64 exec, exec, s[18:19]
	v_lshlrev_b32_e32 v3, 8, v35
	v_perm_b32 v3, v3, v34, s72
	v_lshl_or_b32 v3, v40, 16, v3
	v_and_b32_e32 v1, 0xff, v1
	v_lshlrev_b32_e32 v0, 8, v0
	v_lshl_or_b32 v7, v19, 24, v3
	v_lshlrev_b32_e32 v3, 24, v55
	v_lshlrev_b32_e32 v1, 16, v1
	v_perm_b32 v0, v0, v45, s72
	v_or3_b32 v6, v3, v1, v0
	v_and_b32_e32 v0, 0xff, v31
	v_lshlrev_b32_e32 v3, 8, v23
	v_lshlrev_b32_e32 v1, 24, v41
	;; [unrolled: 1-line block ×3, first 2 shown]
	v_perm_b32 v3, v3, v22, s72
	v_or3_b32 v8, v1, v0, v3
	v_lshlrev_b32_e32 v0, 8, v44
	v_perm_b32 v0, v0, v50, s72
	v_lshl_or_b32 v0, v26, 16, v0
	v_lshl_or_b32 v9, v20, 24, v0
	v_lshlrev_b32_e32 v0, 8, v18
	v_perm_b32 v0, v0, v54, s72
	v_lshl_or_b32 v0, v28, 16, v0
	v_lshl_or_b32 v13, v11, 24, v0
	v_and_b32_e32 v0, 0xff, v25
	v_lshlrev_b32_e32 v3, 8, v24
	v_lshlrev_b32_e32 v1, 24, v51
	;; [unrolled: 1-line block ×3, first 2 shown]
	v_perm_b32 v3, v3, v21, s72
	v_or3_b32 v12, v1, v0, v3
	v_and_b32_e32 v0, 0xff, v29
	v_lshlrev_b32_e32 v3, 8, v15
	v_lshlrev_b32_e32 v1, 24, v4
	v_lshlrev_b32_e32 v0, 16, v0
	v_perm_b32 v3, v3, v14, s72
	v_or3_b32 v14, v1, v0, v3
	v_lshlrev_b32_e32 v0, 8, v10
	v_perm_b32 v0, v0, v5, s72
	v_add_co_u32_e32 v46, vcc, v46, v60
	v_accvgpr_read_b32 v1, a27
	v_lshl_or_b32 v0, v48, 16, v0
	v_addc_co_u32_e32 v47, vcc, v47, v1, vcc
	v_lshl_or_b32 v15, v2, 24, v0
	v_add_co_u32_e32 v56, vcc, v56, v60
	v_accvgpr_read_b32 v0, a22
	v_addc_co_u32_e32 v57, vcc, v57, v1, vcc
	v_sub_u32_e32 v30, v30, v0
	v_cmp_gt_i32_e32 vcc, 1, v30
	global_store_dwordx4 v[58:59], v[6:9], off glc slc
	global_store_dwordx4 v[58:59], v[12:15], off offset:1024 glc slc
	s_or_b64 s[50:51], vcc, s[50:51]
	v_add_co_u32_e32 v58, vcc, v58, v60
	v_addc_co_u32_e32 v59, vcc, v59, v1, vcc
	s_andn2_b64 exec, exec, s[50:51]
	s_cbranch_execz .LBB2_2359
.LBB2_1591:                             ;   Parent Loop BB2_1518 Depth=1
                                        ; =>  This Inner Loop Header: Depth=2
	global_load_dwordx4 v[22:25], v[46:47], off glc slc
	global_load_dwordx4 v[14:17], v[46:47], off offset:1024 glc slc
	global_load_dwordx4 v[18:21], v[56:57], off glc slc
	global_load_dwordx4 v[10:13], v[56:57], off offset:1024 glc slc
	v_mov_b32_e32 v0, 0
	v_mov_b32_e32 v1, 0
	s_waitcnt vmcnt(0)
	v_cmp_ne_u16_sdwa vcc, v22, v53 src0_sel:BYTE_0 src1_sel:DWORD
	s_and_saveexec_b64 s[18:19], vcc
	s_cbranch_execz .LBB2_1597
; %bb.1592:                             ;   in Loop: Header=BB2_1591 Depth=2
	v_cmp_ne_u16_sdwa vcc, v22, s68 src0_sel:BYTE_0 src1_sel:DWORD
	v_bfrev_b32_e32 v1, 1
	s_and_saveexec_b64 s[52:53], vcc
	s_cbranch_execz .LBB2_1596
; %bb.1593:                             ;   in Loop: Header=BB2_1591 Depth=2
	v_and_b32_e32 v2, 0x7f, v22
	v_cmp_ne_u32_e32 vcc, s69, v2
	v_mov_b32_e32 v1, 0x7f800001
	s_and_saveexec_b64 s[54:55], vcc
	s_cbranch_execz .LBB2_1595
; %bb.1594:                             ;   in Loop: Header=BB2_1591 Depth=2
	v_and_b32_e32 v1, 7, v22
	v_ffbh_u32_e32 v1, v1
	v_min_u32_e32 v1, 32, v1
	v_subrev_u32_e32 v4, 28, v1
	v_cmp_gt_u32_e32 vcc, 8, v2
	v_lshrrev_b32_e32 v3, 3, v2
	v_sub_u32_e32 v1, 29, v1
	v_cndmask_b32_e32 v2, 0, v4, vcc
	v_cndmask_b32_e32 v1, v3, v1, vcc
	v_lshlrev_b64 v[2:3], v2, v[22:23]
	v_lshlrev_b32_e32 v2, 20, v2
	v_lshlrev_b32_e32 v3, 24, v22
	v_and_b32_e32 v2, 0x700000, v2
	v_and_b32_e32 v3, 0x80000000, v3
	v_lshl_add_u32 v1, v1, 23, v27
	v_or3_b32 v1, v3, v1, v2
.LBB2_1595:                             ;   in Loop: Header=BB2_1591 Depth=2
	s_or_b64 exec, exec, s[54:55]
.LBB2_1596:                             ;   in Loop: Header=BB2_1591 Depth=2
	s_or_b64 exec, exec, s[52:53]
.LBB2_1597:                             ;   in Loop: Header=BB2_1591 Depth=2
	s_or_b64 exec, exec, s[18:19]
	s_waitcnt vmcnt(1)
	v_cmp_ne_u16_sdwa vcc, v18, v53 src0_sel:BYTE_0 src1_sel:DWORD
	s_and_saveexec_b64 s[18:19], vcc
	s_cbranch_execz .LBB2_1603
; %bb.1598:                             ;   in Loop: Header=BB2_1591 Depth=2
	v_cmp_ne_u16_sdwa vcc, v18, s68 src0_sel:BYTE_0 src1_sel:DWORD
	v_bfrev_b32_e32 v0, 1
	s_and_saveexec_b64 s[52:53], vcc
	s_cbranch_execz .LBB2_1602
; %bb.1599:                             ;   in Loop: Header=BB2_1591 Depth=2
	v_and_b32_e32 v2, 0x7f, v18
	v_cmp_ne_u32_e32 vcc, s69, v2
	v_mov_b32_e32 v0, 0x7f800001
	s_and_saveexec_b64 s[54:55], vcc
	s_cbranch_execz .LBB2_1601
; %bb.1600:                             ;   in Loop: Header=BB2_1591 Depth=2
	v_and_b32_e32 v0, 7, v18
	v_ffbh_u32_e32 v0, v0
	v_min_u32_e32 v0, 32, v0
	v_subrev_u32_e32 v4, 28, v0
	v_cmp_gt_u32_e32 vcc, 8, v2
	v_lshrrev_b32_e32 v3, 3, v2
	v_sub_u32_e32 v0, 29, v0
	v_cndmask_b32_e32 v2, 0, v4, vcc
	v_cndmask_b32_e32 v0, v3, v0, vcc
	v_lshlrev_b64 v[2:3], v2, v[18:19]
	v_lshlrev_b32_e32 v2, 20, v2
	v_lshlrev_b32_e32 v3, 24, v18
	v_and_b32_e32 v2, 0x700000, v2
	v_and_b32_e32 v3, 0x80000000, v3
	v_lshl_add_u32 v0, v0, 23, v27
	v_or3_b32 v0, v3, v0, v2
.LBB2_1601:                             ;   in Loop: Header=BB2_1591 Depth=2
	s_or_b64 exec, exec, s[54:55]
.LBB2_1602:                             ;   in Loop: Header=BB2_1591 Depth=2
	s_or_b64 exec, exec, s[52:53]
.LBB2_1603:                             ;   in Loop: Header=BB2_1591 Depth=2
	s_or_b64 exec, exec, s[18:19]
	v_add_f32_e32 v1, v1, v0
	v_and_b32_sdwa v0, v1, s68 dst_sel:DWORD dst_unused:UNUSED_PAD src0_sel:BYTE_3 src1_sel:DWORD
	v_and_b32_e32 v2, 0x7f800000, v1
	v_mov_b32_e32 v3, v53
	v_and_b32_e32 v52, 0x7fffff, v1
	v_or_b32_e32 v45, 0x7e, v0
	v_cmp_ne_u64_e32 vcc, s[38:39], v[2:3]
	s_and_saveexec_b64 s[18:19], vcc
	s_xor_b64 s[52:53], exec, s[18:19]
	s_cbranch_execz .LBB2_1613
; %bb.1604:                             ;   in Loop: Header=BB2_1591 Depth=2
	v_and_b32_e32 v2, 0x7fffffff, v1
	v_mov_b32_e32 v3, v53
	v_cmp_gt_u64_e32 vcc, s[40:41], v[2:3]
	s_and_saveexec_b64 s[54:55], vcc
	s_cbranch_execz .LBB2_1612
; %bb.1605:                             ;   in Loop: Header=BB2_1591 Depth=2
	v_cmp_ne_u32_e32 vcc, 0, v1
	v_mov_b32_e32 v45, 0
	s_and_saveexec_b64 s[56:57], vcc
	s_cbranch_execz .LBB2_1611
; %bb.1606:                             ;   in Loop: Header=BB2_1591 Depth=2
	v_bfe_u32 v1, v1, 23, 8
	v_sub_u32_e32 v3, 0x79, v1
	v_cmp_gt_u32_e32 vcc, s71, v1
	v_add_u32_e32 v2, 0xffffff81, v1
	v_cndmask_b32_e32 v3, 0, v3, vcc
	v_cmp_eq_u32_e32 vcc, 0, v1
	v_mov_b32_e32 v1, 0xffffff82
	v_cndmask_b32_e32 v1, v2, v1, vcc
	v_mov_b32_e32 v2, 0x78
	v_or_b32_e32 v4, 0x800000, v52
	v_cndmask_b32_e32 v5, v3, v2, vcc
	v_cndmask_b32_e32 v52, v4, v52, vcc
	v_add_u32_e32 v2, 20, v5
	v_lshlrev_b64 v[2:3], v2, -1
	v_add_u32_e32 v4, 19, v5
	v_lshrrev_b64 v[8:9], v5, v[52:53]
	v_not_b32_e32 v3, v3
	v_not_b32_e32 v2, v2
	v_lshlrev_b64 v[6:7], v4, 1
	v_lshrrev_b32_e32 v4, 23, v8
	v_and_b32_e32 v3, 0, v3
	v_and_b32_e32 v2, v52, v2
	v_add3_u32 v5, v5, v1, v4
	v_bfe_u32 v1, v8, 20, 1
	v_add_u32_e32 v1, -1, v1
	v_cmp_eq_u64_e32 vcc, v[2:3], v[6:7]
	v_cndmask_b32_e32 v1, 0, v1, vcc
	v_add_u32_e32 v1, v1, v8
	v_and_b32_e32 v1, 0xfffff, v1
	v_add_co_u32_e32 v2, vcc, v1, v8
	v_add_u32_e32 v4, 6, v5
	v_addc_co_u32_e32 v3, vcc, 0, v9, vcc
	v_cmp_ne_u32_e32 vcc, 0, v4
                                        ; implicit-def: $vgpr1
	s_and_saveexec_b64 s[18:19], vcc
	s_xor_b64 s[18:19], exec, s[18:19]
; %bb.1607:                             ;   in Loop: Header=BB2_1591 Depth=2
	v_add_u32_e32 v1, 7, v5
	v_cmp_lt_u64_e32 vcc, s[44:45], v[2:3]
	v_cndmask_b32_e32 v1, v4, v1, vcc
	v_cndmask_b32_e64 v4, 0, 1, vcc
	v_lshrrev_b64 v[2:3], v4, v[2:3]
; %bb.1608:                             ;   in Loop: Header=BB2_1591 Depth=2
	s_andn2_saveexec_b64 s[18:19], s[18:19]
; %bb.1609:                             ;   in Loop: Header=BB2_1591 Depth=2
	v_bfe_u32 v1, v2, 23, 1
; %bb.1610:                             ;   in Loop: Header=BB2_1591 Depth=2
	s_or_b64 exec, exec, s[18:19]
	v_lshrrev_b64 v[2:3], 20, v[2:3]
	v_cmp_gt_i32_e32 vcc, 16, v1
	v_cndmask_b32_e32 v3, 0, v3, vcc
	v_cndmask_b32_e32 v2, 7, v2, vcc
	v_cmp_eq_u32_e32 vcc, 0, v1
	v_min_i32_e32 v1, 15, v1
	v_cmp_eq_u64_e64 s[18:19], 0, v[2:3]
	v_lshlrev_b32_e32 v1, 3, v1
	v_and_or_b32 v1, v2, 7, v1
	s_and_b64 s[18:19], vcc, s[18:19]
	v_cndmask_b32_e64 v1, v1, 0, s[18:19]
	v_or_b32_e32 v45, v1, v0
.LBB2_1611:                             ;   in Loop: Header=BB2_1591 Depth=2
	s_or_b64 exec, exec, s[56:57]
.LBB2_1612:                             ;   in Loop: Header=BB2_1591 Depth=2
	s_or_b64 exec, exec, s[54:55]
                                        ; implicit-def: $vgpr1
.LBB2_1613:                             ;   in Loop: Header=BB2_1591 Depth=2
	s_andn2_saveexec_b64 s[18:19], s[52:53]
; %bb.1614:                             ;   in Loop: Header=BB2_1591 Depth=2
	v_or_b32_sdwa v0, v1, s69 dst_sel:DWORD dst_unused:UNUSED_PAD src0_sel:BYTE_3 src1_sel:DWORD
	v_cmp_eq_u64_e32 vcc, 0, v[52:53]
	v_cndmask_b32_e32 v45, v0, v45, vcc
; %bb.1615:                             ;   in Loop: Header=BB2_1591 Depth=2
	s_or_b64 exec, exec, s[18:19]
	v_lshrrev_b16_e32 v2, 8, v22
	v_cmp_ne_u16_e32 vcc, 0, v2
	v_mov_b32_e32 v0, 0
	v_mov_b32_e32 v1, 0
	s_and_saveexec_b64 s[18:19], vcc
	s_cbranch_execz .LBB2_1621
; %bb.1616:                             ;   in Loop: Header=BB2_1591 Depth=2
	v_cmp_ne_u16_e32 vcc, s68, v2
	v_bfrev_b32_e32 v1, 1
	s_and_saveexec_b64 s[52:53], vcc
	s_cbranch_execz .LBB2_1620
; %bb.1617:                             ;   in Loop: Header=BB2_1591 Depth=2
	v_and_b32_e32 v3, 0x7f, v2
	v_cmp_ne_u32_e32 vcc, s69, v3
	v_mov_b32_e32 v1, 0x7f800001
	s_and_saveexec_b64 s[54:55], vcc
	s_cbranch_execz .LBB2_1619
; %bb.1618:                             ;   in Loop: Header=BB2_1591 Depth=2
	v_and_b32_e32 v1, 7, v2
	v_ffbh_u32_e32 v4, v1
	v_min_u32_e32 v7, 32, v4
	v_subrev_u32_e32 v4, 28, v7
	v_lshlrev_b64 v[4:5], v4, v[2:3]
	v_lshrrev_b32_e32 v6, 3, v3
	v_sub_u32_e32 v2, 29, v7
	v_and_b32_e32 v4, 7, v4
	v_cmp_gt_u32_e32 vcc, 8, v3
	v_cndmask_b32_e32 v2, v6, v2, vcc
	v_cndmask_b32_e32 v1, v1, v4, vcc
	v_lshlrev_b32_e32 v3, 16, v22
	v_lshlrev_b32_e32 v1, 20, v1
	v_and_b32_e32 v3, 0x80000000, v3
	v_lshl_add_u32 v2, v2, 23, v27
	v_or3_b32 v1, v3, v2, v1
.LBB2_1619:                             ;   in Loop: Header=BB2_1591 Depth=2
	s_or_b64 exec, exec, s[54:55]
.LBB2_1620:                             ;   in Loop: Header=BB2_1591 Depth=2
	s_or_b64 exec, exec, s[52:53]
.LBB2_1621:                             ;   in Loop: Header=BB2_1591 Depth=2
	s_or_b64 exec, exec, s[18:19]
	v_lshrrev_b16_e32 v2, 8, v18
	v_cmp_ne_u16_e32 vcc, 0, v2
	s_and_saveexec_b64 s[18:19], vcc
	s_cbranch_execz .LBB2_1627
; %bb.1622:                             ;   in Loop: Header=BB2_1591 Depth=2
	v_cmp_ne_u16_e32 vcc, s68, v2
	v_bfrev_b32_e32 v0, 1
	s_and_saveexec_b64 s[52:53], vcc
	s_cbranch_execz .LBB2_1626
; %bb.1623:                             ;   in Loop: Header=BB2_1591 Depth=2
	v_and_b32_e32 v3, 0x7f, v2
	v_cmp_ne_u32_e32 vcc, s69, v3
	v_mov_b32_e32 v0, 0x7f800001
	s_and_saveexec_b64 s[54:55], vcc
	s_cbranch_execz .LBB2_1625
; %bb.1624:                             ;   in Loop: Header=BB2_1591 Depth=2
	v_and_b32_e32 v0, 7, v2
	v_ffbh_u32_e32 v4, v0
	v_min_u32_e32 v7, 32, v4
	v_subrev_u32_e32 v4, 28, v7
	v_lshlrev_b64 v[4:5], v4, v[2:3]
	v_lshrrev_b32_e32 v6, 3, v3
	v_sub_u32_e32 v2, 29, v7
	v_and_b32_e32 v4, 7, v4
	v_cmp_gt_u32_e32 vcc, 8, v3
	v_cndmask_b32_e32 v2, v6, v2, vcc
	v_cndmask_b32_e32 v0, v0, v4, vcc
	v_lshlrev_b32_e32 v3, 16, v18
	v_lshlrev_b32_e32 v0, 20, v0
	v_and_b32_e32 v3, 0x80000000, v3
	v_lshl_add_u32 v2, v2, 23, v27
	v_or3_b32 v0, v3, v2, v0
.LBB2_1625:                             ;   in Loop: Header=BB2_1591 Depth=2
	s_or_b64 exec, exec, s[54:55]
.LBB2_1626:                             ;   in Loop: Header=BB2_1591 Depth=2
	s_or_b64 exec, exec, s[52:53]
.LBB2_1627:                             ;   in Loop: Header=BB2_1591 Depth=2
	s_or_b64 exec, exec, s[18:19]
	v_add_f32_e32 v2, v1, v0
	v_and_b32_sdwa v1, v2, s68 dst_sel:DWORD dst_unused:UNUSED_PAD src0_sel:BYTE_3 src1_sel:DWORD
	v_and_b32_e32 v4, 0x7f800000, v2
	v_mov_b32_e32 v5, v53
	v_and_b32_e32 v52, 0x7fffff, v2
	v_or_b32_e32 v0, 0x7e, v1
	v_cmp_ne_u64_e32 vcc, s[38:39], v[4:5]
	s_and_saveexec_b64 s[18:19], vcc
	s_xor_b64 s[52:53], exec, s[18:19]
	s_cbranch_execz .LBB2_1637
; %bb.1628:                             ;   in Loop: Header=BB2_1591 Depth=2
	v_and_b32_e32 v4, 0x7fffffff, v2
	v_mov_b32_e32 v5, v53
	v_cmp_gt_u64_e32 vcc, s[40:41], v[4:5]
	s_and_saveexec_b64 s[54:55], vcc
	s_cbranch_execz .LBB2_1636
; %bb.1629:                             ;   in Loop: Header=BB2_1591 Depth=2
	v_cmp_ne_u32_e32 vcc, 0, v2
	v_mov_b32_e32 v0, 0
	s_and_saveexec_b64 s[56:57], vcc
	s_cbranch_execz .LBB2_1635
; %bb.1630:                             ;   in Loop: Header=BB2_1591 Depth=2
	v_bfe_u32 v0, v2, 23, 8
	v_sub_u32_e32 v3, 0x79, v0
	v_cmp_gt_u32_e32 vcc, s71, v0
	v_add_u32_e32 v2, 0xffffff81, v0
	v_cndmask_b32_e32 v3, 0, v3, vcc
	v_cmp_eq_u32_e32 vcc, 0, v0
	v_mov_b32_e32 v0, 0xffffff82
	v_cndmask_b32_e32 v0, v2, v0, vcc
	v_mov_b32_e32 v2, 0x78
	v_or_b32_e32 v4, 0x800000, v52
	v_cndmask_b32_e32 v5, v3, v2, vcc
	v_cndmask_b32_e32 v52, v4, v52, vcc
	v_add_u32_e32 v2, 20, v5
	v_lshlrev_b64 v[2:3], v2, -1
	v_add_u32_e32 v4, 19, v5
	v_lshrrev_b64 v[8:9], v5, v[52:53]
	v_not_b32_e32 v3, v3
	v_not_b32_e32 v2, v2
	v_lshlrev_b64 v[6:7], v4, 1
	v_lshrrev_b32_e32 v4, 23, v8
	v_and_b32_e32 v3, 0, v3
	v_and_b32_e32 v2, v52, v2
	v_add3_u32 v5, v5, v0, v4
	v_bfe_u32 v0, v8, 20, 1
	v_add_u32_e32 v0, -1, v0
	v_cmp_eq_u64_e32 vcc, v[2:3], v[6:7]
	v_cndmask_b32_e32 v0, 0, v0, vcc
	v_add_u32_e32 v0, v0, v8
	v_and_b32_e32 v0, 0xfffff, v0
	v_add_co_u32_e32 v2, vcc, v0, v8
	v_add_u32_e32 v4, 6, v5
	v_addc_co_u32_e32 v3, vcc, 0, v9, vcc
	v_cmp_ne_u32_e32 vcc, 0, v4
                                        ; implicit-def: $vgpr0
	s_and_saveexec_b64 s[18:19], vcc
	s_xor_b64 s[18:19], exec, s[18:19]
; %bb.1631:                             ;   in Loop: Header=BB2_1591 Depth=2
	v_add_u32_e32 v0, 7, v5
	v_cmp_lt_u64_e32 vcc, s[44:45], v[2:3]
	v_cndmask_b32_e32 v0, v4, v0, vcc
	v_cndmask_b32_e64 v4, 0, 1, vcc
	v_lshrrev_b64 v[2:3], v4, v[2:3]
; %bb.1632:                             ;   in Loop: Header=BB2_1591 Depth=2
	s_andn2_saveexec_b64 s[18:19], s[18:19]
; %bb.1633:                             ;   in Loop: Header=BB2_1591 Depth=2
	v_bfe_u32 v0, v2, 23, 1
; %bb.1634:                             ;   in Loop: Header=BB2_1591 Depth=2
	s_or_b64 exec, exec, s[18:19]
	v_lshrrev_b64 v[2:3], 20, v[2:3]
	v_cmp_gt_i32_e32 vcc, 16, v0
	v_cndmask_b32_e32 v3, 0, v3, vcc
	v_cndmask_b32_e32 v2, 7, v2, vcc
	v_cmp_eq_u32_e32 vcc, 0, v0
	v_min_i32_e32 v0, 15, v0
	v_cmp_eq_u64_e64 s[18:19], 0, v[2:3]
	v_lshlrev_b32_e32 v0, 3, v0
	v_and_or_b32 v0, v2, 7, v0
	s_and_b64 s[18:19], vcc, s[18:19]
	v_cndmask_b32_e64 v0, v0, 0, s[18:19]
	v_or_b32_e32 v0, v0, v1
.LBB2_1635:                             ;   in Loop: Header=BB2_1591 Depth=2
	s_or_b64 exec, exec, s[56:57]
.LBB2_1636:                             ;   in Loop: Header=BB2_1591 Depth=2
	s_or_b64 exec, exec, s[54:55]
                                        ; implicit-def: $vgpr2
.LBB2_1637:                             ;   in Loop: Header=BB2_1591 Depth=2
	s_andn2_saveexec_b64 s[18:19], s[52:53]
; %bb.1638:                             ;   in Loop: Header=BB2_1591 Depth=2
	v_or_b32_sdwa v1, v2, s69 dst_sel:DWORD dst_unused:UNUSED_PAD src0_sel:BYTE_3 src1_sel:DWORD
	v_cmp_eq_u64_e32 vcc, 0, v[52:53]
	v_cndmask_b32_e32 v0, v1, v0, vcc
; %bb.1639:                             ;   in Loop: Header=BB2_1591 Depth=2
	s_or_b64 exec, exec, s[18:19]
	v_lshrrev_b32_e32 v2, 16, v22
	v_cmp_ne_u16_sdwa vcc, v2, v53 src0_sel:BYTE_0 src1_sel:DWORD
	v_mov_b32_e32 v1, 0
	v_mov_b32_e32 v3, 0
	s_and_saveexec_b64 s[18:19], vcc
	s_cbranch_execz .LBB2_1645
; %bb.1640:                             ;   in Loop: Header=BB2_1591 Depth=2
	v_cmp_ne_u16_sdwa vcc, v2, s68 src0_sel:BYTE_0 src1_sel:DWORD
	v_bfrev_b32_e32 v3, 1
	s_and_saveexec_b64 s[52:53], vcc
	s_cbranch_execz .LBB2_1644
; %bb.1641:                             ;   in Loop: Header=BB2_1591 Depth=2
	v_bfe_u32 v4, v22, 16, 7
	v_cmp_ne_u32_e32 vcc, s69, v4
	v_mov_b32_e32 v3, 0x7f800001
	s_and_saveexec_b64 s[54:55], vcc
	s_cbranch_execz .LBB2_1643
; %bb.1642:                             ;   in Loop: Header=BB2_1591 Depth=2
	v_and_b32_e32 v3, 7, v2
	v_ffbh_u32_e32 v6, v3
	v_min_u32_e32 v8, 32, v6
	v_subrev_u32_e32 v6, 28, v8
	v_lshlrev_b64 v[6:7], v6, v[2:3]
	v_lshrrev_b32_e32 v5, 3, v4
	v_sub_u32_e32 v7, 29, v8
	v_and_b32_e32 v6, 7, v6
	v_cmp_gt_u32_e32 vcc, 8, v4
	v_cndmask_b32_e32 v4, v5, v7, vcc
	v_cndmask_b32_e32 v3, v3, v6, vcc
	v_lshlrev_b32_e32 v2, 24, v2
	v_lshlrev_b32_e32 v3, 20, v3
	v_and_b32_e32 v2, 0x80000000, v2
	v_lshl_add_u32 v4, v4, 23, v27
	v_or3_b32 v3, v2, v4, v3
.LBB2_1643:                             ;   in Loop: Header=BB2_1591 Depth=2
	s_or_b64 exec, exec, s[54:55]
.LBB2_1644:                             ;   in Loop: Header=BB2_1591 Depth=2
	s_or_b64 exec, exec, s[52:53]
.LBB2_1645:                             ;   in Loop: Header=BB2_1591 Depth=2
	s_or_b64 exec, exec, s[18:19]
	v_lshrrev_b32_e32 v2, 16, v18
	v_cmp_ne_u16_sdwa vcc, v2, v53 src0_sel:BYTE_0 src1_sel:DWORD
	s_and_saveexec_b64 s[18:19], vcc
	s_cbranch_execz .LBB2_1651
; %bb.1646:                             ;   in Loop: Header=BB2_1591 Depth=2
	v_cmp_ne_u16_sdwa vcc, v2, s68 src0_sel:BYTE_0 src1_sel:DWORD
	v_bfrev_b32_e32 v1, 1
	s_and_saveexec_b64 s[52:53], vcc
	s_cbranch_execz .LBB2_1650
; %bb.1647:                             ;   in Loop: Header=BB2_1591 Depth=2
	v_bfe_u32 v4, v18, 16, 7
	v_cmp_ne_u32_e32 vcc, s69, v4
	v_mov_b32_e32 v1, 0x7f800001
	s_and_saveexec_b64 s[54:55], vcc
	s_cbranch_execz .LBB2_1649
; %bb.1648:                             ;   in Loop: Header=BB2_1591 Depth=2
	v_and_b32_e32 v1, 7, v2
	v_ffbh_u32_e32 v6, v1
	v_min_u32_e32 v8, 32, v6
	v_subrev_u32_e32 v6, 28, v8
	v_lshlrev_b64 v[6:7], v6, v[2:3]
	v_lshrrev_b32_e32 v5, 3, v4
	v_sub_u32_e32 v2, 29, v8
	v_and_b32_e32 v6, 7, v6
	v_cmp_gt_u32_e32 vcc, 8, v4
	v_cndmask_b32_e32 v2, v5, v2, vcc
	v_cndmask_b32_e32 v1, v1, v6, vcc
	v_lshlrev_b32_e32 v4, 8, v18
	v_lshlrev_b32_e32 v1, 20, v1
	v_and_b32_e32 v4, 0x80000000, v4
	v_lshl_add_u32 v2, v2, 23, v27
	v_or3_b32 v1, v4, v2, v1
.LBB2_1649:                             ;   in Loop: Header=BB2_1591 Depth=2
	s_or_b64 exec, exec, s[54:55]
.LBB2_1650:                             ;   in Loop: Header=BB2_1591 Depth=2
	s_or_b64 exec, exec, s[52:53]
.LBB2_1651:                             ;   in Loop: Header=BB2_1591 Depth=2
	s_or_b64 exec, exec, s[18:19]
	v_add_f32_e32 v2, v3, v1
	v_and_b32_sdwa v4, v2, s68 dst_sel:DWORD dst_unused:UNUSED_PAD src0_sel:BYTE_3 src1_sel:DWORD
	v_and_b32_e32 v6, 0x7f800000, v2
	v_mov_b32_e32 v7, v53
	v_and_b32_e32 v52, 0x7fffff, v2
	v_or_b32_e32 v1, 0x7e, v4
	v_cmp_ne_u64_e32 vcc, s[38:39], v[6:7]
	s_and_saveexec_b64 s[18:19], vcc
	s_xor_b64 s[52:53], exec, s[18:19]
	s_cbranch_execz .LBB2_1661
; %bb.1652:                             ;   in Loop: Header=BB2_1591 Depth=2
	v_and_b32_e32 v6, 0x7fffffff, v2
	v_mov_b32_e32 v7, v53
	v_cmp_gt_u64_e32 vcc, s[40:41], v[6:7]
	s_and_saveexec_b64 s[54:55], vcc
	s_cbranch_execz .LBB2_1660
; %bb.1653:                             ;   in Loop: Header=BB2_1591 Depth=2
	v_cmp_ne_u32_e32 vcc, 0, v2
	v_mov_b32_e32 v1, 0
	s_and_saveexec_b64 s[56:57], vcc
	s_cbranch_execz .LBB2_1659
; %bb.1654:                             ;   in Loop: Header=BB2_1591 Depth=2
	v_bfe_u32 v1, v2, 23, 8
	v_sub_u32_e32 v3, 0x79, v1
	v_cmp_gt_u32_e32 vcc, s71, v1
	v_add_u32_e32 v2, 0xffffff81, v1
	v_cndmask_b32_e32 v3, 0, v3, vcc
	v_cmp_eq_u32_e32 vcc, 0, v1
	v_mov_b32_e32 v1, 0xffffff82
	v_cndmask_b32_e32 v1, v2, v1, vcc
	v_mov_b32_e32 v2, 0x78
	v_or_b32_e32 v5, 0x800000, v52
	v_cndmask_b32_e32 v26, v3, v2, vcc
	v_cndmask_b32_e32 v52, v5, v52, vcc
	v_add_u32_e32 v2, 20, v26
	v_lshlrev_b64 v[2:3], v2, -1
	v_add_u32_e32 v5, 19, v26
	v_lshrrev_b64 v[8:9], v26, v[52:53]
	v_not_b32_e32 v3, v3
	v_not_b32_e32 v2, v2
	v_lshlrev_b64 v[6:7], v5, 1
	v_lshrrev_b32_e32 v5, 23, v8
	v_and_b32_e32 v3, 0, v3
	v_and_b32_e32 v2, v52, v2
	v_add3_u32 v26, v26, v1, v5
	v_bfe_u32 v1, v8, 20, 1
	v_add_u32_e32 v1, -1, v1
	v_cmp_eq_u64_e32 vcc, v[2:3], v[6:7]
	v_cndmask_b32_e32 v1, 0, v1, vcc
	v_add_u32_e32 v1, v1, v8
	v_and_b32_e32 v1, 0xfffff, v1
	v_add_co_u32_e32 v2, vcc, v1, v8
	v_add_u32_e32 v5, 6, v26
	v_addc_co_u32_e32 v3, vcc, 0, v9, vcc
	v_cmp_ne_u32_e32 vcc, 0, v5
                                        ; implicit-def: $vgpr1
	s_and_saveexec_b64 s[18:19], vcc
	s_xor_b64 s[18:19], exec, s[18:19]
; %bb.1655:                             ;   in Loop: Header=BB2_1591 Depth=2
	v_add_u32_e32 v1, 7, v26
	v_cmp_lt_u64_e32 vcc, s[44:45], v[2:3]
	v_cndmask_b32_e32 v1, v5, v1, vcc
	v_cndmask_b32_e64 v5, 0, 1, vcc
	v_lshrrev_b64 v[2:3], v5, v[2:3]
; %bb.1656:                             ;   in Loop: Header=BB2_1591 Depth=2
	s_andn2_saveexec_b64 s[18:19], s[18:19]
; %bb.1657:                             ;   in Loop: Header=BB2_1591 Depth=2
	v_bfe_u32 v1, v2, 23, 1
; %bb.1658:                             ;   in Loop: Header=BB2_1591 Depth=2
	s_or_b64 exec, exec, s[18:19]
	v_lshrrev_b64 v[2:3], 20, v[2:3]
	v_cmp_gt_i32_e32 vcc, 16, v1
	v_cndmask_b32_e32 v3, 0, v3, vcc
	v_cndmask_b32_e32 v2, 7, v2, vcc
	v_cmp_eq_u32_e32 vcc, 0, v1
	v_min_i32_e32 v1, 15, v1
	v_cmp_eq_u64_e64 s[18:19], 0, v[2:3]
	v_lshlrev_b32_e32 v1, 3, v1
	v_and_or_b32 v1, v2, 7, v1
	s_and_b64 s[18:19], vcc, s[18:19]
	v_cndmask_b32_e64 v1, v1, 0, s[18:19]
	v_or_b32_e32 v1, v1, v4
.LBB2_1659:                             ;   in Loop: Header=BB2_1591 Depth=2
	s_or_b64 exec, exec, s[56:57]
.LBB2_1660:                             ;   in Loop: Header=BB2_1591 Depth=2
	s_or_b64 exec, exec, s[54:55]
                                        ; implicit-def: $vgpr2
.LBB2_1661:                             ;   in Loop: Header=BB2_1591 Depth=2
	s_andn2_saveexec_b64 s[18:19], s[52:53]
; %bb.1662:                             ;   in Loop: Header=BB2_1591 Depth=2
	v_or_b32_sdwa v2, v2, s69 dst_sel:DWORD dst_unused:UNUSED_PAD src0_sel:BYTE_3 src1_sel:DWORD
	v_cmp_eq_u64_e32 vcc, 0, v[52:53]
	v_cndmask_b32_e32 v1, v2, v1, vcc
; %bb.1663:                             ;   in Loop: Header=BB2_1591 Depth=2
	s_or_b64 exec, exec, s[18:19]
	v_cmp_lt_u32_e32 vcc, s43, v22
	v_mov_b32_e32 v3, 0
	v_mov_b32_e32 v4, 0
	s_and_saveexec_b64 s[18:19], vcc
	s_cbranch_execz .LBB2_1669
; %bb.1664:                             ;   in Loop: Header=BB2_1591 Depth=2
	v_lshrrev_b32_e32 v2, 24, v22
	v_cmp_ne_u32_e32 vcc, s68, v2
	v_bfrev_b32_e32 v4, 1
	s_and_saveexec_b64 s[52:53], vcc
	s_cbranch_execz .LBB2_1668
; %bb.1665:                             ;   in Loop: Header=BB2_1591 Depth=2
	v_bfe_u32 v5, v22, 24, 7
	v_cmp_ne_u32_e32 vcc, s69, v5
	v_mov_b32_e32 v4, 0x7f800001
	s_and_saveexec_b64 s[54:55], vcc
	s_cbranch_execz .LBB2_1667
; %bb.1666:                             ;   in Loop: Header=BB2_1591 Depth=2
	v_and_b32_e32 v4, 7, v2
	v_ffbh_u32_e32 v6, v4
	v_min_u32_e32 v9, 32, v6
	v_subrev_u32_e32 v6, 28, v9
	v_lshlrev_b64 v[6:7], v6, v[2:3]
	v_lshrrev_b32_e32 v8, 3, v5
	v_sub_u32_e32 v7, 29, v9
	v_and_b32_e32 v6, 7, v6
	v_cmp_gt_u32_e32 vcc, 8, v5
	v_cndmask_b32_e32 v5, v8, v7, vcc
	v_cndmask_b32_e32 v4, v4, v6, vcc
	v_lshlrev_b32_e32 v2, 24, v2
	v_lshlrev_b32_e32 v4, 20, v4
	v_and_b32_e32 v2, 0x80000000, v2
	v_lshl_add_u32 v5, v5, 23, v27
	v_or3_b32 v4, v2, v5, v4
.LBB2_1667:                             ;   in Loop: Header=BB2_1591 Depth=2
	s_or_b64 exec, exec, s[54:55]
.LBB2_1668:                             ;   in Loop: Header=BB2_1591 Depth=2
	s_or_b64 exec, exec, s[52:53]
.LBB2_1669:                             ;   in Loop: Header=BB2_1591 Depth=2
	s_or_b64 exec, exec, s[18:19]
	v_cmp_lt_u32_e32 vcc, s43, v18
	s_and_saveexec_b64 s[18:19], vcc
	s_cbranch_execz .LBB2_1675
; %bb.1670:                             ;   in Loop: Header=BB2_1591 Depth=2
	v_lshrrev_b32_e32 v2, 24, v18
	v_cmp_ne_u32_e32 vcc, s68, v2
	v_bfrev_b32_e32 v3, 1
	s_and_saveexec_b64 s[52:53], vcc
	s_cbranch_execz .LBB2_1674
; %bb.1671:                             ;   in Loop: Header=BB2_1591 Depth=2
	v_bfe_u32 v5, v18, 24, 7
	v_cmp_ne_u32_e32 vcc, s69, v5
	v_mov_b32_e32 v3, 0x7f800001
	s_and_saveexec_b64 s[54:55], vcc
	s_cbranch_execz .LBB2_1673
; %bb.1672:                             ;   in Loop: Header=BB2_1591 Depth=2
	v_and_b32_e32 v3, 7, v2
	v_ffbh_u32_e32 v6, v3
	v_min_u32_e32 v9, 32, v6
	v_subrev_u32_e32 v6, 28, v9
	v_lshlrev_b64 v[6:7], v6, v[2:3]
	v_lshrrev_b32_e32 v8, 3, v5
	v_sub_u32_e32 v7, 29, v9
	v_and_b32_e32 v6, 7, v6
	v_cmp_gt_u32_e32 vcc, 8, v5
	v_cndmask_b32_e32 v5, v8, v7, vcc
	v_cndmask_b32_e32 v3, v3, v6, vcc
	v_lshlrev_b32_e32 v2, 24, v2
	v_lshlrev_b32_e32 v3, 20, v3
	v_and_b32_e32 v2, 0x80000000, v2
	v_lshl_add_u32 v5, v5, 23, v27
	v_or3_b32 v3, v2, v5, v3
.LBB2_1673:                             ;   in Loop: Header=BB2_1591 Depth=2
	s_or_b64 exec, exec, s[54:55]
.LBB2_1674:                             ;   in Loop: Header=BB2_1591 Depth=2
	s_or_b64 exec, exec, s[52:53]
.LBB2_1675:                             ;   in Loop: Header=BB2_1591 Depth=2
	s_or_b64 exec, exec, s[18:19]
	v_add_f32_e32 v2, v4, v3
	v_and_b32_sdwa v4, v2, s68 dst_sel:DWORD dst_unused:UNUSED_PAD src0_sel:BYTE_3 src1_sel:DWORD
	v_and_b32_e32 v6, 0x7f800000, v2
	v_mov_b32_e32 v7, v53
	v_and_b32_e32 v52, 0x7fffff, v2
	v_or_b32_e32 v55, 0x7e, v4
	v_cmp_ne_u64_e32 vcc, s[38:39], v[6:7]
	s_and_saveexec_b64 s[18:19], vcc
	s_xor_b64 s[52:53], exec, s[18:19]
	s_cbranch_execz .LBB2_1685
; %bb.1676:                             ;   in Loop: Header=BB2_1591 Depth=2
	v_and_b32_e32 v6, 0x7fffffff, v2
	v_mov_b32_e32 v7, v53
	v_cmp_gt_u64_e32 vcc, s[40:41], v[6:7]
	s_and_saveexec_b64 s[54:55], vcc
	s_cbranch_execz .LBB2_1684
; %bb.1677:                             ;   in Loop: Header=BB2_1591 Depth=2
	v_cmp_ne_u32_e32 vcc, 0, v2
	v_mov_b32_e32 v55, 0
	s_and_saveexec_b64 s[56:57], vcc
	s_cbranch_execz .LBB2_1683
; %bb.1678:                             ;   in Loop: Header=BB2_1591 Depth=2
	v_bfe_u32 v2, v2, 23, 8
	v_sub_u32_e32 v5, 0x79, v2
	v_cmp_gt_u32_e32 vcc, s71, v2
	v_add_u32_e32 v3, 0xffffff81, v2
	v_cndmask_b32_e32 v5, 0, v5, vcc
	v_cmp_eq_u32_e32 vcc, 0, v2
	v_mov_b32_e32 v2, 0xffffff82
	v_cndmask_b32_e32 v26, v3, v2, vcc
	v_mov_b32_e32 v2, 0x78
	v_or_b32_e32 v6, 0x800000, v52
	v_cndmask_b32_e32 v5, v5, v2, vcc
	v_cndmask_b32_e32 v52, v6, v52, vcc
	v_add_u32_e32 v2, 20, v5
	v_lshlrev_b64 v[2:3], v2, -1
	v_lshrrev_b64 v[8:9], v5, v[52:53]
	v_not_b32_e32 v3, v3
	v_not_b32_e32 v2, v2
	v_add_u32_e32 v6, 19, v5
	v_lshrrev_b32_e32 v28, 23, v8
	v_and_b32_e32 v3, 0, v3
	v_and_b32_e32 v2, v52, v2
	v_lshlrev_b64 v[6:7], v6, 1
	v_add3_u32 v28, v5, v26, v28
	v_bfe_u32 v5, v8, 20, 1
	v_add_u32_e32 v5, -1, v5
	v_cmp_eq_u64_e32 vcc, v[2:3], v[6:7]
	v_cndmask_b32_e32 v2, 0, v5, vcc
	v_add_u32_e32 v2, v2, v8
	v_and_b32_e32 v2, 0xfffff, v2
	v_add_co_u32_e32 v2, vcc, v2, v8
	v_add_u32_e32 v26, 6, v28
	v_addc_co_u32_e32 v3, vcc, 0, v9, vcc
	v_cmp_ne_u32_e32 vcc, 0, v26
                                        ; implicit-def: $vgpr5
	s_and_saveexec_b64 s[18:19], vcc
	s_xor_b64 s[18:19], exec, s[18:19]
; %bb.1679:                             ;   in Loop: Header=BB2_1591 Depth=2
	v_cmp_lt_u64_e32 vcc, s[44:45], v[2:3]
	v_add_u32_e32 v5, 7, v28
	v_cndmask_b32_e64 v6, 0, 1, vcc
	v_cndmask_b32_e32 v5, v26, v5, vcc
	v_lshrrev_b64 v[2:3], v6, v[2:3]
; %bb.1680:                             ;   in Loop: Header=BB2_1591 Depth=2
	s_andn2_saveexec_b64 s[18:19], s[18:19]
; %bb.1681:                             ;   in Loop: Header=BB2_1591 Depth=2
	v_bfe_u32 v5, v2, 23, 1
; %bb.1682:                             ;   in Loop: Header=BB2_1591 Depth=2
	s_or_b64 exec, exec, s[18:19]
	v_lshrrev_b64 v[2:3], 20, v[2:3]
	v_cmp_gt_i32_e32 vcc, 16, v5
	v_cndmask_b32_e32 v3, 0, v3, vcc
	v_cndmask_b32_e32 v2, 7, v2, vcc
	v_cmp_eq_u64_e64 s[18:19], 0, v[2:3]
	v_min_i32_e32 v3, 15, v5
	v_cmp_eq_u32_e32 vcc, 0, v5
	v_lshlrev_b32_e32 v3, 3, v3
	v_and_or_b32 v2, v2, 7, v3
	s_and_b64 s[18:19], vcc, s[18:19]
	v_cndmask_b32_e64 v2, v2, 0, s[18:19]
	v_or_b32_e32 v55, v2, v4
.LBB2_1683:                             ;   in Loop: Header=BB2_1591 Depth=2
	s_or_b64 exec, exec, s[56:57]
.LBB2_1684:                             ;   in Loop: Header=BB2_1591 Depth=2
	s_or_b64 exec, exec, s[54:55]
                                        ; implicit-def: $vgpr2
.LBB2_1685:                             ;   in Loop: Header=BB2_1591 Depth=2
	s_andn2_saveexec_b64 s[18:19], s[52:53]
; %bb.1686:                             ;   in Loop: Header=BB2_1591 Depth=2
	v_or_b32_sdwa v2, v2, s69 dst_sel:DWORD dst_unused:UNUSED_PAD src0_sel:BYTE_3 src1_sel:DWORD
	v_cmp_eq_u64_e32 vcc, 0, v[52:53]
	v_cndmask_b32_e32 v55, v2, v55, vcc
; %bb.1687:                             ;   in Loop: Header=BB2_1591 Depth=2
	s_or_b64 exec, exec, s[18:19]
	v_mov_b32_e32 v52, v23
	v_cmp_ne_u16_sdwa vcc, v23, v53 src0_sel:BYTE_0 src1_sel:DWORD
	v_mov_b32_e32 v3, 0
	v_mov_b32_e32 v2, 0
	s_and_saveexec_b64 s[18:19], vcc
	s_cbranch_execz .LBB2_1693
; %bb.1688:                             ;   in Loop: Header=BB2_1591 Depth=2
	v_cmp_ne_u16_sdwa vcc, v23, s68 src0_sel:BYTE_0 src1_sel:DWORD
	v_bfrev_b32_e32 v2, 1
	s_and_saveexec_b64 s[52:53], vcc
	s_cbranch_execz .LBB2_1692
; %bb.1689:                             ;   in Loop: Header=BB2_1591 Depth=2
	v_and_b32_e32 v4, 0x7f, v23
	v_cmp_ne_u32_e32 vcc, s69, v4
	v_mov_b32_e32 v2, 0x7f800001
	s_and_saveexec_b64 s[54:55], vcc
	s_cbranch_execz .LBB2_1691
; %bb.1690:                             ;   in Loop: Header=BB2_1591 Depth=2
	v_and_b32_e32 v2, 7, v23
	v_ffbh_u32_e32 v2, v2
	v_min_u32_e32 v2, 32, v2
	v_subrev_u32_e32 v6, 28, v2
	v_cmp_gt_u32_e32 vcc, 8, v4
	v_lshrrev_b32_e32 v5, 3, v4
	v_sub_u32_e32 v2, 29, v2
	v_cndmask_b32_e32 v4, 0, v6, vcc
	v_cndmask_b32_e32 v2, v5, v2, vcc
	v_lshlrev_b64 v[4:5], v4, v[52:53]
	v_lshlrev_b32_e32 v4, 20, v4
	v_lshlrev_b32_e32 v5, 24, v52
	v_and_b32_e32 v4, 0x700000, v4
	v_and_b32_e32 v5, 0x80000000, v5
	v_lshl_add_u32 v2, v2, 23, v27
	v_or3_b32 v2, v5, v2, v4
.LBB2_1691:                             ;   in Loop: Header=BB2_1591 Depth=2
	s_or_b64 exec, exec, s[54:55]
.LBB2_1692:                             ;   in Loop: Header=BB2_1591 Depth=2
	s_or_b64 exec, exec, s[52:53]
.LBB2_1693:                             ;   in Loop: Header=BB2_1591 Depth=2
	s_or_b64 exec, exec, s[18:19]
	v_cmp_ne_u16_sdwa vcc, v19, v53 src0_sel:BYTE_0 src1_sel:DWORD
	s_and_saveexec_b64 s[18:19], vcc
	s_cbranch_execz .LBB2_1699
; %bb.1694:                             ;   in Loop: Header=BB2_1591 Depth=2
	v_cmp_ne_u16_sdwa vcc, v19, s68 src0_sel:BYTE_0 src1_sel:DWORD
	v_bfrev_b32_e32 v3, 1
	s_and_saveexec_b64 s[52:53], vcc
	s_cbranch_execz .LBB2_1698
; %bb.1695:                             ;   in Loop: Header=BB2_1591 Depth=2
	v_and_b32_e32 v4, 0x7f, v19
	v_cmp_ne_u32_e32 vcc, s69, v4
	v_mov_b32_e32 v3, 0x7f800001
	s_and_saveexec_b64 s[54:55], vcc
	s_cbranch_execz .LBB2_1697
; %bb.1696:                             ;   in Loop: Header=BB2_1591 Depth=2
	v_and_b32_e32 v3, 7, v19
	v_ffbh_u32_e32 v3, v3
	v_min_u32_e32 v3, 32, v3
	v_subrev_u32_e32 v8, 28, v3
	v_cmp_gt_u32_e32 vcc, 8, v4
	v_mov_b32_e32 v6, v19
	v_mov_b32_e32 v7, v53
	v_lshrrev_b32_e32 v5, 3, v4
	v_sub_u32_e32 v3, 29, v3
	v_cndmask_b32_e32 v4, 0, v8, vcc
	v_cndmask_b32_e32 v3, v5, v3, vcc
	v_lshlrev_b64 v[4:5], v4, v[6:7]
	v_lshlrev_b32_e32 v4, 20, v4
	v_lshlrev_b32_e32 v5, 24, v6
	v_and_b32_e32 v4, 0x700000, v4
	v_and_b32_e32 v5, 0x80000000, v5
	v_lshl_add_u32 v3, v3, 23, v27
	v_or3_b32 v3, v5, v3, v4
.LBB2_1697:                             ;   in Loop: Header=BB2_1591 Depth=2
	s_or_b64 exec, exec, s[54:55]
.LBB2_1698:                             ;   in Loop: Header=BB2_1591 Depth=2
	s_or_b64 exec, exec, s[52:53]
.LBB2_1699:                             ;   in Loop: Header=BB2_1591 Depth=2
	s_or_b64 exec, exec, s[18:19]
	v_add_f32_e32 v5, v2, v3
	v_and_b32_sdwa v4, v5, s68 dst_sel:DWORD dst_unused:UNUSED_PAD src0_sel:BYTE_3 src1_sel:DWORD
	v_and_b32_e32 v6, 0x7f800000, v5
	v_mov_b32_e32 v7, v53
	v_and_b32_e32 v2, 0x7fffff, v5
	v_mov_b32_e32 v3, v53
	v_or_b32_e32 v34, 0x7e, v4
	v_cmp_ne_u64_e32 vcc, s[38:39], v[6:7]
	s_and_saveexec_b64 s[18:19], vcc
	s_xor_b64 s[52:53], exec, s[18:19]
	s_cbranch_execz .LBB2_1709
; %bb.1700:                             ;   in Loop: Header=BB2_1591 Depth=2
	v_and_b32_e32 v6, 0x7fffffff, v5
	v_mov_b32_e32 v7, v53
	v_cmp_gt_u64_e32 vcc, s[40:41], v[6:7]
	s_and_saveexec_b64 s[54:55], vcc
	s_cbranch_execz .LBB2_1708
; %bb.1701:                             ;   in Loop: Header=BB2_1591 Depth=2
	v_cmp_ne_u32_e32 vcc, 0, v5
	v_mov_b32_e32 v34, 0
	s_and_saveexec_b64 s[56:57], vcc
	s_cbranch_execz .LBB2_1707
; %bb.1702:                             ;   in Loop: Header=BB2_1591 Depth=2
	v_bfe_u32 v5, v5, 23, 8
	v_sub_u32_e32 v7, 0x79, v5
	v_cmp_gt_u32_e32 vcc, s71, v5
	v_add_u32_e32 v6, 0xffffff81, v5
	v_cndmask_b32_e32 v7, 0, v7, vcc
	v_cmp_eq_u32_e32 vcc, 0, v5
	v_mov_b32_e32 v5, 0xffffff82
	v_cndmask_b32_e32 v5, v6, v5, vcc
	v_mov_b32_e32 v6, 0x78
	v_cndmask_b32_e32 v26, v7, v6, vcc
	v_add_u32_e32 v6, 20, v26
	v_or_b32_e32 v8, 0x800000, v2
	v_lshlrev_b64 v[6:7], v6, -1
	v_cndmask_b32_e32 v2, v8, v2, vcc
	v_not_b32_e32 v6, v6
	v_and_b32_e32 v6, v2, v6
	v_lshrrev_b64 v[2:3], v26, v[2:3]
	v_not_b32_e32 v7, v7
	v_add_u32_e32 v8, 19, v26
	v_lshrrev_b32_e32 v28, 23, v2
	v_and_b32_e32 v7, 0, v7
	v_lshlrev_b64 v[8:9], v8, 1
	v_add3_u32 v28, v26, v5, v28
	v_bfe_u32 v5, v2, 20, 1
	v_add_u32_e32 v5, -1, v5
	v_cmp_eq_u64_e32 vcc, v[6:7], v[8:9]
	v_cndmask_b32_e32 v5, 0, v5, vcc
	v_add_u32_e32 v5, v5, v2
	v_and_b32_e32 v5, 0xfffff, v5
	v_add_co_u32_e32 v2, vcc, v5, v2
	v_add_u32_e32 v26, 6, v28
	v_addc_co_u32_e32 v3, vcc, 0, v3, vcc
	v_cmp_ne_u32_e32 vcc, 0, v26
                                        ; implicit-def: $vgpr5
	s_and_saveexec_b64 s[18:19], vcc
	s_xor_b64 s[18:19], exec, s[18:19]
; %bb.1703:                             ;   in Loop: Header=BB2_1591 Depth=2
	v_cmp_lt_u64_e32 vcc, s[44:45], v[2:3]
	v_add_u32_e32 v5, 7, v28
	v_cndmask_b32_e64 v6, 0, 1, vcc
	v_cndmask_b32_e32 v5, v26, v5, vcc
	v_lshrrev_b64 v[2:3], v6, v[2:3]
; %bb.1704:                             ;   in Loop: Header=BB2_1591 Depth=2
	s_andn2_saveexec_b64 s[18:19], s[18:19]
; %bb.1705:                             ;   in Loop: Header=BB2_1591 Depth=2
	v_bfe_u32 v5, v2, 23, 1
; %bb.1706:                             ;   in Loop: Header=BB2_1591 Depth=2
	s_or_b64 exec, exec, s[18:19]
	v_lshrrev_b64 v[2:3], 20, v[2:3]
	v_cmp_gt_i32_e32 vcc, 16, v5
	v_cndmask_b32_e32 v3, 0, v3, vcc
	v_cndmask_b32_e32 v2, 7, v2, vcc
	v_cmp_eq_u64_e64 s[18:19], 0, v[2:3]
	v_min_i32_e32 v3, 15, v5
	v_cmp_eq_u32_e32 vcc, 0, v5
	v_lshlrev_b32_e32 v3, 3, v3
	v_and_or_b32 v2, v2, 7, v3
	s_and_b64 s[18:19], vcc, s[18:19]
	v_cndmask_b32_e64 v2, v2, 0, s[18:19]
	v_or_b32_e32 v34, v2, v4
.LBB2_1707:                             ;   in Loop: Header=BB2_1591 Depth=2
	s_or_b64 exec, exec, s[56:57]
.LBB2_1708:                             ;   in Loop: Header=BB2_1591 Depth=2
	s_or_b64 exec, exec, s[54:55]
                                        ; implicit-def: $vgpr5
                                        ; implicit-def: $vgpr2_vgpr3
.LBB2_1709:                             ;   in Loop: Header=BB2_1591 Depth=2
	s_andn2_saveexec_b64 s[18:19], s[52:53]
; %bb.1710:                             ;   in Loop: Header=BB2_1591 Depth=2
	v_or_b32_sdwa v4, v5, s69 dst_sel:DWORD dst_unused:UNUSED_PAD src0_sel:BYTE_3 src1_sel:DWORD
	v_cmp_eq_u64_e32 vcc, 0, v[2:3]
	v_cndmask_b32_e32 v34, v4, v34, vcc
; %bb.1711:                             ;   in Loop: Header=BB2_1591 Depth=2
	s_or_b64 exec, exec, s[18:19]
	v_lshrrev_b16_e32 v2, 8, v52
	v_cmp_ne_u16_e32 vcc, 0, v2
	v_mov_b32_e32 v3, 0
	v_mov_b32_e32 v4, 0
	s_and_saveexec_b64 s[18:19], vcc
	s_cbranch_execz .LBB2_1717
; %bb.1712:                             ;   in Loop: Header=BB2_1591 Depth=2
	v_cmp_ne_u16_e32 vcc, s68, v2
	v_bfrev_b32_e32 v4, 1
	s_and_saveexec_b64 s[52:53], vcc
	s_cbranch_execz .LBB2_1716
; %bb.1713:                             ;   in Loop: Header=BB2_1591 Depth=2
	v_and_b32_e32 v5, 0x7f, v2
	v_cmp_ne_u32_e32 vcc, s69, v5
	v_mov_b32_e32 v4, 0x7f800001
	s_and_saveexec_b64 s[54:55], vcc
	s_cbranch_execz .LBB2_1715
; %bb.1714:                             ;   in Loop: Header=BB2_1591 Depth=2
	v_and_b32_e32 v4, 7, v2
	v_ffbh_u32_e32 v6, v4
	v_min_u32_e32 v9, 32, v6
	v_subrev_u32_e32 v6, 28, v9
	v_lshlrev_b64 v[6:7], v6, v[2:3]
	v_lshrrev_b32_e32 v8, 3, v5
	v_sub_u32_e32 v2, 29, v9
	v_and_b32_e32 v6, 7, v6
	v_cmp_gt_u32_e32 vcc, 8, v5
	v_cndmask_b32_e32 v2, v8, v2, vcc
	v_cndmask_b32_e32 v4, v4, v6, vcc
	v_lshlrev_b32_e32 v5, 16, v52
	v_lshlrev_b32_e32 v4, 20, v4
	v_and_b32_e32 v5, 0x80000000, v5
	v_lshl_add_u32 v2, v2, 23, v27
	v_or3_b32 v4, v5, v2, v4
.LBB2_1715:                             ;   in Loop: Header=BB2_1591 Depth=2
	s_or_b64 exec, exec, s[54:55]
.LBB2_1716:                             ;   in Loop: Header=BB2_1591 Depth=2
	s_or_b64 exec, exec, s[52:53]
.LBB2_1717:                             ;   in Loop: Header=BB2_1591 Depth=2
	s_or_b64 exec, exec, s[18:19]
	v_mov_b32_e32 v2, v19
	v_lshrrev_b16_e32 v52, 8, v2
	v_cmp_ne_u16_e32 vcc, 0, v52
	s_and_saveexec_b64 s[18:19], vcc
	s_cbranch_execz .LBB2_1723
; %bb.1718:                             ;   in Loop: Header=BB2_1591 Depth=2
	v_cmp_ne_u16_e32 vcc, s68, v52
	v_bfrev_b32_e32 v3, 1
	s_and_saveexec_b64 s[52:53], vcc
	s_cbranch_execz .LBB2_1722
; %bb.1719:                             ;   in Loop: Header=BB2_1591 Depth=2
	v_and_b32_e32 v5, 0x7f, v52
	v_cmp_ne_u32_e32 vcc, s69, v5
	v_mov_b32_e32 v3, 0x7f800001
	s_and_saveexec_b64 s[54:55], vcc
	s_cbranch_execz .LBB2_1721
; %bb.1720:                             ;   in Loop: Header=BB2_1591 Depth=2
	v_and_b32_e32 v3, 7, v52
	v_ffbh_u32_e32 v6, v3
	v_min_u32_e32 v9, 32, v6
	v_subrev_u32_e32 v6, 28, v9
	v_lshlrev_b64 v[6:7], v6, v[52:53]
	v_lshrrev_b32_e32 v8, 3, v5
	v_sub_u32_e32 v7, 29, v9
	v_and_b32_e32 v6, 7, v6
	v_cmp_gt_u32_e32 vcc, 8, v5
	v_cndmask_b32_e32 v5, v8, v7, vcc
	v_cndmask_b32_e32 v3, v3, v6, vcc
	v_lshlrev_b32_e32 v2, 16, v2
	v_lshlrev_b32_e32 v3, 20, v3
	v_and_b32_e32 v2, 0x80000000, v2
	v_lshl_add_u32 v5, v5, 23, v27
	v_or3_b32 v3, v2, v5, v3
.LBB2_1721:                             ;   in Loop: Header=BB2_1591 Depth=2
	s_or_b64 exec, exec, s[54:55]
.LBB2_1722:                             ;   in Loop: Header=BB2_1591 Depth=2
	s_or_b64 exec, exec, s[52:53]
.LBB2_1723:                             ;   in Loop: Header=BB2_1591 Depth=2
	s_or_b64 exec, exec, s[18:19]
	v_add_f32_e32 v2, v4, v3
	v_and_b32_sdwa v4, v2, s68 dst_sel:DWORD dst_unused:UNUSED_PAD src0_sel:BYTE_3 src1_sel:DWORD
	v_and_b32_e32 v6, 0x7f800000, v2
	v_mov_b32_e32 v7, v53
	v_and_b32_e32 v52, 0x7fffff, v2
	v_or_b32_e32 v35, 0x7e, v4
	v_cmp_ne_u64_e32 vcc, s[38:39], v[6:7]
	s_and_saveexec_b64 s[18:19], vcc
	s_xor_b64 s[52:53], exec, s[18:19]
	s_cbranch_execz .LBB2_1733
; %bb.1724:                             ;   in Loop: Header=BB2_1591 Depth=2
	v_and_b32_e32 v6, 0x7fffffff, v2
	v_mov_b32_e32 v7, v53
	v_cmp_gt_u64_e32 vcc, s[40:41], v[6:7]
	s_and_saveexec_b64 s[54:55], vcc
	s_cbranch_execz .LBB2_1732
; %bb.1725:                             ;   in Loop: Header=BB2_1591 Depth=2
	v_cmp_ne_u32_e32 vcc, 0, v2
	v_mov_b32_e32 v35, 0
	s_and_saveexec_b64 s[56:57], vcc
	s_cbranch_execz .LBB2_1731
; %bb.1726:                             ;   in Loop: Header=BB2_1591 Depth=2
	v_bfe_u32 v2, v2, 23, 8
	v_sub_u32_e32 v5, 0x79, v2
	v_cmp_gt_u32_e32 vcc, s71, v2
	v_add_u32_e32 v3, 0xffffff81, v2
	v_cndmask_b32_e32 v5, 0, v5, vcc
	v_cmp_eq_u32_e32 vcc, 0, v2
	v_mov_b32_e32 v2, 0xffffff82
	v_cndmask_b32_e32 v26, v3, v2, vcc
	v_mov_b32_e32 v2, 0x78
	v_or_b32_e32 v6, 0x800000, v52
	v_cndmask_b32_e32 v5, v5, v2, vcc
	v_cndmask_b32_e32 v52, v6, v52, vcc
	v_add_u32_e32 v2, 20, v5
	v_lshlrev_b64 v[2:3], v2, -1
	v_lshrrev_b64 v[8:9], v5, v[52:53]
	v_not_b32_e32 v3, v3
	v_not_b32_e32 v2, v2
	v_add_u32_e32 v6, 19, v5
	v_lshrrev_b32_e32 v28, 23, v8
	v_and_b32_e32 v3, 0, v3
	v_and_b32_e32 v2, v52, v2
	v_lshlrev_b64 v[6:7], v6, 1
	v_add3_u32 v28, v5, v26, v28
	v_bfe_u32 v5, v8, 20, 1
	v_add_u32_e32 v5, -1, v5
	v_cmp_eq_u64_e32 vcc, v[2:3], v[6:7]
	v_cndmask_b32_e32 v2, 0, v5, vcc
	v_add_u32_e32 v2, v2, v8
	v_and_b32_e32 v2, 0xfffff, v2
	v_add_co_u32_e32 v2, vcc, v2, v8
	v_add_u32_e32 v26, 6, v28
	v_addc_co_u32_e32 v3, vcc, 0, v9, vcc
	v_cmp_ne_u32_e32 vcc, 0, v26
                                        ; implicit-def: $vgpr5
	s_and_saveexec_b64 s[18:19], vcc
	s_xor_b64 s[18:19], exec, s[18:19]
; %bb.1727:                             ;   in Loop: Header=BB2_1591 Depth=2
	v_cmp_lt_u64_e32 vcc, s[44:45], v[2:3]
	v_add_u32_e32 v5, 7, v28
	v_cndmask_b32_e64 v6, 0, 1, vcc
	v_cndmask_b32_e32 v5, v26, v5, vcc
	v_lshrrev_b64 v[2:3], v6, v[2:3]
; %bb.1728:                             ;   in Loop: Header=BB2_1591 Depth=2
	s_andn2_saveexec_b64 s[18:19], s[18:19]
; %bb.1729:                             ;   in Loop: Header=BB2_1591 Depth=2
	v_bfe_u32 v5, v2, 23, 1
; %bb.1730:                             ;   in Loop: Header=BB2_1591 Depth=2
	s_or_b64 exec, exec, s[18:19]
	v_lshrrev_b64 v[2:3], 20, v[2:3]
	v_cmp_gt_i32_e32 vcc, 16, v5
	v_cndmask_b32_e32 v3, 0, v3, vcc
	v_cndmask_b32_e32 v2, 7, v2, vcc
	v_cmp_eq_u64_e64 s[18:19], 0, v[2:3]
	v_min_i32_e32 v3, 15, v5
	v_cmp_eq_u32_e32 vcc, 0, v5
	v_lshlrev_b32_e32 v3, 3, v3
	v_and_or_b32 v2, v2, 7, v3
	s_and_b64 s[18:19], vcc, s[18:19]
	v_cndmask_b32_e64 v2, v2, 0, s[18:19]
	v_or_b32_e32 v35, v2, v4
.LBB2_1731:                             ;   in Loop: Header=BB2_1591 Depth=2
	s_or_b64 exec, exec, s[56:57]
.LBB2_1732:                             ;   in Loop: Header=BB2_1591 Depth=2
	s_or_b64 exec, exec, s[54:55]
                                        ; implicit-def: $vgpr2
.LBB2_1733:                             ;   in Loop: Header=BB2_1591 Depth=2
	s_andn2_saveexec_b64 s[18:19], s[52:53]
; %bb.1734:                             ;   in Loop: Header=BB2_1591 Depth=2
	v_or_b32_sdwa v2, v2, s69 dst_sel:DWORD dst_unused:UNUSED_PAD src0_sel:BYTE_3 src1_sel:DWORD
	v_cmp_eq_u64_e32 vcc, 0, v[52:53]
	v_cndmask_b32_e32 v35, v2, v35, vcc
; %bb.1735:                             ;   in Loop: Header=BB2_1591 Depth=2
	s_or_b64 exec, exec, s[18:19]
	v_lshrrev_b32_e32 v2, 16, v23
	v_cmp_ne_u16_sdwa vcc, v2, v53 src0_sel:BYTE_0 src1_sel:DWORD
	v_mov_b32_e32 v3, 0
	v_mov_b32_e32 v4, 0
	s_and_saveexec_b64 s[18:19], vcc
	s_cbranch_execz .LBB2_1741
; %bb.1736:                             ;   in Loop: Header=BB2_1591 Depth=2
	v_cmp_ne_u16_sdwa vcc, v2, s68 src0_sel:BYTE_0 src1_sel:DWORD
	v_bfrev_b32_e32 v4, 1
	s_and_saveexec_b64 s[52:53], vcc
	s_cbranch_execz .LBB2_1740
; %bb.1737:                             ;   in Loop: Header=BB2_1591 Depth=2
	v_bfe_u32 v5, v23, 16, 7
	v_cmp_ne_u32_e32 vcc, s69, v5
	v_mov_b32_e32 v4, 0x7f800001
	s_and_saveexec_b64 s[54:55], vcc
	s_cbranch_execz .LBB2_1739
; %bb.1738:                             ;   in Loop: Header=BB2_1591 Depth=2
	v_and_b32_e32 v4, 7, v2
	v_ffbh_u32_e32 v6, v4
	v_min_u32_e32 v9, 32, v6
	v_subrev_u32_e32 v6, 28, v9
	v_lshlrev_b64 v[6:7], v6, v[2:3]
	v_lshrrev_b32_e32 v8, 3, v5
	v_sub_u32_e32 v7, 29, v9
	v_and_b32_e32 v6, 7, v6
	v_cmp_gt_u32_e32 vcc, 8, v5
	v_cndmask_b32_e32 v5, v8, v7, vcc
	v_cndmask_b32_e32 v4, v4, v6, vcc
	v_lshlrev_b32_e32 v2, 24, v2
	v_lshlrev_b32_e32 v4, 20, v4
	v_and_b32_e32 v2, 0x80000000, v2
	v_lshl_add_u32 v5, v5, 23, v27
	v_or3_b32 v4, v2, v5, v4
.LBB2_1739:                             ;   in Loop: Header=BB2_1591 Depth=2
	s_or_b64 exec, exec, s[54:55]
.LBB2_1740:                             ;   in Loop: Header=BB2_1591 Depth=2
	s_or_b64 exec, exec, s[52:53]
.LBB2_1741:                             ;   in Loop: Header=BB2_1591 Depth=2
	s_or_b64 exec, exec, s[18:19]
	v_lshrrev_b32_e32 v2, 16, v19
	v_cmp_ne_u16_sdwa vcc, v2, v53 src0_sel:BYTE_0 src1_sel:DWORD
	s_and_saveexec_b64 s[18:19], vcc
	s_cbranch_execz .LBB2_1747
; %bb.1742:                             ;   in Loop: Header=BB2_1591 Depth=2
	v_cmp_ne_u16_sdwa vcc, v2, s68 src0_sel:BYTE_0 src1_sel:DWORD
	v_bfrev_b32_e32 v3, 1
	s_and_saveexec_b64 s[52:53], vcc
	s_cbranch_execz .LBB2_1746
; %bb.1743:                             ;   in Loop: Header=BB2_1591 Depth=2
	v_bfe_u32 v5, v19, 16, 7
	v_cmp_ne_u32_e32 vcc, s69, v5
	v_mov_b32_e32 v3, 0x7f800001
	s_and_saveexec_b64 s[54:55], vcc
	s_cbranch_execz .LBB2_1745
; %bb.1744:                             ;   in Loop: Header=BB2_1591 Depth=2
	v_and_b32_e32 v6, 7, v2
	v_ffbh_u32_e32 v3, v6
	v_min_u32_e32 v8, 32, v3
	v_subrev_u32_e32 v3, 28, v8
	v_lshlrev_b64 v[2:3], v3, v[2:3]
	v_lshrrev_b32_e32 v7, 3, v5
	v_sub_u32_e32 v3, 29, v8
	v_and_b32_e32 v2, 7, v2
	v_cmp_gt_u32_e32 vcc, 8, v5
	v_cndmask_b32_e32 v3, v7, v3, vcc
	v_cndmask_b32_e32 v2, v6, v2, vcc
	v_lshlrev_b32_e32 v5, 8, v19
	v_lshlrev_b32_e32 v2, 20, v2
	v_and_b32_e32 v5, 0x80000000, v5
	v_lshl_add_u32 v3, v3, 23, v27
	v_or3_b32 v3, v5, v3, v2
.LBB2_1745:                             ;   in Loop: Header=BB2_1591 Depth=2
	s_or_b64 exec, exec, s[54:55]
.LBB2_1746:                             ;   in Loop: Header=BB2_1591 Depth=2
	s_or_b64 exec, exec, s[52:53]
.LBB2_1747:                             ;   in Loop: Header=BB2_1591 Depth=2
	s_or_b64 exec, exec, s[18:19]
	v_add_f32_e32 v2, v4, v3
	v_and_b32_sdwa v4, v2, s68 dst_sel:DWORD dst_unused:UNUSED_PAD src0_sel:BYTE_3 src1_sel:DWORD
	v_and_b32_e32 v6, 0x7f800000, v2
	v_mov_b32_e32 v7, v53
	v_and_b32_e32 v52, 0x7fffff, v2
	v_or_b32_e32 v40, 0x7e, v4
	v_cmp_ne_u64_e32 vcc, s[38:39], v[6:7]
	s_and_saveexec_b64 s[18:19], vcc
	s_xor_b64 s[52:53], exec, s[18:19]
	s_cbranch_execz .LBB2_1757
; %bb.1748:                             ;   in Loop: Header=BB2_1591 Depth=2
	v_and_b32_e32 v6, 0x7fffffff, v2
	v_mov_b32_e32 v7, v53
	v_cmp_gt_u64_e32 vcc, s[40:41], v[6:7]
	s_and_saveexec_b64 s[54:55], vcc
	s_cbranch_execz .LBB2_1756
; %bb.1749:                             ;   in Loop: Header=BB2_1591 Depth=2
	v_cmp_ne_u32_e32 vcc, 0, v2
	v_mov_b32_e32 v40, 0
	s_and_saveexec_b64 s[56:57], vcc
	s_cbranch_execz .LBB2_1755
; %bb.1750:                             ;   in Loop: Header=BB2_1591 Depth=2
	v_bfe_u32 v2, v2, 23, 8
	v_sub_u32_e32 v5, 0x79, v2
	v_cmp_gt_u32_e32 vcc, s71, v2
	v_add_u32_e32 v3, 0xffffff81, v2
	v_cndmask_b32_e32 v5, 0, v5, vcc
	v_cmp_eq_u32_e32 vcc, 0, v2
	v_mov_b32_e32 v2, 0xffffff82
	v_cndmask_b32_e32 v26, v3, v2, vcc
	v_mov_b32_e32 v2, 0x78
	v_or_b32_e32 v6, 0x800000, v52
	v_cndmask_b32_e32 v5, v5, v2, vcc
	v_cndmask_b32_e32 v52, v6, v52, vcc
	v_add_u32_e32 v2, 20, v5
	v_lshlrev_b64 v[2:3], v2, -1
	v_lshrrev_b64 v[8:9], v5, v[52:53]
	v_not_b32_e32 v3, v3
	v_not_b32_e32 v2, v2
	v_add_u32_e32 v6, 19, v5
	v_lshrrev_b32_e32 v28, 23, v8
	v_and_b32_e32 v3, 0, v3
	v_and_b32_e32 v2, v52, v2
	v_lshlrev_b64 v[6:7], v6, 1
	v_add3_u32 v28, v5, v26, v28
	v_bfe_u32 v5, v8, 20, 1
	v_add_u32_e32 v5, -1, v5
	v_cmp_eq_u64_e32 vcc, v[2:3], v[6:7]
	v_cndmask_b32_e32 v2, 0, v5, vcc
	v_add_u32_e32 v2, v2, v8
	v_and_b32_e32 v2, 0xfffff, v2
	v_add_co_u32_e32 v2, vcc, v2, v8
	v_add_u32_e32 v26, 6, v28
	v_addc_co_u32_e32 v3, vcc, 0, v9, vcc
	v_cmp_ne_u32_e32 vcc, 0, v26
                                        ; implicit-def: $vgpr5
	s_and_saveexec_b64 s[18:19], vcc
	s_xor_b64 s[18:19], exec, s[18:19]
; %bb.1751:                             ;   in Loop: Header=BB2_1591 Depth=2
	v_cmp_lt_u64_e32 vcc, s[44:45], v[2:3]
	v_add_u32_e32 v5, 7, v28
	v_cndmask_b32_e64 v6, 0, 1, vcc
	v_cndmask_b32_e32 v5, v26, v5, vcc
	v_lshrrev_b64 v[2:3], v6, v[2:3]
; %bb.1752:                             ;   in Loop: Header=BB2_1591 Depth=2
	s_andn2_saveexec_b64 s[18:19], s[18:19]
; %bb.1753:                             ;   in Loop: Header=BB2_1591 Depth=2
	v_bfe_u32 v5, v2, 23, 1
; %bb.1754:                             ;   in Loop: Header=BB2_1591 Depth=2
	s_or_b64 exec, exec, s[18:19]
	v_lshrrev_b64 v[2:3], 20, v[2:3]
	v_cmp_gt_i32_e32 vcc, 16, v5
	v_cndmask_b32_e32 v3, 0, v3, vcc
	v_cndmask_b32_e32 v2, 7, v2, vcc
	v_cmp_eq_u64_e64 s[18:19], 0, v[2:3]
	v_min_i32_e32 v3, 15, v5
	v_lshlrev_b32_e32 v3, 3, v3
	v_cmp_eq_u32_e32 vcc, 0, v5
	v_and_b32_e32 v3, 0xf8, v3
	v_and_or_b32 v2, v2, 7, v3
	s_and_b64 s[18:19], vcc, s[18:19]
	v_cndmask_b32_e64 v2, v2, 0, s[18:19]
	v_or_b32_e32 v40, v2, v4
.LBB2_1755:                             ;   in Loop: Header=BB2_1591 Depth=2
	s_or_b64 exec, exec, s[56:57]
.LBB2_1756:                             ;   in Loop: Header=BB2_1591 Depth=2
	s_or_b64 exec, exec, s[54:55]
                                        ; implicit-def: $vgpr2
.LBB2_1757:                             ;   in Loop: Header=BB2_1591 Depth=2
	s_andn2_saveexec_b64 s[18:19], s[52:53]
; %bb.1758:                             ;   in Loop: Header=BB2_1591 Depth=2
	v_or_b32_sdwa v2, v2, s69 dst_sel:DWORD dst_unused:UNUSED_PAD src0_sel:BYTE_3 src1_sel:DWORD
	v_cmp_eq_u64_e32 vcc, 0, v[52:53]
	v_cndmask_b32_e32 v40, v2, v40, vcc
; %bb.1759:                             ;   in Loop: Header=BB2_1591 Depth=2
	s_or_b64 exec, exec, s[18:19]
	v_cmp_lt_u64_e32 vcc, s[42:43], v[22:23]
	v_mov_b32_e32 v3, 0
	v_mov_b32_e32 v4, 0
	s_and_saveexec_b64 s[18:19], vcc
	s_cbranch_execz .LBB2_1765
; %bb.1760:                             ;   in Loop: Header=BB2_1591 Depth=2
	v_lshrrev_b32_e32 v2, 24, v23
	v_cmp_ne_u32_e32 vcc, s68, v2
	v_bfrev_b32_e32 v4, 1
	s_and_saveexec_b64 s[52:53], vcc
	s_cbranch_execz .LBB2_1764
; %bb.1761:                             ;   in Loop: Header=BB2_1591 Depth=2
	v_bfe_u32 v5, v23, 24, 7
	v_cmp_ne_u32_e32 vcc, s69, v5
	v_mov_b32_e32 v4, 0x7f800001
	s_and_saveexec_b64 s[54:55], vcc
	s_cbranch_execz .LBB2_1763
; %bb.1762:                             ;   in Loop: Header=BB2_1591 Depth=2
	v_and_b32_e32 v4, 7, v2
	v_ffbh_u32_e32 v6, v4
	v_min_u32_e32 v9, 32, v6
	v_subrev_u32_e32 v6, 28, v9
	v_lshlrev_b64 v[6:7], v6, v[2:3]
	v_lshrrev_b32_e32 v8, 3, v5
	v_sub_u32_e32 v7, 29, v9
	v_and_b32_e32 v6, 7, v6
	v_cmp_gt_u32_e32 vcc, 8, v5
	v_cndmask_b32_e32 v5, v8, v7, vcc
	v_cndmask_b32_e32 v4, v4, v6, vcc
	v_lshlrev_b32_e32 v2, 24, v2
	v_lshlrev_b32_e32 v4, 20, v4
	v_and_b32_e32 v2, 0x80000000, v2
	v_lshl_add_u32 v5, v5, 23, v27
	v_or3_b32 v4, v2, v5, v4
.LBB2_1763:                             ;   in Loop: Header=BB2_1591 Depth=2
	s_or_b64 exec, exec, s[54:55]
.LBB2_1764:                             ;   in Loop: Header=BB2_1591 Depth=2
	s_or_b64 exec, exec, s[52:53]
.LBB2_1765:                             ;   in Loop: Header=BB2_1591 Depth=2
	s_or_b64 exec, exec, s[18:19]
	v_cmp_lt_u64_e32 vcc, s[42:43], v[18:19]
	s_and_saveexec_b64 s[18:19], vcc
	s_cbranch_execz .LBB2_1771
; %bb.1766:                             ;   in Loop: Header=BB2_1591 Depth=2
	v_lshrrev_b32_e32 v2, 24, v19
	v_cmp_ne_u32_e32 vcc, s68, v2
	v_bfrev_b32_e32 v3, 1
	s_and_saveexec_b64 s[52:53], vcc
	s_cbranch_execz .LBB2_1770
; %bb.1767:                             ;   in Loop: Header=BB2_1591 Depth=2
	v_bfe_u32 v5, v19, 24, 7
	v_cmp_ne_u32_e32 vcc, s69, v5
	v_mov_b32_e32 v3, 0x7f800001
	s_and_saveexec_b64 s[54:55], vcc
	s_cbranch_execz .LBB2_1769
; %bb.1768:                             ;   in Loop: Header=BB2_1591 Depth=2
	v_and_b32_e32 v3, 7, v2
	v_ffbh_u32_e32 v6, v3
	v_min_u32_e32 v9, 32, v6
	v_subrev_u32_e32 v6, 28, v9
	v_lshlrev_b64 v[6:7], v6, v[2:3]
	v_lshrrev_b32_e32 v8, 3, v5
	v_sub_u32_e32 v7, 29, v9
	v_and_b32_e32 v6, 7, v6
	v_cmp_gt_u32_e32 vcc, 8, v5
	v_cndmask_b32_e32 v5, v8, v7, vcc
	v_cndmask_b32_e32 v3, v3, v6, vcc
	v_lshlrev_b32_e32 v2, 24, v2
	v_lshlrev_b32_e32 v3, 20, v3
	v_and_b32_e32 v2, 0x80000000, v2
	v_lshl_add_u32 v5, v5, 23, v27
	v_or3_b32 v3, v2, v5, v3
.LBB2_1769:                             ;   in Loop: Header=BB2_1591 Depth=2
	s_or_b64 exec, exec, s[54:55]
.LBB2_1770:                             ;   in Loop: Header=BB2_1591 Depth=2
	s_or_b64 exec, exec, s[52:53]
.LBB2_1771:                             ;   in Loop: Header=BB2_1591 Depth=2
	s_or_b64 exec, exec, s[18:19]
	v_add_f32_e32 v2, v4, v3
	v_and_b32_sdwa v4, v2, s68 dst_sel:DWORD dst_unused:UNUSED_PAD src0_sel:BYTE_3 src1_sel:DWORD
	v_and_b32_e32 v6, 0x7f800000, v2
	v_mov_b32_e32 v7, v53
	v_and_b32_e32 v52, 0x7fffff, v2
	v_or_b32_e32 v19, 0x7e, v4
	v_cmp_ne_u64_e32 vcc, s[38:39], v[6:7]
	s_and_saveexec_b64 s[18:19], vcc
	s_xor_b64 s[52:53], exec, s[18:19]
	s_cbranch_execz .LBB2_1781
; %bb.1772:                             ;   in Loop: Header=BB2_1591 Depth=2
	v_and_b32_e32 v6, 0x7fffffff, v2
	v_mov_b32_e32 v7, v53
	v_cmp_gt_u64_e32 vcc, s[40:41], v[6:7]
	s_and_saveexec_b64 s[54:55], vcc
	s_cbranch_execz .LBB2_1780
; %bb.1773:                             ;   in Loop: Header=BB2_1591 Depth=2
	v_cmp_ne_u32_e32 vcc, 0, v2
	v_mov_b32_e32 v19, 0
	s_and_saveexec_b64 s[56:57], vcc
	s_cbranch_execz .LBB2_1779
; %bb.1774:                             ;   in Loop: Header=BB2_1591 Depth=2
	v_bfe_u32 v2, v2, 23, 8
	v_sub_u32_e32 v5, 0x79, v2
	v_cmp_gt_u32_e32 vcc, s71, v2
	v_add_u32_e32 v3, 0xffffff81, v2
	v_cndmask_b32_e32 v5, 0, v5, vcc
	v_cmp_eq_u32_e32 vcc, 0, v2
	v_mov_b32_e32 v2, 0xffffff82
	v_cndmask_b32_e32 v18, v3, v2, vcc
	v_mov_b32_e32 v2, 0x78
	v_or_b32_e32 v6, 0x800000, v52
	v_cndmask_b32_e32 v5, v5, v2, vcc
	v_cndmask_b32_e32 v52, v6, v52, vcc
	v_add_u32_e32 v2, 20, v5
	v_lshlrev_b64 v[2:3], v2, -1
	v_lshrrev_b64 v[8:9], v5, v[52:53]
	v_not_b32_e32 v3, v3
	v_not_b32_e32 v2, v2
	v_add_u32_e32 v6, 19, v5
	v_lshrrev_b32_e32 v19, 23, v8
	v_and_b32_e32 v3, 0, v3
	v_and_b32_e32 v2, v52, v2
	v_lshlrev_b64 v[6:7], v6, 1
	v_add3_u32 v19, v5, v18, v19
	v_bfe_u32 v5, v8, 20, 1
	v_add_u32_e32 v5, -1, v5
	v_cmp_eq_u64_e32 vcc, v[2:3], v[6:7]
	v_cndmask_b32_e32 v2, 0, v5, vcc
	v_add_u32_e32 v2, v2, v8
	v_and_b32_e32 v2, 0xfffff, v2
	v_add_co_u32_e32 v2, vcc, v2, v8
	v_add_u32_e32 v18, 6, v19
	v_addc_co_u32_e32 v3, vcc, 0, v9, vcc
	v_cmp_ne_u32_e32 vcc, 0, v18
                                        ; implicit-def: $vgpr5
	s_and_saveexec_b64 s[18:19], vcc
	s_xor_b64 s[18:19], exec, s[18:19]
; %bb.1775:                             ;   in Loop: Header=BB2_1591 Depth=2
	v_cmp_lt_u64_e32 vcc, s[44:45], v[2:3]
	v_add_u32_e32 v5, 7, v19
	v_cndmask_b32_e64 v6, 0, 1, vcc
	v_cndmask_b32_e32 v5, v18, v5, vcc
	v_lshrrev_b64 v[2:3], v6, v[2:3]
; %bb.1776:                             ;   in Loop: Header=BB2_1591 Depth=2
	s_andn2_saveexec_b64 s[18:19], s[18:19]
; %bb.1777:                             ;   in Loop: Header=BB2_1591 Depth=2
	v_bfe_u32 v5, v2, 23, 1
; %bb.1778:                             ;   in Loop: Header=BB2_1591 Depth=2
	s_or_b64 exec, exec, s[18:19]
	v_lshrrev_b64 v[2:3], 20, v[2:3]
	v_cmp_gt_i32_e32 vcc, 16, v5
	v_cndmask_b32_e32 v3, 0, v3, vcc
	v_cndmask_b32_e32 v2, 7, v2, vcc
	v_cmp_eq_u64_e64 s[18:19], 0, v[2:3]
	v_min_i32_e32 v3, 15, v5
	v_lshlrev_b32_e32 v3, 3, v3
	v_cmp_eq_u32_e32 vcc, 0, v5
	v_and_b32_e32 v3, 0xf8, v3
	v_and_or_b32 v2, v2, 7, v3
	s_and_b64 s[18:19], vcc, s[18:19]
	v_cndmask_b32_e64 v2, v2, 0, s[18:19]
	v_or_b32_e32 v19, v2, v4
.LBB2_1779:                             ;   in Loop: Header=BB2_1591 Depth=2
	s_or_b64 exec, exec, s[56:57]
.LBB2_1780:                             ;   in Loop: Header=BB2_1591 Depth=2
	s_or_b64 exec, exec, s[54:55]
                                        ; implicit-def: $vgpr2
.LBB2_1781:                             ;   in Loop: Header=BB2_1591 Depth=2
	s_andn2_saveexec_b64 s[18:19], s[52:53]
; %bb.1782:                             ;   in Loop: Header=BB2_1591 Depth=2
	v_or_b32_sdwa v2, v2, s69 dst_sel:DWORD dst_unused:UNUSED_PAD src0_sel:BYTE_3 src1_sel:DWORD
	v_cmp_eq_u64_e32 vcc, 0, v[52:53]
	v_cndmask_b32_e32 v19, v2, v19, vcc
; %bb.1783:                             ;   in Loop: Header=BB2_1591 Depth=2
	s_or_b64 exec, exec, s[18:19]
	v_cmp_ne_u16_sdwa vcc, v24, v53 src0_sel:BYTE_0 src1_sel:DWORD
	v_mov_b32_e32 v2, 0
	v_mov_b32_e32 v3, 0
	s_and_saveexec_b64 s[18:19], vcc
	s_cbranch_execz .LBB2_1789
; %bb.1784:                             ;   in Loop: Header=BB2_1591 Depth=2
	v_cmp_ne_u16_sdwa vcc, v24, s68 src0_sel:BYTE_0 src1_sel:DWORD
	v_bfrev_b32_e32 v3, 1
	s_and_saveexec_b64 s[52:53], vcc
	s_cbranch_execz .LBB2_1788
; %bb.1785:                             ;   in Loop: Header=BB2_1591 Depth=2
	v_and_b32_e32 v4, 0x7f, v24
	v_cmp_ne_u32_e32 vcc, s69, v4
	v_mov_b32_e32 v3, 0x7f800001
	s_and_saveexec_b64 s[54:55], vcc
	s_cbranch_execz .LBB2_1787
; %bb.1786:                             ;   in Loop: Header=BB2_1591 Depth=2
	v_and_b32_e32 v3, 7, v24
	v_ffbh_u32_e32 v3, v3
	v_min_u32_e32 v3, 32, v3
	v_subrev_u32_e32 v6, 28, v3
	v_cmp_gt_u32_e32 vcc, 8, v4
	v_lshrrev_b32_e32 v5, 3, v4
	v_sub_u32_e32 v3, 29, v3
	v_cndmask_b32_e32 v4, 0, v6, vcc
	v_cndmask_b32_e32 v3, v5, v3, vcc
	v_lshlrev_b64 v[4:5], v4, v[24:25]
	v_lshlrev_b32_e32 v4, 20, v4
	v_lshlrev_b32_e32 v5, 24, v24
	v_and_b32_e32 v4, 0x700000, v4
	v_and_b32_e32 v5, 0x80000000, v5
	v_lshl_add_u32 v3, v3, 23, v27
	v_or3_b32 v3, v5, v3, v4
.LBB2_1787:                             ;   in Loop: Header=BB2_1591 Depth=2
	s_or_b64 exec, exec, s[54:55]
.LBB2_1788:                             ;   in Loop: Header=BB2_1591 Depth=2
	s_or_b64 exec, exec, s[52:53]
.LBB2_1789:                             ;   in Loop: Header=BB2_1591 Depth=2
	s_or_b64 exec, exec, s[18:19]
	v_cmp_ne_u16_sdwa vcc, v20, v53 src0_sel:BYTE_0 src1_sel:DWORD
	s_and_saveexec_b64 s[18:19], vcc
	s_cbranch_execz .LBB2_1795
; %bb.1790:                             ;   in Loop: Header=BB2_1591 Depth=2
	v_cmp_ne_u16_sdwa vcc, v20, s68 src0_sel:BYTE_0 src1_sel:DWORD
	v_bfrev_b32_e32 v2, 1
	s_and_saveexec_b64 s[52:53], vcc
	s_cbranch_execz .LBB2_1794
; %bb.1791:                             ;   in Loop: Header=BB2_1591 Depth=2
	v_and_b32_e32 v4, 0x7f, v20
	v_cmp_ne_u32_e32 vcc, s69, v4
	v_mov_b32_e32 v2, 0x7f800001
	s_and_saveexec_b64 s[54:55], vcc
	s_cbranch_execz .LBB2_1793
; %bb.1792:                             ;   in Loop: Header=BB2_1591 Depth=2
	v_and_b32_e32 v2, 7, v20
	v_ffbh_u32_e32 v2, v2
	v_min_u32_e32 v2, 32, v2
	v_subrev_u32_e32 v6, 28, v2
	v_cmp_gt_u32_e32 vcc, 8, v4
	v_lshrrev_b32_e32 v5, 3, v4
	v_sub_u32_e32 v2, 29, v2
	v_cndmask_b32_e32 v4, 0, v6, vcc
	v_cndmask_b32_e32 v2, v5, v2, vcc
	v_lshlrev_b64 v[4:5], v4, v[20:21]
	v_lshlrev_b32_e32 v4, 20, v4
	v_lshlrev_b32_e32 v5, 24, v20
	v_and_b32_e32 v4, 0x700000, v4
	v_and_b32_e32 v5, 0x80000000, v5
	v_lshl_add_u32 v2, v2, 23, v27
	v_or3_b32 v2, v5, v2, v4
.LBB2_1793:                             ;   in Loop: Header=BB2_1591 Depth=2
	s_or_b64 exec, exec, s[54:55]
.LBB2_1794:                             ;   in Loop: Header=BB2_1591 Depth=2
	s_or_b64 exec, exec, s[52:53]
.LBB2_1795:                             ;   in Loop: Header=BB2_1591 Depth=2
	s_or_b64 exec, exec, s[18:19]
	v_add_f32_e32 v2, v3, v2
	v_and_b32_sdwa v4, v2, s68 dst_sel:DWORD dst_unused:UNUSED_PAD src0_sel:BYTE_3 src1_sel:DWORD
	v_and_b32_e32 v6, 0x7f800000, v2
	v_mov_b32_e32 v7, v53
	v_and_b32_e32 v52, 0x7fffff, v2
	v_or_b32_e32 v22, 0x7e, v4
	v_cmp_ne_u64_e32 vcc, s[38:39], v[6:7]
	s_and_saveexec_b64 s[18:19], vcc
	s_xor_b64 s[52:53], exec, s[18:19]
	s_cbranch_execz .LBB2_1805
; %bb.1796:                             ;   in Loop: Header=BB2_1591 Depth=2
	v_and_b32_e32 v6, 0x7fffffff, v2
	v_mov_b32_e32 v7, v53
	v_cmp_gt_u64_e32 vcc, s[40:41], v[6:7]
	s_and_saveexec_b64 s[54:55], vcc
	s_cbranch_execz .LBB2_1804
; %bb.1797:                             ;   in Loop: Header=BB2_1591 Depth=2
	v_cmp_ne_u32_e32 vcc, 0, v2
	v_mov_b32_e32 v22, 0
	s_and_saveexec_b64 s[56:57], vcc
	s_cbranch_execz .LBB2_1803
; %bb.1798:                             ;   in Loop: Header=BB2_1591 Depth=2
	v_bfe_u32 v2, v2, 23, 8
	v_sub_u32_e32 v5, 0x79, v2
	v_cmp_gt_u32_e32 vcc, s71, v2
	v_add_u32_e32 v3, 0xffffff81, v2
	v_cndmask_b32_e32 v5, 0, v5, vcc
	v_cmp_eq_u32_e32 vcc, 0, v2
	v_mov_b32_e32 v2, 0xffffff82
	v_cndmask_b32_e32 v18, v3, v2, vcc
	v_mov_b32_e32 v2, 0x78
	v_or_b32_e32 v6, 0x800000, v52
	v_cndmask_b32_e32 v5, v5, v2, vcc
	v_cndmask_b32_e32 v52, v6, v52, vcc
	v_add_u32_e32 v2, 20, v5
	v_lshlrev_b64 v[2:3], v2, -1
	v_lshrrev_b64 v[8:9], v5, v[52:53]
	v_not_b32_e32 v3, v3
	v_not_b32_e32 v2, v2
	v_add_u32_e32 v6, 19, v5
	v_lshrrev_b32_e32 v22, 23, v8
	v_and_b32_e32 v3, 0, v3
	v_and_b32_e32 v2, v52, v2
	v_lshlrev_b64 v[6:7], v6, 1
	v_add3_u32 v22, v5, v18, v22
	v_bfe_u32 v5, v8, 20, 1
	v_add_u32_e32 v5, -1, v5
	v_cmp_eq_u64_e32 vcc, v[2:3], v[6:7]
	v_cndmask_b32_e32 v2, 0, v5, vcc
	v_add_u32_e32 v2, v2, v8
	v_and_b32_e32 v2, 0xfffff, v2
	v_add_co_u32_e32 v2, vcc, v2, v8
	v_add_u32_e32 v18, 6, v22
	v_addc_co_u32_e32 v3, vcc, 0, v9, vcc
	v_cmp_ne_u32_e32 vcc, 0, v18
                                        ; implicit-def: $vgpr5
	s_and_saveexec_b64 s[18:19], vcc
	s_xor_b64 s[18:19], exec, s[18:19]
; %bb.1799:                             ;   in Loop: Header=BB2_1591 Depth=2
	v_cmp_lt_u64_e32 vcc, s[44:45], v[2:3]
	v_add_u32_e32 v5, 7, v22
	v_cndmask_b32_e64 v6, 0, 1, vcc
	v_cndmask_b32_e32 v5, v18, v5, vcc
	v_lshrrev_b64 v[2:3], v6, v[2:3]
; %bb.1800:                             ;   in Loop: Header=BB2_1591 Depth=2
	s_andn2_saveexec_b64 s[18:19], s[18:19]
; %bb.1801:                             ;   in Loop: Header=BB2_1591 Depth=2
	v_bfe_u32 v5, v2, 23, 1
; %bb.1802:                             ;   in Loop: Header=BB2_1591 Depth=2
	s_or_b64 exec, exec, s[18:19]
	v_lshrrev_b64 v[2:3], 20, v[2:3]
	v_cmp_gt_i32_e32 vcc, 16, v5
	v_cndmask_b32_e32 v3, 0, v3, vcc
	v_cndmask_b32_e32 v2, 7, v2, vcc
	v_cmp_eq_u64_e64 s[18:19], 0, v[2:3]
	v_min_i32_e32 v3, 15, v5
	v_cmp_eq_u32_e32 vcc, 0, v5
	v_lshlrev_b32_e32 v3, 3, v3
	v_and_or_b32 v2, v2, 7, v3
	s_and_b64 s[18:19], vcc, s[18:19]
	v_cndmask_b32_e64 v2, v2, 0, s[18:19]
	v_or_b32_e32 v22, v2, v4
.LBB2_1803:                             ;   in Loop: Header=BB2_1591 Depth=2
	s_or_b64 exec, exec, s[56:57]
.LBB2_1804:                             ;   in Loop: Header=BB2_1591 Depth=2
	s_or_b64 exec, exec, s[54:55]
                                        ; implicit-def: $vgpr2
.LBB2_1805:                             ;   in Loop: Header=BB2_1591 Depth=2
	s_andn2_saveexec_b64 s[18:19], s[52:53]
; %bb.1806:                             ;   in Loop: Header=BB2_1591 Depth=2
	v_or_b32_sdwa v2, v2, s69 dst_sel:DWORD dst_unused:UNUSED_PAD src0_sel:BYTE_3 src1_sel:DWORD
	v_cmp_eq_u64_e32 vcc, 0, v[52:53]
	v_cndmask_b32_e32 v22, v2, v22, vcc
; %bb.1807:                             ;   in Loop: Header=BB2_1591 Depth=2
	s_or_b64 exec, exec, s[18:19]
	v_lshrrev_b16_e32 v2, 8, v24
	v_cmp_ne_u16_e32 vcc, 0, v2
	v_mov_b32_e32 v3, 0
	v_mov_b32_e32 v4, 0
	s_and_saveexec_b64 s[18:19], vcc
	s_cbranch_execz .LBB2_1813
; %bb.1808:                             ;   in Loop: Header=BB2_1591 Depth=2
	v_cmp_ne_u16_e32 vcc, s68, v2
	v_bfrev_b32_e32 v4, 1
	s_and_saveexec_b64 s[52:53], vcc
	s_cbranch_execz .LBB2_1812
; %bb.1809:                             ;   in Loop: Header=BB2_1591 Depth=2
	v_and_b32_e32 v5, 0x7f, v2
	v_cmp_ne_u32_e32 vcc, s69, v5
	v_mov_b32_e32 v4, 0x7f800001
	s_and_saveexec_b64 s[54:55], vcc
	s_cbranch_execz .LBB2_1811
; %bb.1810:                             ;   in Loop: Header=BB2_1591 Depth=2
	v_and_b32_e32 v4, 7, v2
	v_ffbh_u32_e32 v6, v4
	v_min_u32_e32 v9, 32, v6
	v_subrev_u32_e32 v6, 28, v9
	v_lshlrev_b64 v[6:7], v6, v[2:3]
	v_lshrrev_b32_e32 v8, 3, v5
	v_sub_u32_e32 v2, 29, v9
	v_and_b32_e32 v6, 7, v6
	v_cmp_gt_u32_e32 vcc, 8, v5
	v_cndmask_b32_e32 v2, v8, v2, vcc
	v_cndmask_b32_e32 v4, v4, v6, vcc
	v_lshlrev_b32_e32 v5, 16, v24
	v_lshlrev_b32_e32 v4, 20, v4
	v_and_b32_e32 v5, 0x80000000, v5
	v_lshl_add_u32 v2, v2, 23, v27
	v_or3_b32 v4, v5, v2, v4
.LBB2_1811:                             ;   in Loop: Header=BB2_1591 Depth=2
	s_or_b64 exec, exec, s[54:55]
.LBB2_1812:                             ;   in Loop: Header=BB2_1591 Depth=2
	s_or_b64 exec, exec, s[52:53]
.LBB2_1813:                             ;   in Loop: Header=BB2_1591 Depth=2
	s_or_b64 exec, exec, s[18:19]
	v_lshrrev_b16_e32 v2, 8, v20
	v_cmp_ne_u16_e32 vcc, 0, v2
	s_and_saveexec_b64 s[18:19], vcc
	s_cbranch_execz .LBB2_1819
; %bb.1814:                             ;   in Loop: Header=BB2_1591 Depth=2
	v_cmp_ne_u16_e32 vcc, s68, v2
	v_bfrev_b32_e32 v3, 1
	s_and_saveexec_b64 s[52:53], vcc
	s_cbranch_execz .LBB2_1818
; %bb.1815:                             ;   in Loop: Header=BB2_1591 Depth=2
	v_and_b32_e32 v5, 0x7f, v2
	v_cmp_ne_u32_e32 vcc, s69, v5
	v_mov_b32_e32 v3, 0x7f800001
	s_and_saveexec_b64 s[54:55], vcc
	s_cbranch_execz .LBB2_1817
; %bb.1816:                             ;   in Loop: Header=BB2_1591 Depth=2
	v_and_b32_e32 v6, 7, v2
	v_ffbh_u32_e32 v3, v6
	v_min_u32_e32 v8, 32, v3
	v_subrev_u32_e32 v3, 28, v8
	v_lshlrev_b64 v[2:3], v3, v[2:3]
	v_lshrrev_b32_e32 v7, 3, v5
	v_sub_u32_e32 v3, 29, v8
	v_and_b32_e32 v2, 7, v2
	v_cmp_gt_u32_e32 vcc, 8, v5
	v_cndmask_b32_e32 v3, v7, v3, vcc
	v_cndmask_b32_e32 v2, v6, v2, vcc
	v_lshlrev_b32_e32 v5, 16, v20
	v_lshlrev_b32_e32 v2, 20, v2
	v_and_b32_e32 v5, 0x80000000, v5
	v_lshl_add_u32 v3, v3, 23, v27
	v_or3_b32 v3, v5, v3, v2
.LBB2_1817:                             ;   in Loop: Header=BB2_1591 Depth=2
	s_or_b64 exec, exec, s[54:55]
.LBB2_1818:                             ;   in Loop: Header=BB2_1591 Depth=2
	s_or_b64 exec, exec, s[52:53]
.LBB2_1819:                             ;   in Loop: Header=BB2_1591 Depth=2
	s_or_b64 exec, exec, s[18:19]
	v_add_f32_e32 v2, v4, v3
	v_and_b32_sdwa v4, v2, s68 dst_sel:DWORD dst_unused:UNUSED_PAD src0_sel:BYTE_3 src1_sel:DWORD
	v_and_b32_e32 v6, 0x7f800000, v2
	v_mov_b32_e32 v7, v53
	v_and_b32_e32 v52, 0x7fffff, v2
	v_or_b32_e32 v23, 0x7e, v4
	v_cmp_ne_u64_e32 vcc, s[38:39], v[6:7]
	s_and_saveexec_b64 s[18:19], vcc
	s_xor_b64 s[52:53], exec, s[18:19]
	s_cbranch_execz .LBB2_1829
; %bb.1820:                             ;   in Loop: Header=BB2_1591 Depth=2
	v_and_b32_e32 v6, 0x7fffffff, v2
	v_mov_b32_e32 v7, v53
	v_cmp_gt_u64_e32 vcc, s[40:41], v[6:7]
	s_and_saveexec_b64 s[54:55], vcc
	s_cbranch_execz .LBB2_1828
; %bb.1821:                             ;   in Loop: Header=BB2_1591 Depth=2
	v_cmp_ne_u32_e32 vcc, 0, v2
	v_mov_b32_e32 v23, 0
	s_and_saveexec_b64 s[56:57], vcc
	s_cbranch_execz .LBB2_1827
; %bb.1822:                             ;   in Loop: Header=BB2_1591 Depth=2
	v_bfe_u32 v2, v2, 23, 8
	v_sub_u32_e32 v5, 0x79, v2
	v_cmp_gt_u32_e32 vcc, s71, v2
	v_add_u32_e32 v3, 0xffffff81, v2
	v_cndmask_b32_e32 v5, 0, v5, vcc
	v_cmp_eq_u32_e32 vcc, 0, v2
	v_mov_b32_e32 v2, 0xffffff82
	v_cndmask_b32_e32 v18, v3, v2, vcc
	v_mov_b32_e32 v2, 0x78
	v_or_b32_e32 v6, 0x800000, v52
	v_cndmask_b32_e32 v5, v5, v2, vcc
	v_cndmask_b32_e32 v52, v6, v52, vcc
	v_add_u32_e32 v2, 20, v5
	v_lshlrev_b64 v[2:3], v2, -1
	v_lshrrev_b64 v[8:9], v5, v[52:53]
	v_not_b32_e32 v3, v3
	v_not_b32_e32 v2, v2
	v_add_u32_e32 v6, 19, v5
	v_lshrrev_b32_e32 v23, 23, v8
	v_and_b32_e32 v3, 0, v3
	v_and_b32_e32 v2, v52, v2
	v_lshlrev_b64 v[6:7], v6, 1
	v_add3_u32 v23, v5, v18, v23
	v_bfe_u32 v5, v8, 20, 1
	v_add_u32_e32 v5, -1, v5
	v_cmp_eq_u64_e32 vcc, v[2:3], v[6:7]
	v_cndmask_b32_e32 v2, 0, v5, vcc
	v_add_u32_e32 v2, v2, v8
	v_and_b32_e32 v2, 0xfffff, v2
	v_add_co_u32_e32 v2, vcc, v2, v8
	v_add_u32_e32 v18, 6, v23
	v_addc_co_u32_e32 v3, vcc, 0, v9, vcc
	v_cmp_ne_u32_e32 vcc, 0, v18
                                        ; implicit-def: $vgpr5
	s_and_saveexec_b64 s[18:19], vcc
	s_xor_b64 s[18:19], exec, s[18:19]
; %bb.1823:                             ;   in Loop: Header=BB2_1591 Depth=2
	v_cmp_lt_u64_e32 vcc, s[44:45], v[2:3]
	v_add_u32_e32 v5, 7, v23
	v_cndmask_b32_e64 v6, 0, 1, vcc
	v_cndmask_b32_e32 v5, v18, v5, vcc
	v_lshrrev_b64 v[2:3], v6, v[2:3]
; %bb.1824:                             ;   in Loop: Header=BB2_1591 Depth=2
	s_andn2_saveexec_b64 s[18:19], s[18:19]
; %bb.1825:                             ;   in Loop: Header=BB2_1591 Depth=2
	v_bfe_u32 v5, v2, 23, 1
; %bb.1826:                             ;   in Loop: Header=BB2_1591 Depth=2
	s_or_b64 exec, exec, s[18:19]
	v_lshrrev_b64 v[2:3], 20, v[2:3]
	v_cmp_gt_i32_e32 vcc, 16, v5
	v_cndmask_b32_e32 v3, 0, v3, vcc
	v_cndmask_b32_e32 v2, 7, v2, vcc
	v_cmp_eq_u64_e64 s[18:19], 0, v[2:3]
	v_min_i32_e32 v3, 15, v5
	v_cmp_eq_u32_e32 vcc, 0, v5
	v_lshlrev_b32_e32 v3, 3, v3
	v_and_or_b32 v2, v2, 7, v3
	s_and_b64 s[18:19], vcc, s[18:19]
	v_cndmask_b32_e64 v2, v2, 0, s[18:19]
	v_or_b32_e32 v23, v2, v4
.LBB2_1827:                             ;   in Loop: Header=BB2_1591 Depth=2
	s_or_b64 exec, exec, s[56:57]
.LBB2_1828:                             ;   in Loop: Header=BB2_1591 Depth=2
	s_or_b64 exec, exec, s[54:55]
                                        ; implicit-def: $vgpr2
.LBB2_1829:                             ;   in Loop: Header=BB2_1591 Depth=2
	s_andn2_saveexec_b64 s[18:19], s[52:53]
; %bb.1830:                             ;   in Loop: Header=BB2_1591 Depth=2
	v_or_b32_sdwa v2, v2, s69 dst_sel:DWORD dst_unused:UNUSED_PAD src0_sel:BYTE_3 src1_sel:DWORD
	v_cmp_eq_u64_e32 vcc, 0, v[52:53]
	v_cndmask_b32_e32 v23, v2, v23, vcc
; %bb.1831:                             ;   in Loop: Header=BB2_1591 Depth=2
	s_or_b64 exec, exec, s[18:19]
	v_lshrrev_b32_e32 v2, 16, v24
	v_cmp_ne_u16_sdwa vcc, v2, v53 src0_sel:BYTE_0 src1_sel:DWORD
	v_mov_b32_e32 v3, 0
	v_mov_b32_e32 v4, 0
	s_and_saveexec_b64 s[18:19], vcc
	s_cbranch_execz .LBB2_1837
; %bb.1832:                             ;   in Loop: Header=BB2_1591 Depth=2
	v_cmp_ne_u16_sdwa vcc, v2, s68 src0_sel:BYTE_0 src1_sel:DWORD
	v_bfrev_b32_e32 v4, 1
	s_and_saveexec_b64 s[52:53], vcc
	s_cbranch_execz .LBB2_1836
; %bb.1833:                             ;   in Loop: Header=BB2_1591 Depth=2
	v_bfe_u32 v5, v24, 16, 7
	v_cmp_ne_u32_e32 vcc, s69, v5
	v_mov_b32_e32 v4, 0x7f800001
	s_and_saveexec_b64 s[54:55], vcc
	s_cbranch_execz .LBB2_1835
; %bb.1834:                             ;   in Loop: Header=BB2_1591 Depth=2
	v_and_b32_e32 v4, 7, v2
	v_ffbh_u32_e32 v6, v4
	v_min_u32_e32 v9, 32, v6
	v_subrev_u32_e32 v6, 28, v9
	v_lshlrev_b64 v[6:7], v6, v[2:3]
	v_lshrrev_b32_e32 v8, 3, v5
	v_sub_u32_e32 v7, 29, v9
	v_and_b32_e32 v6, 7, v6
	v_cmp_gt_u32_e32 vcc, 8, v5
	v_cndmask_b32_e32 v5, v8, v7, vcc
	v_cndmask_b32_e32 v4, v4, v6, vcc
	v_lshlrev_b32_e32 v2, 24, v2
	v_lshlrev_b32_e32 v4, 20, v4
	v_and_b32_e32 v2, 0x80000000, v2
	v_lshl_add_u32 v5, v5, 23, v27
	v_or3_b32 v4, v2, v5, v4
.LBB2_1835:                             ;   in Loop: Header=BB2_1591 Depth=2
	s_or_b64 exec, exec, s[54:55]
.LBB2_1836:                             ;   in Loop: Header=BB2_1591 Depth=2
	s_or_b64 exec, exec, s[52:53]
.LBB2_1837:                             ;   in Loop: Header=BB2_1591 Depth=2
	s_or_b64 exec, exec, s[18:19]
	v_lshrrev_b32_e32 v2, 16, v20
	v_cmp_ne_u16_sdwa vcc, v2, v53 src0_sel:BYTE_0 src1_sel:DWORD
	s_and_saveexec_b64 s[18:19], vcc
	s_cbranch_execz .LBB2_1843
; %bb.1838:                             ;   in Loop: Header=BB2_1591 Depth=2
	v_cmp_ne_u16_sdwa vcc, v2, s68 src0_sel:BYTE_0 src1_sel:DWORD
	v_bfrev_b32_e32 v3, 1
	s_and_saveexec_b64 s[52:53], vcc
	s_cbranch_execz .LBB2_1842
; %bb.1839:                             ;   in Loop: Header=BB2_1591 Depth=2
	v_bfe_u32 v5, v20, 16, 7
	v_cmp_ne_u32_e32 vcc, s69, v5
	v_mov_b32_e32 v3, 0x7f800001
	s_and_saveexec_b64 s[54:55], vcc
	s_cbranch_execz .LBB2_1841
; %bb.1840:                             ;   in Loop: Header=BB2_1591 Depth=2
	v_and_b32_e32 v6, 7, v2
	v_ffbh_u32_e32 v3, v6
	v_min_u32_e32 v8, 32, v3
	v_subrev_u32_e32 v3, 28, v8
	v_lshlrev_b64 v[2:3], v3, v[2:3]
	v_lshrrev_b32_e32 v7, 3, v5
	v_sub_u32_e32 v3, 29, v8
	v_and_b32_e32 v2, 7, v2
	v_cmp_gt_u32_e32 vcc, 8, v5
	v_cndmask_b32_e32 v3, v7, v3, vcc
	v_cndmask_b32_e32 v2, v6, v2, vcc
	v_lshlrev_b32_e32 v5, 8, v20
	v_lshlrev_b32_e32 v2, 20, v2
	v_and_b32_e32 v5, 0x80000000, v5
	v_lshl_add_u32 v3, v3, 23, v27
	v_or3_b32 v3, v5, v3, v2
.LBB2_1841:                             ;   in Loop: Header=BB2_1591 Depth=2
	s_or_b64 exec, exec, s[54:55]
.LBB2_1842:                             ;   in Loop: Header=BB2_1591 Depth=2
	s_or_b64 exec, exec, s[52:53]
.LBB2_1843:                             ;   in Loop: Header=BB2_1591 Depth=2
	s_or_b64 exec, exec, s[18:19]
	v_add_f32_e32 v2, v4, v3
	v_and_b32_sdwa v4, v2, s68 dst_sel:DWORD dst_unused:UNUSED_PAD src0_sel:BYTE_3 src1_sel:DWORD
	v_and_b32_e32 v6, 0x7f800000, v2
	v_mov_b32_e32 v7, v53
	v_and_b32_e32 v52, 0x7fffff, v2
	v_or_b32_e32 v31, 0x7e, v4
	v_cmp_ne_u64_e32 vcc, s[38:39], v[6:7]
	s_and_saveexec_b64 s[18:19], vcc
	s_xor_b64 s[52:53], exec, s[18:19]
	s_cbranch_execz .LBB2_1853
; %bb.1844:                             ;   in Loop: Header=BB2_1591 Depth=2
	v_and_b32_e32 v6, 0x7fffffff, v2
	v_mov_b32_e32 v7, v53
	v_cmp_gt_u64_e32 vcc, s[40:41], v[6:7]
	s_and_saveexec_b64 s[54:55], vcc
	s_cbranch_execz .LBB2_1852
; %bb.1845:                             ;   in Loop: Header=BB2_1591 Depth=2
	v_cmp_ne_u32_e32 vcc, 0, v2
	v_mov_b32_e32 v31, 0
	s_and_saveexec_b64 s[56:57], vcc
	s_cbranch_execz .LBB2_1851
; %bb.1846:                             ;   in Loop: Header=BB2_1591 Depth=2
	v_bfe_u32 v2, v2, 23, 8
	v_sub_u32_e32 v5, 0x79, v2
	v_cmp_gt_u32_e32 vcc, s71, v2
	v_add_u32_e32 v3, 0xffffff81, v2
	v_cndmask_b32_e32 v5, 0, v5, vcc
	v_cmp_eq_u32_e32 vcc, 0, v2
	v_mov_b32_e32 v2, 0xffffff82
	v_cndmask_b32_e32 v18, v3, v2, vcc
	v_mov_b32_e32 v2, 0x78
	v_or_b32_e32 v6, 0x800000, v52
	v_cndmask_b32_e32 v5, v5, v2, vcc
	v_cndmask_b32_e32 v52, v6, v52, vcc
	v_add_u32_e32 v2, 20, v5
	v_lshlrev_b64 v[2:3], v2, -1
	v_lshrrev_b64 v[8:9], v5, v[52:53]
	v_not_b32_e32 v3, v3
	v_not_b32_e32 v2, v2
	v_add_u32_e32 v6, 19, v5
	v_lshrrev_b32_e32 v26, 23, v8
	v_and_b32_e32 v3, 0, v3
	v_and_b32_e32 v2, v52, v2
	v_lshlrev_b64 v[6:7], v6, 1
	v_add3_u32 v26, v5, v18, v26
	v_bfe_u32 v5, v8, 20, 1
	v_add_u32_e32 v5, -1, v5
	v_cmp_eq_u64_e32 vcc, v[2:3], v[6:7]
	v_cndmask_b32_e32 v2, 0, v5, vcc
	v_add_u32_e32 v2, v2, v8
	v_and_b32_e32 v2, 0xfffff, v2
	v_add_co_u32_e32 v2, vcc, v2, v8
	v_add_u32_e32 v18, 6, v26
	v_addc_co_u32_e32 v3, vcc, 0, v9, vcc
	v_cmp_ne_u32_e32 vcc, 0, v18
                                        ; implicit-def: $vgpr5
	s_and_saveexec_b64 s[18:19], vcc
	s_xor_b64 s[18:19], exec, s[18:19]
; %bb.1847:                             ;   in Loop: Header=BB2_1591 Depth=2
	v_cmp_lt_u64_e32 vcc, s[44:45], v[2:3]
	v_add_u32_e32 v5, 7, v26
	v_cndmask_b32_e64 v6, 0, 1, vcc
	v_cndmask_b32_e32 v5, v18, v5, vcc
	v_lshrrev_b64 v[2:3], v6, v[2:3]
; %bb.1848:                             ;   in Loop: Header=BB2_1591 Depth=2
	s_andn2_saveexec_b64 s[18:19], s[18:19]
; %bb.1849:                             ;   in Loop: Header=BB2_1591 Depth=2
	v_bfe_u32 v5, v2, 23, 1
; %bb.1850:                             ;   in Loop: Header=BB2_1591 Depth=2
	s_or_b64 exec, exec, s[18:19]
	v_lshrrev_b64 v[2:3], 20, v[2:3]
	v_cmp_gt_i32_e32 vcc, 16, v5
	v_cndmask_b32_e32 v3, 0, v3, vcc
	v_cndmask_b32_e32 v2, 7, v2, vcc
	v_cmp_eq_u64_e64 s[18:19], 0, v[2:3]
	v_min_i32_e32 v3, 15, v5
	v_cmp_eq_u32_e32 vcc, 0, v5
	v_lshlrev_b32_e32 v3, 3, v3
	v_and_or_b32 v2, v2, 7, v3
	s_and_b64 s[18:19], vcc, s[18:19]
	v_cndmask_b32_e64 v2, v2, 0, s[18:19]
	v_or_b32_e32 v31, v2, v4
.LBB2_1851:                             ;   in Loop: Header=BB2_1591 Depth=2
	s_or_b64 exec, exec, s[56:57]
.LBB2_1852:                             ;   in Loop: Header=BB2_1591 Depth=2
	s_or_b64 exec, exec, s[54:55]
                                        ; implicit-def: $vgpr2
.LBB2_1853:                             ;   in Loop: Header=BB2_1591 Depth=2
	s_andn2_saveexec_b64 s[18:19], s[52:53]
; %bb.1854:                             ;   in Loop: Header=BB2_1591 Depth=2
	v_or_b32_sdwa v2, v2, s69 dst_sel:DWORD dst_unused:UNUSED_PAD src0_sel:BYTE_3 src1_sel:DWORD
	v_cmp_eq_u64_e32 vcc, 0, v[52:53]
	v_cndmask_b32_e32 v31, v2, v31, vcc
; %bb.1855:                             ;   in Loop: Header=BB2_1591 Depth=2
	s_or_b64 exec, exec, s[18:19]
	v_cmp_lt_u32_e32 vcc, s43, v24
	v_mov_b32_e32 v3, 0
	v_mov_b32_e32 v4, 0
	s_and_saveexec_b64 s[18:19], vcc
	s_cbranch_execz .LBB2_1861
; %bb.1856:                             ;   in Loop: Header=BB2_1591 Depth=2
	v_lshrrev_b32_e32 v2, 24, v24
	v_cmp_ne_u32_e32 vcc, s68, v2
	v_bfrev_b32_e32 v4, 1
	s_and_saveexec_b64 s[52:53], vcc
	s_cbranch_execz .LBB2_1860
; %bb.1857:                             ;   in Loop: Header=BB2_1591 Depth=2
	v_bfe_u32 v5, v24, 24, 7
	v_cmp_ne_u32_e32 vcc, s69, v5
	v_mov_b32_e32 v4, 0x7f800001
	s_and_saveexec_b64 s[54:55], vcc
	s_cbranch_execz .LBB2_1859
; %bb.1858:                             ;   in Loop: Header=BB2_1591 Depth=2
	v_and_b32_e32 v4, 7, v2
	v_ffbh_u32_e32 v6, v4
	v_min_u32_e32 v9, 32, v6
	v_subrev_u32_e32 v6, 28, v9
	v_lshlrev_b64 v[6:7], v6, v[2:3]
	v_lshrrev_b32_e32 v8, 3, v5
	v_sub_u32_e32 v7, 29, v9
	v_and_b32_e32 v6, 7, v6
	v_cmp_gt_u32_e32 vcc, 8, v5
	v_cndmask_b32_e32 v5, v8, v7, vcc
	v_cndmask_b32_e32 v4, v4, v6, vcc
	v_lshlrev_b32_e32 v2, 24, v2
	v_lshlrev_b32_e32 v4, 20, v4
	v_and_b32_e32 v2, 0x80000000, v2
	v_lshl_add_u32 v5, v5, 23, v27
	v_or3_b32 v4, v2, v5, v4
.LBB2_1859:                             ;   in Loop: Header=BB2_1591 Depth=2
	s_or_b64 exec, exec, s[54:55]
.LBB2_1860:                             ;   in Loop: Header=BB2_1591 Depth=2
	s_or_b64 exec, exec, s[52:53]
.LBB2_1861:                             ;   in Loop: Header=BB2_1591 Depth=2
	s_or_b64 exec, exec, s[18:19]
	v_cmp_lt_u32_e32 vcc, s43, v20
	s_and_saveexec_b64 s[18:19], vcc
	s_cbranch_execz .LBB2_1867
; %bb.1862:                             ;   in Loop: Header=BB2_1591 Depth=2
	v_lshrrev_b32_e32 v2, 24, v20
	v_cmp_ne_u32_e32 vcc, s68, v2
	v_bfrev_b32_e32 v3, 1
	s_and_saveexec_b64 s[52:53], vcc
	s_cbranch_execz .LBB2_1866
; %bb.1863:                             ;   in Loop: Header=BB2_1591 Depth=2
	v_bfe_u32 v5, v20, 24, 7
	v_cmp_ne_u32_e32 vcc, s69, v5
	v_mov_b32_e32 v3, 0x7f800001
	s_and_saveexec_b64 s[54:55], vcc
	s_cbranch_execz .LBB2_1865
; %bb.1864:                             ;   in Loop: Header=BB2_1591 Depth=2
	v_and_b32_e32 v3, 7, v2
	v_ffbh_u32_e32 v6, v3
	v_min_u32_e32 v9, 32, v6
	v_subrev_u32_e32 v6, 28, v9
	v_lshlrev_b64 v[6:7], v6, v[2:3]
	v_lshrrev_b32_e32 v8, 3, v5
	v_sub_u32_e32 v7, 29, v9
	v_and_b32_e32 v6, 7, v6
	v_cmp_gt_u32_e32 vcc, 8, v5
	v_cndmask_b32_e32 v5, v8, v7, vcc
	v_cndmask_b32_e32 v3, v3, v6, vcc
	v_lshlrev_b32_e32 v2, 24, v2
	v_lshlrev_b32_e32 v3, 20, v3
	v_and_b32_e32 v2, 0x80000000, v2
	v_lshl_add_u32 v5, v5, 23, v27
	v_or3_b32 v3, v2, v5, v3
.LBB2_1865:                             ;   in Loop: Header=BB2_1591 Depth=2
	s_or_b64 exec, exec, s[54:55]
.LBB2_1866:                             ;   in Loop: Header=BB2_1591 Depth=2
	s_or_b64 exec, exec, s[52:53]
.LBB2_1867:                             ;   in Loop: Header=BB2_1591 Depth=2
	s_or_b64 exec, exec, s[18:19]
	v_add_f32_e32 v2, v4, v3
	v_and_b32_sdwa v4, v2, s68 dst_sel:DWORD dst_unused:UNUSED_PAD src0_sel:BYTE_3 src1_sel:DWORD
	v_and_b32_e32 v6, 0x7f800000, v2
	v_mov_b32_e32 v7, v53
	v_and_b32_e32 v52, 0x7fffff, v2
	v_or_b32_e32 v41, 0x7e, v4
	v_cmp_ne_u64_e32 vcc, s[38:39], v[6:7]
	s_and_saveexec_b64 s[18:19], vcc
	s_xor_b64 s[52:53], exec, s[18:19]
	s_cbranch_execz .LBB2_1877
; %bb.1868:                             ;   in Loop: Header=BB2_1591 Depth=2
	v_and_b32_e32 v6, 0x7fffffff, v2
	v_mov_b32_e32 v7, v53
	v_cmp_gt_u64_e32 vcc, s[40:41], v[6:7]
	s_and_saveexec_b64 s[54:55], vcc
	s_cbranch_execz .LBB2_1876
; %bb.1869:                             ;   in Loop: Header=BB2_1591 Depth=2
	v_cmp_ne_u32_e32 vcc, 0, v2
	v_mov_b32_e32 v41, 0
	s_and_saveexec_b64 s[56:57], vcc
	s_cbranch_execz .LBB2_1875
; %bb.1870:                             ;   in Loop: Header=BB2_1591 Depth=2
	v_bfe_u32 v2, v2, 23, 8
	v_sub_u32_e32 v5, 0x79, v2
	v_cmp_gt_u32_e32 vcc, s71, v2
	v_add_u32_e32 v3, 0xffffff81, v2
	v_cndmask_b32_e32 v5, 0, v5, vcc
	v_cmp_eq_u32_e32 vcc, 0, v2
	v_mov_b32_e32 v2, 0xffffff82
	v_cndmask_b32_e32 v18, v3, v2, vcc
	v_mov_b32_e32 v2, 0x78
	v_or_b32_e32 v6, 0x800000, v52
	v_cndmask_b32_e32 v5, v5, v2, vcc
	v_cndmask_b32_e32 v52, v6, v52, vcc
	v_add_u32_e32 v2, 20, v5
	v_lshlrev_b64 v[2:3], v2, -1
	v_lshrrev_b64 v[8:9], v5, v[52:53]
	v_not_b32_e32 v3, v3
	v_not_b32_e32 v2, v2
	v_add_u32_e32 v6, 19, v5
	v_lshrrev_b32_e32 v26, 23, v8
	v_and_b32_e32 v3, 0, v3
	v_and_b32_e32 v2, v52, v2
	v_lshlrev_b64 v[6:7], v6, 1
	v_add3_u32 v26, v5, v18, v26
	v_bfe_u32 v5, v8, 20, 1
	v_add_u32_e32 v5, -1, v5
	v_cmp_eq_u64_e32 vcc, v[2:3], v[6:7]
	v_cndmask_b32_e32 v2, 0, v5, vcc
	v_add_u32_e32 v2, v2, v8
	v_and_b32_e32 v2, 0xfffff, v2
	v_add_co_u32_e32 v2, vcc, v2, v8
	v_add_u32_e32 v18, 6, v26
	v_addc_co_u32_e32 v3, vcc, 0, v9, vcc
	v_cmp_ne_u32_e32 vcc, 0, v18
                                        ; implicit-def: $vgpr5
	s_and_saveexec_b64 s[18:19], vcc
	s_xor_b64 s[18:19], exec, s[18:19]
; %bb.1871:                             ;   in Loop: Header=BB2_1591 Depth=2
	v_cmp_lt_u64_e32 vcc, s[44:45], v[2:3]
	v_add_u32_e32 v5, 7, v26
	v_cndmask_b32_e64 v6, 0, 1, vcc
	v_cndmask_b32_e32 v5, v18, v5, vcc
	v_lshrrev_b64 v[2:3], v6, v[2:3]
; %bb.1872:                             ;   in Loop: Header=BB2_1591 Depth=2
	s_andn2_saveexec_b64 s[18:19], s[18:19]
; %bb.1873:                             ;   in Loop: Header=BB2_1591 Depth=2
	v_bfe_u32 v5, v2, 23, 1
; %bb.1874:                             ;   in Loop: Header=BB2_1591 Depth=2
	s_or_b64 exec, exec, s[18:19]
	v_lshrrev_b64 v[2:3], 20, v[2:3]
	v_cmp_gt_i32_e32 vcc, 16, v5
	v_cndmask_b32_e32 v3, 0, v3, vcc
	v_cndmask_b32_e32 v2, 7, v2, vcc
	v_cmp_eq_u64_e64 s[18:19], 0, v[2:3]
	v_min_i32_e32 v3, 15, v5
	v_cmp_eq_u32_e32 vcc, 0, v5
	v_lshlrev_b32_e32 v3, 3, v3
	v_and_or_b32 v2, v2, 7, v3
	s_and_b64 s[18:19], vcc, s[18:19]
	v_cndmask_b32_e64 v2, v2, 0, s[18:19]
	v_or_b32_e32 v41, v2, v4
.LBB2_1875:                             ;   in Loop: Header=BB2_1591 Depth=2
	s_or_b64 exec, exec, s[56:57]
.LBB2_1876:                             ;   in Loop: Header=BB2_1591 Depth=2
	s_or_b64 exec, exec, s[54:55]
                                        ; implicit-def: $vgpr2
.LBB2_1877:                             ;   in Loop: Header=BB2_1591 Depth=2
	s_andn2_saveexec_b64 s[18:19], s[52:53]
; %bb.1878:                             ;   in Loop: Header=BB2_1591 Depth=2
	v_or_b32_sdwa v2, v2, s69 dst_sel:DWORD dst_unused:UNUSED_PAD src0_sel:BYTE_3 src1_sel:DWORD
	v_cmp_eq_u64_e32 vcc, 0, v[52:53]
	v_cndmask_b32_e32 v41, v2, v41, vcc
; %bb.1879:                             ;   in Loop: Header=BB2_1591 Depth=2
	s_or_b64 exec, exec, s[18:19]
	v_mov_b32_e32 v52, v25
	v_cmp_ne_u16_sdwa vcc, v25, v53 src0_sel:BYTE_0 src1_sel:DWORD
	v_mov_b32_e32 v3, 0
	v_mov_b32_e32 v2, 0
	s_and_saveexec_b64 s[18:19], vcc
	s_cbranch_execz .LBB2_1885
; %bb.1880:                             ;   in Loop: Header=BB2_1591 Depth=2
	v_cmp_ne_u16_sdwa vcc, v25, s68 src0_sel:BYTE_0 src1_sel:DWORD
	v_bfrev_b32_e32 v2, 1
	s_and_saveexec_b64 s[52:53], vcc
	s_cbranch_execz .LBB2_1884
; %bb.1881:                             ;   in Loop: Header=BB2_1591 Depth=2
	v_and_b32_e32 v4, 0x7f, v25
	v_cmp_ne_u32_e32 vcc, s69, v4
	v_mov_b32_e32 v2, 0x7f800001
	s_and_saveexec_b64 s[54:55], vcc
	s_cbranch_execz .LBB2_1883
; %bb.1882:                             ;   in Loop: Header=BB2_1591 Depth=2
	v_and_b32_e32 v2, 7, v25
	v_ffbh_u32_e32 v2, v2
	v_min_u32_e32 v2, 32, v2
	v_subrev_u32_e32 v6, 28, v2
	v_cmp_gt_u32_e32 vcc, 8, v4
	v_lshrrev_b32_e32 v5, 3, v4
	v_sub_u32_e32 v2, 29, v2
	v_cndmask_b32_e32 v4, 0, v6, vcc
	v_cndmask_b32_e32 v2, v5, v2, vcc
	v_lshlrev_b64 v[4:5], v4, v[52:53]
	v_lshlrev_b32_e32 v4, 20, v4
	v_lshlrev_b32_e32 v5, 24, v52
	v_and_b32_e32 v4, 0x700000, v4
	v_and_b32_e32 v5, 0x80000000, v5
	v_lshl_add_u32 v2, v2, 23, v27
	v_or3_b32 v2, v5, v2, v4
.LBB2_1883:                             ;   in Loop: Header=BB2_1591 Depth=2
	s_or_b64 exec, exec, s[54:55]
.LBB2_1884:                             ;   in Loop: Header=BB2_1591 Depth=2
	s_or_b64 exec, exec, s[52:53]
.LBB2_1885:                             ;   in Loop: Header=BB2_1591 Depth=2
	s_or_b64 exec, exec, s[18:19]
	v_cmp_ne_u16_sdwa vcc, v21, v53 src0_sel:BYTE_0 src1_sel:DWORD
	s_and_saveexec_b64 s[18:19], vcc
	s_cbranch_execz .LBB2_1891
; %bb.1886:                             ;   in Loop: Header=BB2_1591 Depth=2
	v_cmp_ne_u16_sdwa vcc, v21, s68 src0_sel:BYTE_0 src1_sel:DWORD
	v_bfrev_b32_e32 v3, 1
	s_and_saveexec_b64 s[52:53], vcc
	s_cbranch_execz .LBB2_1890
; %bb.1887:                             ;   in Loop: Header=BB2_1591 Depth=2
	v_and_b32_e32 v4, 0x7f, v21
	v_cmp_ne_u32_e32 vcc, s69, v4
	v_mov_b32_e32 v3, 0x7f800001
	s_and_saveexec_b64 s[54:55], vcc
	s_cbranch_execz .LBB2_1889
; %bb.1888:                             ;   in Loop: Header=BB2_1591 Depth=2
	v_and_b32_e32 v3, 7, v21
	v_ffbh_u32_e32 v3, v3
	v_min_u32_e32 v3, 32, v3
	v_subrev_u32_e32 v8, 28, v3
	v_cmp_gt_u32_e32 vcc, 8, v4
	v_mov_b32_e32 v6, v21
	v_mov_b32_e32 v7, v53
	v_lshrrev_b32_e32 v5, 3, v4
	v_sub_u32_e32 v3, 29, v3
	v_cndmask_b32_e32 v4, 0, v8, vcc
	v_cndmask_b32_e32 v3, v5, v3, vcc
	v_lshlrev_b64 v[4:5], v4, v[6:7]
	v_lshlrev_b32_e32 v4, 20, v4
	v_lshlrev_b32_e32 v5, 24, v6
	v_and_b32_e32 v4, 0x700000, v4
	v_and_b32_e32 v5, 0x80000000, v5
	v_lshl_add_u32 v3, v3, 23, v27
	v_or3_b32 v3, v5, v3, v4
.LBB2_1889:                             ;   in Loop: Header=BB2_1591 Depth=2
	s_or_b64 exec, exec, s[54:55]
.LBB2_1890:                             ;   in Loop: Header=BB2_1591 Depth=2
	s_or_b64 exec, exec, s[52:53]
.LBB2_1891:                             ;   in Loop: Header=BB2_1591 Depth=2
	s_or_b64 exec, exec, s[18:19]
	v_add_f32_e32 v5, v2, v3
	v_and_b32_sdwa v4, v5, s68 dst_sel:DWORD dst_unused:UNUSED_PAD src0_sel:BYTE_3 src1_sel:DWORD
	v_and_b32_e32 v6, 0x7f800000, v5
	v_mov_b32_e32 v7, v53
	v_and_b32_e32 v2, 0x7fffff, v5
	v_mov_b32_e32 v3, v53
	v_or_b32_e32 v50, 0x7e, v4
	v_cmp_ne_u64_e32 vcc, s[38:39], v[6:7]
	s_and_saveexec_b64 s[18:19], vcc
	s_xor_b64 s[52:53], exec, s[18:19]
	s_cbranch_execz .LBB2_1901
; %bb.1892:                             ;   in Loop: Header=BB2_1591 Depth=2
	v_and_b32_e32 v6, 0x7fffffff, v5
	v_mov_b32_e32 v7, v53
	v_cmp_gt_u64_e32 vcc, s[40:41], v[6:7]
	s_and_saveexec_b64 s[54:55], vcc
	s_cbranch_execz .LBB2_1900
; %bb.1893:                             ;   in Loop: Header=BB2_1591 Depth=2
	v_cmp_ne_u32_e32 vcc, 0, v5
	v_mov_b32_e32 v50, 0
	s_and_saveexec_b64 s[56:57], vcc
	s_cbranch_execz .LBB2_1899
; %bb.1894:                             ;   in Loop: Header=BB2_1591 Depth=2
	v_bfe_u32 v5, v5, 23, 8
	v_sub_u32_e32 v7, 0x79, v5
	v_cmp_gt_u32_e32 vcc, s71, v5
	v_add_u32_e32 v6, 0xffffff81, v5
	v_cndmask_b32_e32 v7, 0, v7, vcc
	v_cmp_eq_u32_e32 vcc, 0, v5
	v_mov_b32_e32 v5, 0xffffff82
	v_cndmask_b32_e32 v5, v6, v5, vcc
	v_mov_b32_e32 v6, 0x78
	v_cndmask_b32_e32 v18, v7, v6, vcc
	v_add_u32_e32 v6, 20, v18
	v_or_b32_e32 v8, 0x800000, v2
	v_lshlrev_b64 v[6:7], v6, -1
	v_cndmask_b32_e32 v2, v8, v2, vcc
	v_not_b32_e32 v6, v6
	v_and_b32_e32 v6, v2, v6
	v_lshrrev_b64 v[2:3], v18, v[2:3]
	v_not_b32_e32 v7, v7
	v_add_u32_e32 v8, 19, v18
	v_lshrrev_b32_e32 v26, 23, v2
	v_and_b32_e32 v7, 0, v7
	v_lshlrev_b64 v[8:9], v8, 1
	v_add3_u32 v26, v18, v5, v26
	v_bfe_u32 v5, v2, 20, 1
	v_add_u32_e32 v5, -1, v5
	v_cmp_eq_u64_e32 vcc, v[6:7], v[8:9]
	v_cndmask_b32_e32 v5, 0, v5, vcc
	v_add_u32_e32 v5, v5, v2
	v_and_b32_e32 v5, 0xfffff, v5
	v_add_co_u32_e32 v2, vcc, v5, v2
	v_add_u32_e32 v18, 6, v26
	v_addc_co_u32_e32 v3, vcc, 0, v3, vcc
	v_cmp_ne_u32_e32 vcc, 0, v18
                                        ; implicit-def: $vgpr5
	s_and_saveexec_b64 s[18:19], vcc
	s_xor_b64 s[18:19], exec, s[18:19]
; %bb.1895:                             ;   in Loop: Header=BB2_1591 Depth=2
	v_cmp_lt_u64_e32 vcc, s[44:45], v[2:3]
	v_add_u32_e32 v5, 7, v26
	v_cndmask_b32_e64 v6, 0, 1, vcc
	v_cndmask_b32_e32 v5, v18, v5, vcc
	v_lshrrev_b64 v[2:3], v6, v[2:3]
; %bb.1896:                             ;   in Loop: Header=BB2_1591 Depth=2
	s_andn2_saveexec_b64 s[18:19], s[18:19]
; %bb.1897:                             ;   in Loop: Header=BB2_1591 Depth=2
	v_bfe_u32 v5, v2, 23, 1
; %bb.1898:                             ;   in Loop: Header=BB2_1591 Depth=2
	s_or_b64 exec, exec, s[18:19]
	v_lshrrev_b64 v[2:3], 20, v[2:3]
	v_cmp_gt_i32_e32 vcc, 16, v5
	v_cndmask_b32_e32 v3, 0, v3, vcc
	v_cndmask_b32_e32 v2, 7, v2, vcc
	v_cmp_eq_u64_e64 s[18:19], 0, v[2:3]
	v_min_i32_e32 v3, 15, v5
	v_cmp_eq_u32_e32 vcc, 0, v5
	v_lshlrev_b32_e32 v3, 3, v3
	v_and_or_b32 v2, v2, 7, v3
	s_and_b64 s[18:19], vcc, s[18:19]
	v_cndmask_b32_e64 v2, v2, 0, s[18:19]
	v_or_b32_e32 v50, v2, v4
.LBB2_1899:                             ;   in Loop: Header=BB2_1591 Depth=2
	s_or_b64 exec, exec, s[56:57]
.LBB2_1900:                             ;   in Loop: Header=BB2_1591 Depth=2
	s_or_b64 exec, exec, s[54:55]
                                        ; implicit-def: $vgpr5
                                        ; implicit-def: $vgpr2_vgpr3
.LBB2_1901:                             ;   in Loop: Header=BB2_1591 Depth=2
	s_andn2_saveexec_b64 s[18:19], s[52:53]
; %bb.1902:                             ;   in Loop: Header=BB2_1591 Depth=2
	v_or_b32_sdwa v4, v5, s69 dst_sel:DWORD dst_unused:UNUSED_PAD src0_sel:BYTE_3 src1_sel:DWORD
	v_cmp_eq_u64_e32 vcc, 0, v[2:3]
	v_cndmask_b32_e32 v50, v4, v50, vcc
; %bb.1903:                             ;   in Loop: Header=BB2_1591 Depth=2
	s_or_b64 exec, exec, s[18:19]
	v_lshrrev_b16_e32 v2, 8, v52
	v_cmp_ne_u16_e32 vcc, 0, v2
	v_mov_b32_e32 v3, 0
	v_mov_b32_e32 v4, 0
	s_and_saveexec_b64 s[18:19], vcc
	s_cbranch_execz .LBB2_1909
; %bb.1904:                             ;   in Loop: Header=BB2_1591 Depth=2
	v_cmp_ne_u16_e32 vcc, s68, v2
	v_bfrev_b32_e32 v4, 1
	s_and_saveexec_b64 s[52:53], vcc
	s_cbranch_execz .LBB2_1908
; %bb.1905:                             ;   in Loop: Header=BB2_1591 Depth=2
	v_and_b32_e32 v5, 0x7f, v2
	v_cmp_ne_u32_e32 vcc, s69, v5
	v_mov_b32_e32 v4, 0x7f800001
	s_and_saveexec_b64 s[54:55], vcc
	s_cbranch_execz .LBB2_1907
; %bb.1906:                             ;   in Loop: Header=BB2_1591 Depth=2
	v_and_b32_e32 v4, 7, v2
	v_ffbh_u32_e32 v6, v4
	v_min_u32_e32 v9, 32, v6
	v_subrev_u32_e32 v6, 28, v9
	v_lshlrev_b64 v[6:7], v6, v[2:3]
	v_lshrrev_b32_e32 v8, 3, v5
	v_sub_u32_e32 v2, 29, v9
	v_and_b32_e32 v6, 7, v6
	v_cmp_gt_u32_e32 vcc, 8, v5
	v_cndmask_b32_e32 v2, v8, v2, vcc
	v_cndmask_b32_e32 v4, v4, v6, vcc
	v_lshlrev_b32_e32 v5, 16, v52
	v_lshlrev_b32_e32 v4, 20, v4
	v_and_b32_e32 v5, 0x80000000, v5
	v_lshl_add_u32 v2, v2, 23, v27
	v_or3_b32 v4, v5, v2, v4
.LBB2_1907:                             ;   in Loop: Header=BB2_1591 Depth=2
	s_or_b64 exec, exec, s[54:55]
.LBB2_1908:                             ;   in Loop: Header=BB2_1591 Depth=2
	s_or_b64 exec, exec, s[52:53]
.LBB2_1909:                             ;   in Loop: Header=BB2_1591 Depth=2
	s_or_b64 exec, exec, s[18:19]
	v_mov_b32_e32 v2, v21
	v_lshrrev_b16_e32 v18, 8, v2
	v_cmp_ne_u16_e32 vcc, 0, v18
	s_and_saveexec_b64 s[18:19], vcc
	s_cbranch_execz .LBB2_1915
; %bb.1910:                             ;   in Loop: Header=BB2_1591 Depth=2
	v_cmp_ne_u16_e32 vcc, s68, v18
	v_bfrev_b32_e32 v3, 1
	s_and_saveexec_b64 s[52:53], vcc
	s_cbranch_execz .LBB2_1914
; %bb.1911:                             ;   in Loop: Header=BB2_1591 Depth=2
	v_and_b32_e32 v5, 0x7f, v18
	v_cmp_ne_u32_e32 vcc, s69, v5
	v_mov_b32_e32 v3, 0x7f800001
	s_and_saveexec_b64 s[54:55], vcc
	s_cbranch_execz .LBB2_1913
; %bb.1912:                             ;   in Loop: Header=BB2_1591 Depth=2
	v_and_b32_e32 v3, 7, v18
	v_ffbh_u32_e32 v6, v3
	v_min_u32_e32 v9, 32, v6
	v_subrev_u32_e32 v6, 28, v9
	v_lshlrev_b64 v[6:7], v6, v[18:19]
	v_lshrrev_b32_e32 v8, 3, v5
	v_sub_u32_e32 v7, 29, v9
	v_and_b32_e32 v6, 7, v6
	v_cmp_gt_u32_e32 vcc, 8, v5
	v_cndmask_b32_e32 v5, v8, v7, vcc
	v_cndmask_b32_e32 v3, v3, v6, vcc
	v_lshlrev_b32_e32 v2, 16, v2
	v_lshlrev_b32_e32 v3, 20, v3
	v_and_b32_e32 v2, 0x80000000, v2
	v_lshl_add_u32 v5, v5, 23, v27
	v_or3_b32 v3, v2, v5, v3
.LBB2_1913:                             ;   in Loop: Header=BB2_1591 Depth=2
	s_or_b64 exec, exec, s[54:55]
.LBB2_1914:                             ;   in Loop: Header=BB2_1591 Depth=2
	s_or_b64 exec, exec, s[52:53]
.LBB2_1915:                             ;   in Loop: Header=BB2_1591 Depth=2
	s_or_b64 exec, exec, s[18:19]
	v_add_f32_e32 v2, v4, v3
	v_and_b32_sdwa v4, v2, s68 dst_sel:DWORD dst_unused:UNUSED_PAD src0_sel:BYTE_3 src1_sel:DWORD
	v_and_b32_e32 v6, 0x7f800000, v2
	v_mov_b32_e32 v7, v53
	v_and_b32_e32 v52, 0x7fffff, v2
	v_or_b32_e32 v44, 0x7e, v4
	v_cmp_ne_u64_e32 vcc, s[38:39], v[6:7]
	s_and_saveexec_b64 s[18:19], vcc
	s_xor_b64 s[52:53], exec, s[18:19]
	s_cbranch_execz .LBB2_1925
; %bb.1916:                             ;   in Loop: Header=BB2_1591 Depth=2
	v_and_b32_e32 v6, 0x7fffffff, v2
	v_mov_b32_e32 v7, v53
	v_cmp_gt_u64_e32 vcc, s[40:41], v[6:7]
	s_and_saveexec_b64 s[54:55], vcc
	s_cbranch_execz .LBB2_1924
; %bb.1917:                             ;   in Loop: Header=BB2_1591 Depth=2
	v_cmp_ne_u32_e32 vcc, 0, v2
	v_mov_b32_e32 v44, 0
	s_and_saveexec_b64 s[56:57], vcc
	s_cbranch_execz .LBB2_1923
; %bb.1918:                             ;   in Loop: Header=BB2_1591 Depth=2
	v_bfe_u32 v2, v2, 23, 8
	v_sub_u32_e32 v5, 0x79, v2
	v_cmp_gt_u32_e32 vcc, s71, v2
	v_add_u32_e32 v3, 0xffffff81, v2
	v_cndmask_b32_e32 v5, 0, v5, vcc
	v_cmp_eq_u32_e32 vcc, 0, v2
	v_mov_b32_e32 v2, 0xffffff82
	v_cndmask_b32_e32 v18, v3, v2, vcc
	v_mov_b32_e32 v2, 0x78
	v_or_b32_e32 v6, 0x800000, v52
	v_cndmask_b32_e32 v5, v5, v2, vcc
	v_cndmask_b32_e32 v52, v6, v52, vcc
	v_add_u32_e32 v2, 20, v5
	v_lshlrev_b64 v[2:3], v2, -1
	v_lshrrev_b64 v[8:9], v5, v[52:53]
	v_not_b32_e32 v3, v3
	v_not_b32_e32 v2, v2
	v_add_u32_e32 v6, 19, v5
	v_lshrrev_b32_e32 v26, 23, v8
	v_and_b32_e32 v3, 0, v3
	v_and_b32_e32 v2, v52, v2
	v_lshlrev_b64 v[6:7], v6, 1
	v_add3_u32 v26, v5, v18, v26
	v_bfe_u32 v5, v8, 20, 1
	v_add_u32_e32 v5, -1, v5
	v_cmp_eq_u64_e32 vcc, v[2:3], v[6:7]
	v_cndmask_b32_e32 v2, 0, v5, vcc
	v_add_u32_e32 v2, v2, v8
	v_and_b32_e32 v2, 0xfffff, v2
	v_add_co_u32_e32 v2, vcc, v2, v8
	v_add_u32_e32 v18, 6, v26
	v_addc_co_u32_e32 v3, vcc, 0, v9, vcc
	v_cmp_ne_u32_e32 vcc, 0, v18
                                        ; implicit-def: $vgpr5
	s_and_saveexec_b64 s[18:19], vcc
	s_xor_b64 s[18:19], exec, s[18:19]
; %bb.1919:                             ;   in Loop: Header=BB2_1591 Depth=2
	v_cmp_lt_u64_e32 vcc, s[44:45], v[2:3]
	v_add_u32_e32 v5, 7, v26
	v_cndmask_b32_e64 v6, 0, 1, vcc
	v_cndmask_b32_e32 v5, v18, v5, vcc
	v_lshrrev_b64 v[2:3], v6, v[2:3]
; %bb.1920:                             ;   in Loop: Header=BB2_1591 Depth=2
	s_andn2_saveexec_b64 s[18:19], s[18:19]
; %bb.1921:                             ;   in Loop: Header=BB2_1591 Depth=2
	v_bfe_u32 v5, v2, 23, 1
; %bb.1922:                             ;   in Loop: Header=BB2_1591 Depth=2
	s_or_b64 exec, exec, s[18:19]
	v_lshrrev_b64 v[2:3], 20, v[2:3]
	v_cmp_gt_i32_e32 vcc, 16, v5
	v_cndmask_b32_e32 v3, 0, v3, vcc
	v_cndmask_b32_e32 v2, 7, v2, vcc
	v_cmp_eq_u64_e64 s[18:19], 0, v[2:3]
	v_min_i32_e32 v3, 15, v5
	v_cmp_eq_u32_e32 vcc, 0, v5
	v_lshlrev_b32_e32 v3, 3, v3
	v_and_or_b32 v2, v2, 7, v3
	s_and_b64 s[18:19], vcc, s[18:19]
	v_cndmask_b32_e64 v2, v2, 0, s[18:19]
	v_or_b32_e32 v44, v2, v4
.LBB2_1923:                             ;   in Loop: Header=BB2_1591 Depth=2
	s_or_b64 exec, exec, s[56:57]
.LBB2_1924:                             ;   in Loop: Header=BB2_1591 Depth=2
	s_or_b64 exec, exec, s[54:55]
                                        ; implicit-def: $vgpr2
.LBB2_1925:                             ;   in Loop: Header=BB2_1591 Depth=2
	s_andn2_saveexec_b64 s[18:19], s[52:53]
; %bb.1926:                             ;   in Loop: Header=BB2_1591 Depth=2
	v_or_b32_sdwa v2, v2, s69 dst_sel:DWORD dst_unused:UNUSED_PAD src0_sel:BYTE_3 src1_sel:DWORD
	v_cmp_eq_u64_e32 vcc, 0, v[52:53]
	v_cndmask_b32_e32 v44, v2, v44, vcc
; %bb.1927:                             ;   in Loop: Header=BB2_1591 Depth=2
	s_or_b64 exec, exec, s[18:19]
	v_lshrrev_b32_e32 v2, 16, v25
	v_cmp_ne_u16_sdwa vcc, v2, v53 src0_sel:BYTE_0 src1_sel:DWORD
	v_mov_b32_e32 v3, 0
	v_mov_b32_e32 v4, 0
	s_and_saveexec_b64 s[18:19], vcc
	s_cbranch_execz .LBB2_1933
; %bb.1928:                             ;   in Loop: Header=BB2_1591 Depth=2
	v_cmp_ne_u16_sdwa vcc, v2, s68 src0_sel:BYTE_0 src1_sel:DWORD
	v_bfrev_b32_e32 v4, 1
	s_and_saveexec_b64 s[52:53], vcc
	s_cbranch_execz .LBB2_1932
; %bb.1929:                             ;   in Loop: Header=BB2_1591 Depth=2
	v_bfe_u32 v5, v25, 16, 7
	v_cmp_ne_u32_e32 vcc, s69, v5
	v_mov_b32_e32 v4, 0x7f800001
	s_and_saveexec_b64 s[54:55], vcc
	s_cbranch_execz .LBB2_1931
; %bb.1930:                             ;   in Loop: Header=BB2_1591 Depth=2
	v_and_b32_e32 v4, 7, v2
	v_ffbh_u32_e32 v6, v4
	v_min_u32_e32 v9, 32, v6
	v_subrev_u32_e32 v6, 28, v9
	v_lshlrev_b64 v[6:7], v6, v[2:3]
	v_lshrrev_b32_e32 v8, 3, v5
	v_sub_u32_e32 v7, 29, v9
	v_and_b32_e32 v6, 7, v6
	v_cmp_gt_u32_e32 vcc, 8, v5
	v_cndmask_b32_e32 v5, v8, v7, vcc
	v_cndmask_b32_e32 v4, v4, v6, vcc
	v_lshlrev_b32_e32 v2, 24, v2
	v_lshlrev_b32_e32 v4, 20, v4
	v_and_b32_e32 v2, 0x80000000, v2
	v_lshl_add_u32 v5, v5, 23, v27
	v_or3_b32 v4, v2, v5, v4
.LBB2_1931:                             ;   in Loop: Header=BB2_1591 Depth=2
	s_or_b64 exec, exec, s[54:55]
.LBB2_1932:                             ;   in Loop: Header=BB2_1591 Depth=2
	s_or_b64 exec, exec, s[52:53]
.LBB2_1933:                             ;   in Loop: Header=BB2_1591 Depth=2
	s_or_b64 exec, exec, s[18:19]
	v_lshrrev_b32_e32 v2, 16, v21
	v_cmp_ne_u16_sdwa vcc, v2, v53 src0_sel:BYTE_0 src1_sel:DWORD
	s_and_saveexec_b64 s[18:19], vcc
	s_cbranch_execz .LBB2_1939
; %bb.1934:                             ;   in Loop: Header=BB2_1591 Depth=2
	v_cmp_ne_u16_sdwa vcc, v2, s68 src0_sel:BYTE_0 src1_sel:DWORD
	v_bfrev_b32_e32 v3, 1
	s_and_saveexec_b64 s[52:53], vcc
	s_cbranch_execz .LBB2_1938
; %bb.1935:                             ;   in Loop: Header=BB2_1591 Depth=2
	v_bfe_u32 v5, v21, 16, 7
	v_cmp_ne_u32_e32 vcc, s69, v5
	v_mov_b32_e32 v3, 0x7f800001
	s_and_saveexec_b64 s[54:55], vcc
	s_cbranch_execz .LBB2_1937
; %bb.1936:                             ;   in Loop: Header=BB2_1591 Depth=2
	v_and_b32_e32 v6, 7, v2
	v_ffbh_u32_e32 v3, v6
	v_min_u32_e32 v8, 32, v3
	v_subrev_u32_e32 v3, 28, v8
	v_lshlrev_b64 v[2:3], v3, v[2:3]
	v_lshrrev_b32_e32 v7, 3, v5
	v_sub_u32_e32 v3, 29, v8
	v_and_b32_e32 v2, 7, v2
	v_cmp_gt_u32_e32 vcc, 8, v5
	v_cndmask_b32_e32 v3, v7, v3, vcc
	v_cndmask_b32_e32 v2, v6, v2, vcc
	v_lshlrev_b32_e32 v5, 8, v21
	v_lshlrev_b32_e32 v2, 20, v2
	v_and_b32_e32 v5, 0x80000000, v5
	v_lshl_add_u32 v3, v3, 23, v27
	v_or3_b32 v3, v5, v3, v2
.LBB2_1937:                             ;   in Loop: Header=BB2_1591 Depth=2
	s_or_b64 exec, exec, s[54:55]
.LBB2_1938:                             ;   in Loop: Header=BB2_1591 Depth=2
	s_or_b64 exec, exec, s[52:53]
.LBB2_1939:                             ;   in Loop: Header=BB2_1591 Depth=2
	s_or_b64 exec, exec, s[18:19]
	v_add_f32_e32 v2, v4, v3
	v_and_b32_sdwa v4, v2, s68 dst_sel:DWORD dst_unused:UNUSED_PAD src0_sel:BYTE_3 src1_sel:DWORD
	v_and_b32_e32 v6, 0x7f800000, v2
	v_mov_b32_e32 v7, v53
	v_and_b32_e32 v52, 0x7fffff, v2
	v_or_b32_e32 v26, 0x7e, v4
	v_cmp_ne_u64_e32 vcc, s[38:39], v[6:7]
	s_and_saveexec_b64 s[18:19], vcc
	s_xor_b64 s[52:53], exec, s[18:19]
	s_cbranch_execz .LBB2_1949
; %bb.1940:                             ;   in Loop: Header=BB2_1591 Depth=2
	v_and_b32_e32 v6, 0x7fffffff, v2
	v_mov_b32_e32 v7, v53
	v_cmp_gt_u64_e32 vcc, s[40:41], v[6:7]
	s_and_saveexec_b64 s[54:55], vcc
	s_cbranch_execz .LBB2_1948
; %bb.1941:                             ;   in Loop: Header=BB2_1591 Depth=2
	v_cmp_ne_u32_e32 vcc, 0, v2
	v_mov_b32_e32 v26, 0
	s_and_saveexec_b64 s[56:57], vcc
	s_cbranch_execz .LBB2_1947
; %bb.1942:                             ;   in Loop: Header=BB2_1591 Depth=2
	v_bfe_u32 v2, v2, 23, 8
	v_sub_u32_e32 v5, 0x79, v2
	v_cmp_gt_u32_e32 vcc, s71, v2
	v_add_u32_e32 v3, 0xffffff81, v2
	v_cndmask_b32_e32 v5, 0, v5, vcc
	v_cmp_eq_u32_e32 vcc, 0, v2
	v_mov_b32_e32 v2, 0xffffff82
	v_cndmask_b32_e32 v18, v3, v2, vcc
	v_mov_b32_e32 v2, 0x78
	v_or_b32_e32 v6, 0x800000, v52
	v_cndmask_b32_e32 v5, v5, v2, vcc
	v_cndmask_b32_e32 v52, v6, v52, vcc
	v_add_u32_e32 v2, 20, v5
	v_lshlrev_b64 v[2:3], v2, -1
	v_lshrrev_b64 v[8:9], v5, v[52:53]
	v_not_b32_e32 v3, v3
	v_not_b32_e32 v2, v2
	v_add_u32_e32 v6, 19, v5
	v_lshrrev_b32_e32 v26, 23, v8
	v_and_b32_e32 v3, 0, v3
	v_and_b32_e32 v2, v52, v2
	v_lshlrev_b64 v[6:7], v6, 1
	v_add3_u32 v26, v5, v18, v26
	v_bfe_u32 v5, v8, 20, 1
	v_add_u32_e32 v5, -1, v5
	v_cmp_eq_u64_e32 vcc, v[2:3], v[6:7]
	v_cndmask_b32_e32 v2, 0, v5, vcc
	v_add_u32_e32 v2, v2, v8
	v_and_b32_e32 v2, 0xfffff, v2
	v_add_co_u32_e32 v2, vcc, v2, v8
	v_add_u32_e32 v18, 6, v26
	v_addc_co_u32_e32 v3, vcc, 0, v9, vcc
	v_cmp_ne_u32_e32 vcc, 0, v18
                                        ; implicit-def: $vgpr5
	s_and_saveexec_b64 s[18:19], vcc
	s_xor_b64 s[18:19], exec, s[18:19]
; %bb.1943:                             ;   in Loop: Header=BB2_1591 Depth=2
	v_cmp_lt_u64_e32 vcc, s[44:45], v[2:3]
	v_add_u32_e32 v5, 7, v26
	v_cndmask_b32_e64 v6, 0, 1, vcc
	v_cndmask_b32_e32 v5, v18, v5, vcc
	v_lshrrev_b64 v[2:3], v6, v[2:3]
; %bb.1944:                             ;   in Loop: Header=BB2_1591 Depth=2
	s_andn2_saveexec_b64 s[18:19], s[18:19]
; %bb.1945:                             ;   in Loop: Header=BB2_1591 Depth=2
	v_bfe_u32 v5, v2, 23, 1
; %bb.1946:                             ;   in Loop: Header=BB2_1591 Depth=2
	s_or_b64 exec, exec, s[18:19]
	v_lshrrev_b64 v[2:3], 20, v[2:3]
	v_cmp_gt_i32_e32 vcc, 16, v5
	v_cndmask_b32_e32 v3, 0, v3, vcc
	v_cndmask_b32_e32 v2, 7, v2, vcc
	v_cmp_eq_u64_e64 s[18:19], 0, v[2:3]
	v_min_i32_e32 v3, 15, v5
	v_lshlrev_b32_e32 v3, 3, v3
	v_cmp_eq_u32_e32 vcc, 0, v5
	v_and_b32_e32 v3, 0xf8, v3
	v_and_or_b32 v2, v2, 7, v3
	s_and_b64 s[18:19], vcc, s[18:19]
	v_cndmask_b32_e64 v2, v2, 0, s[18:19]
	v_or_b32_e32 v26, v2, v4
.LBB2_1947:                             ;   in Loop: Header=BB2_1591 Depth=2
	s_or_b64 exec, exec, s[56:57]
.LBB2_1948:                             ;   in Loop: Header=BB2_1591 Depth=2
	s_or_b64 exec, exec, s[54:55]
                                        ; implicit-def: $vgpr2
.LBB2_1949:                             ;   in Loop: Header=BB2_1591 Depth=2
	s_andn2_saveexec_b64 s[18:19], s[52:53]
; %bb.1950:                             ;   in Loop: Header=BB2_1591 Depth=2
	v_or_b32_sdwa v2, v2, s69 dst_sel:DWORD dst_unused:UNUSED_PAD src0_sel:BYTE_3 src1_sel:DWORD
	v_cmp_eq_u64_e32 vcc, 0, v[52:53]
	v_cndmask_b32_e32 v26, v2, v26, vcc
; %bb.1951:                             ;   in Loop: Header=BB2_1591 Depth=2
	s_or_b64 exec, exec, s[18:19]
	v_cmp_lt_u64_e32 vcc, s[42:43], v[24:25]
	v_mov_b32_e32 v3, 0
	v_mov_b32_e32 v4, 0
	s_and_saveexec_b64 s[18:19], vcc
	s_cbranch_execz .LBB2_1957
; %bb.1952:                             ;   in Loop: Header=BB2_1591 Depth=2
	v_lshrrev_b32_e32 v2, 24, v25
	v_cmp_ne_u32_e32 vcc, s68, v2
	v_bfrev_b32_e32 v4, 1
	s_and_saveexec_b64 s[52:53], vcc
	s_cbranch_execz .LBB2_1956
; %bb.1953:                             ;   in Loop: Header=BB2_1591 Depth=2
	v_bfe_u32 v5, v25, 24, 7
	v_cmp_ne_u32_e32 vcc, s69, v5
	v_mov_b32_e32 v4, 0x7f800001
	s_and_saveexec_b64 s[54:55], vcc
	s_cbranch_execz .LBB2_1955
; %bb.1954:                             ;   in Loop: Header=BB2_1591 Depth=2
	v_and_b32_e32 v4, 7, v2
	v_ffbh_u32_e32 v6, v4
	v_min_u32_e32 v9, 32, v6
	v_subrev_u32_e32 v6, 28, v9
	v_lshlrev_b64 v[6:7], v6, v[2:3]
	v_lshrrev_b32_e32 v8, 3, v5
	v_sub_u32_e32 v7, 29, v9
	v_and_b32_e32 v6, 7, v6
	v_cmp_gt_u32_e32 vcc, 8, v5
	v_cndmask_b32_e32 v5, v8, v7, vcc
	v_cndmask_b32_e32 v4, v4, v6, vcc
	v_lshlrev_b32_e32 v2, 24, v2
	v_lshlrev_b32_e32 v4, 20, v4
	v_and_b32_e32 v2, 0x80000000, v2
	v_lshl_add_u32 v5, v5, 23, v27
	v_or3_b32 v4, v2, v5, v4
.LBB2_1955:                             ;   in Loop: Header=BB2_1591 Depth=2
	s_or_b64 exec, exec, s[54:55]
.LBB2_1956:                             ;   in Loop: Header=BB2_1591 Depth=2
	s_or_b64 exec, exec, s[52:53]
.LBB2_1957:                             ;   in Loop: Header=BB2_1591 Depth=2
	s_or_b64 exec, exec, s[18:19]
	v_cmp_lt_u64_e32 vcc, s[42:43], v[20:21]
	s_and_saveexec_b64 s[18:19], vcc
	s_cbranch_execz .LBB2_1963
; %bb.1958:                             ;   in Loop: Header=BB2_1591 Depth=2
	v_lshrrev_b32_e32 v2, 24, v21
	v_cmp_ne_u32_e32 vcc, s68, v2
	v_bfrev_b32_e32 v3, 1
	s_and_saveexec_b64 s[52:53], vcc
	s_cbranch_execz .LBB2_1962
; %bb.1959:                             ;   in Loop: Header=BB2_1591 Depth=2
	v_bfe_u32 v5, v21, 24, 7
	v_cmp_ne_u32_e32 vcc, s69, v5
	v_mov_b32_e32 v3, 0x7f800001
	s_and_saveexec_b64 s[54:55], vcc
	s_cbranch_execz .LBB2_1961
; %bb.1960:                             ;   in Loop: Header=BB2_1591 Depth=2
	v_and_b32_e32 v3, 7, v2
	v_ffbh_u32_e32 v6, v3
	v_min_u32_e32 v9, 32, v6
	v_subrev_u32_e32 v6, 28, v9
	v_lshlrev_b64 v[6:7], v6, v[2:3]
	v_lshrrev_b32_e32 v8, 3, v5
	v_sub_u32_e32 v7, 29, v9
	v_and_b32_e32 v6, 7, v6
	v_cmp_gt_u32_e32 vcc, 8, v5
	v_cndmask_b32_e32 v5, v8, v7, vcc
	v_cndmask_b32_e32 v3, v3, v6, vcc
	v_lshlrev_b32_e32 v2, 24, v2
	v_lshlrev_b32_e32 v3, 20, v3
	v_and_b32_e32 v2, 0x80000000, v2
	v_lshl_add_u32 v5, v5, 23, v27
	v_or3_b32 v3, v2, v5, v3
.LBB2_1961:                             ;   in Loop: Header=BB2_1591 Depth=2
	s_or_b64 exec, exec, s[54:55]
.LBB2_1962:                             ;   in Loop: Header=BB2_1591 Depth=2
	s_or_b64 exec, exec, s[52:53]
.LBB2_1963:                             ;   in Loop: Header=BB2_1591 Depth=2
	s_or_b64 exec, exec, s[18:19]
	v_add_f32_e32 v2, v4, v3
	v_and_b32_sdwa v4, v2, s68 dst_sel:DWORD dst_unused:UNUSED_PAD src0_sel:BYTE_3 src1_sel:DWORD
	v_and_b32_e32 v6, 0x7f800000, v2
	v_mov_b32_e32 v7, v53
	v_and_b32_e32 v52, 0x7fffff, v2
	v_or_b32_e32 v20, 0x7e, v4
	v_cmp_ne_u64_e32 vcc, s[38:39], v[6:7]
	s_and_saveexec_b64 s[18:19], vcc
	s_xor_b64 s[52:53], exec, s[18:19]
	s_cbranch_execz .LBB2_1973
; %bb.1964:                             ;   in Loop: Header=BB2_1591 Depth=2
	v_and_b32_e32 v6, 0x7fffffff, v2
	v_mov_b32_e32 v7, v53
	v_cmp_gt_u64_e32 vcc, s[40:41], v[6:7]
	s_and_saveexec_b64 s[54:55], vcc
	s_cbranch_execz .LBB2_1972
; %bb.1965:                             ;   in Loop: Header=BB2_1591 Depth=2
	v_cmp_ne_u32_e32 vcc, 0, v2
	v_mov_b32_e32 v20, 0
	s_and_saveexec_b64 s[56:57], vcc
	s_cbranch_execz .LBB2_1971
; %bb.1966:                             ;   in Loop: Header=BB2_1591 Depth=2
	v_bfe_u32 v2, v2, 23, 8
	v_sub_u32_e32 v5, 0x79, v2
	v_cmp_gt_u32_e32 vcc, s71, v2
	v_add_u32_e32 v3, 0xffffff81, v2
	v_cndmask_b32_e32 v5, 0, v5, vcc
	v_cmp_eq_u32_e32 vcc, 0, v2
	v_mov_b32_e32 v2, 0xffffff82
	v_cndmask_b32_e32 v18, v3, v2, vcc
	v_mov_b32_e32 v2, 0x78
	v_or_b32_e32 v6, 0x800000, v52
	v_cndmask_b32_e32 v5, v5, v2, vcc
	v_cndmask_b32_e32 v52, v6, v52, vcc
	v_add_u32_e32 v2, 20, v5
	v_lshlrev_b64 v[2:3], v2, -1
	v_lshrrev_b64 v[8:9], v5, v[52:53]
	v_not_b32_e32 v3, v3
	v_not_b32_e32 v2, v2
	v_add_u32_e32 v6, 19, v5
	v_lshrrev_b32_e32 v20, 23, v8
	v_and_b32_e32 v3, 0, v3
	v_and_b32_e32 v2, v52, v2
	v_lshlrev_b64 v[6:7], v6, 1
	v_add3_u32 v20, v5, v18, v20
	v_bfe_u32 v5, v8, 20, 1
	v_add_u32_e32 v5, -1, v5
	v_cmp_eq_u64_e32 vcc, v[2:3], v[6:7]
	v_cndmask_b32_e32 v2, 0, v5, vcc
	v_add_u32_e32 v2, v2, v8
	v_and_b32_e32 v2, 0xfffff, v2
	v_add_co_u32_e32 v2, vcc, v2, v8
	v_add_u32_e32 v18, 6, v20
	v_addc_co_u32_e32 v3, vcc, 0, v9, vcc
	v_cmp_ne_u32_e32 vcc, 0, v18
                                        ; implicit-def: $vgpr5
	s_and_saveexec_b64 s[18:19], vcc
	s_xor_b64 s[18:19], exec, s[18:19]
; %bb.1967:                             ;   in Loop: Header=BB2_1591 Depth=2
	v_cmp_lt_u64_e32 vcc, s[44:45], v[2:3]
	v_add_u32_e32 v5, 7, v20
	v_cndmask_b32_e64 v6, 0, 1, vcc
	v_cndmask_b32_e32 v5, v18, v5, vcc
	v_lshrrev_b64 v[2:3], v6, v[2:3]
; %bb.1968:                             ;   in Loop: Header=BB2_1591 Depth=2
	s_andn2_saveexec_b64 s[18:19], s[18:19]
; %bb.1969:                             ;   in Loop: Header=BB2_1591 Depth=2
	v_bfe_u32 v5, v2, 23, 1
; %bb.1970:                             ;   in Loop: Header=BB2_1591 Depth=2
	s_or_b64 exec, exec, s[18:19]
	v_lshrrev_b64 v[2:3], 20, v[2:3]
	v_cmp_gt_i32_e32 vcc, 16, v5
	v_cndmask_b32_e32 v3, 0, v3, vcc
	v_cndmask_b32_e32 v2, 7, v2, vcc
	v_cmp_eq_u64_e64 s[18:19], 0, v[2:3]
	v_min_i32_e32 v3, 15, v5
	v_lshlrev_b32_e32 v3, 3, v3
	v_cmp_eq_u32_e32 vcc, 0, v5
	v_and_b32_e32 v3, 0xf8, v3
	v_and_or_b32 v2, v2, 7, v3
	s_and_b64 s[18:19], vcc, s[18:19]
	v_cndmask_b32_e64 v2, v2, 0, s[18:19]
	v_or_b32_e32 v20, v2, v4
.LBB2_1971:                             ;   in Loop: Header=BB2_1591 Depth=2
	s_or_b64 exec, exec, s[56:57]
.LBB2_1972:                             ;   in Loop: Header=BB2_1591 Depth=2
	s_or_b64 exec, exec, s[54:55]
                                        ; implicit-def: $vgpr2
.LBB2_1973:                             ;   in Loop: Header=BB2_1591 Depth=2
	s_andn2_saveexec_b64 s[18:19], s[52:53]
; %bb.1974:                             ;   in Loop: Header=BB2_1591 Depth=2
	v_or_b32_sdwa v2, v2, s69 dst_sel:DWORD dst_unused:UNUSED_PAD src0_sel:BYTE_3 src1_sel:DWORD
	v_cmp_eq_u64_e32 vcc, 0, v[52:53]
	v_cndmask_b32_e32 v20, v2, v20, vcc
; %bb.1975:                             ;   in Loop: Header=BB2_1591 Depth=2
	s_or_b64 exec, exec, s[18:19]
	v_cmp_ne_u16_sdwa vcc, v14, v53 src0_sel:BYTE_0 src1_sel:DWORD
	v_mov_b32_e32 v2, 0
	v_mov_b32_e32 v3, 0
	s_and_saveexec_b64 s[18:19], vcc
	s_cbranch_execz .LBB2_1981
; %bb.1976:                             ;   in Loop: Header=BB2_1591 Depth=2
	v_cmp_ne_u16_sdwa vcc, v14, s68 src0_sel:BYTE_0 src1_sel:DWORD
	v_bfrev_b32_e32 v3, 1
	s_and_saveexec_b64 s[52:53], vcc
	s_cbranch_execz .LBB2_1980
; %bb.1977:                             ;   in Loop: Header=BB2_1591 Depth=2
	v_and_b32_e32 v4, 0x7f, v14
	v_cmp_ne_u32_e32 vcc, s69, v4
	v_mov_b32_e32 v3, 0x7f800001
	s_and_saveexec_b64 s[54:55], vcc
	s_cbranch_execz .LBB2_1979
; %bb.1978:                             ;   in Loop: Header=BB2_1591 Depth=2
	v_and_b32_e32 v3, 7, v14
	v_ffbh_u32_e32 v3, v3
	v_min_u32_e32 v3, 32, v3
	v_subrev_u32_e32 v6, 28, v3
	v_cmp_gt_u32_e32 vcc, 8, v4
	v_lshrrev_b32_e32 v5, 3, v4
	v_sub_u32_e32 v3, 29, v3
	v_cndmask_b32_e32 v4, 0, v6, vcc
	v_cndmask_b32_e32 v3, v5, v3, vcc
	v_lshlrev_b64 v[4:5], v4, v[14:15]
	v_lshlrev_b32_e32 v4, 20, v4
	v_lshlrev_b32_e32 v5, 24, v14
	v_and_b32_e32 v4, 0x700000, v4
	v_and_b32_e32 v5, 0x80000000, v5
	v_lshl_add_u32 v3, v3, 23, v27
	v_or3_b32 v3, v5, v3, v4
.LBB2_1979:                             ;   in Loop: Header=BB2_1591 Depth=2
	s_or_b64 exec, exec, s[54:55]
.LBB2_1980:                             ;   in Loop: Header=BB2_1591 Depth=2
	s_or_b64 exec, exec, s[52:53]
.LBB2_1981:                             ;   in Loop: Header=BB2_1591 Depth=2
	s_or_b64 exec, exec, s[18:19]
	s_waitcnt vmcnt(0)
	v_cmp_ne_u16_sdwa vcc, v10, v53 src0_sel:BYTE_0 src1_sel:DWORD
	s_and_saveexec_b64 s[18:19], vcc
	s_cbranch_execz .LBB2_1987
; %bb.1982:                             ;   in Loop: Header=BB2_1591 Depth=2
	v_cmp_ne_u16_sdwa vcc, v10, s68 src0_sel:BYTE_0 src1_sel:DWORD
	v_bfrev_b32_e32 v2, 1
	s_and_saveexec_b64 s[52:53], vcc
	s_cbranch_execz .LBB2_1986
; %bb.1983:                             ;   in Loop: Header=BB2_1591 Depth=2
	v_and_b32_e32 v4, 0x7f, v10
	v_cmp_ne_u32_e32 vcc, s69, v4
	v_mov_b32_e32 v2, 0x7f800001
	s_and_saveexec_b64 s[54:55], vcc
	s_cbranch_execz .LBB2_1985
; %bb.1984:                             ;   in Loop: Header=BB2_1591 Depth=2
	v_and_b32_e32 v2, 7, v10
	v_ffbh_u32_e32 v2, v2
	v_min_u32_e32 v2, 32, v2
	v_subrev_u32_e32 v6, 28, v2
	v_cmp_gt_u32_e32 vcc, 8, v4
	v_lshrrev_b32_e32 v5, 3, v4
	v_sub_u32_e32 v2, 29, v2
	v_cndmask_b32_e32 v4, 0, v6, vcc
	v_cndmask_b32_e32 v2, v5, v2, vcc
	v_lshlrev_b64 v[4:5], v4, v[10:11]
	v_lshlrev_b32_e32 v4, 20, v4
	v_lshlrev_b32_e32 v5, 24, v10
	v_and_b32_e32 v4, 0x700000, v4
	v_and_b32_e32 v5, 0x80000000, v5
	v_lshl_add_u32 v2, v2, 23, v27
	v_or3_b32 v2, v5, v2, v4
.LBB2_1985:                             ;   in Loop: Header=BB2_1591 Depth=2
	s_or_b64 exec, exec, s[54:55]
.LBB2_1986:                             ;   in Loop: Header=BB2_1591 Depth=2
	s_or_b64 exec, exec, s[52:53]
.LBB2_1987:                             ;   in Loop: Header=BB2_1591 Depth=2
	s_or_b64 exec, exec, s[18:19]
	v_add_f32_e32 v2, v3, v2
	v_and_b32_sdwa v4, v2, s68 dst_sel:DWORD dst_unused:UNUSED_PAD src0_sel:BYTE_3 src1_sel:DWORD
	v_and_b32_e32 v6, 0x7f800000, v2
	v_mov_b32_e32 v7, v53
	v_and_b32_e32 v52, 0x7fffff, v2
	v_or_b32_e32 v21, 0x7e, v4
	v_cmp_ne_u64_e32 vcc, s[38:39], v[6:7]
	s_and_saveexec_b64 s[18:19], vcc
	s_xor_b64 s[52:53], exec, s[18:19]
	s_cbranch_execz .LBB2_1997
; %bb.1988:                             ;   in Loop: Header=BB2_1591 Depth=2
	v_and_b32_e32 v6, 0x7fffffff, v2
	v_mov_b32_e32 v7, v53
	v_cmp_gt_u64_e32 vcc, s[40:41], v[6:7]
	s_and_saveexec_b64 s[54:55], vcc
	s_cbranch_execz .LBB2_1996
; %bb.1989:                             ;   in Loop: Header=BB2_1591 Depth=2
	v_cmp_ne_u32_e32 vcc, 0, v2
	v_mov_b32_e32 v21, 0
	s_and_saveexec_b64 s[56:57], vcc
	s_cbranch_execz .LBB2_1995
; %bb.1990:                             ;   in Loop: Header=BB2_1591 Depth=2
	v_bfe_u32 v2, v2, 23, 8
	v_sub_u32_e32 v5, 0x79, v2
	v_cmp_gt_u32_e32 vcc, s71, v2
	v_add_u32_e32 v3, 0xffffff81, v2
	v_cndmask_b32_e32 v5, 0, v5, vcc
	v_cmp_eq_u32_e32 vcc, 0, v2
	v_mov_b32_e32 v2, 0xffffff82
	v_cndmask_b32_e32 v18, v3, v2, vcc
	v_mov_b32_e32 v2, 0x78
	v_or_b32_e32 v6, 0x800000, v52
	v_cndmask_b32_e32 v5, v5, v2, vcc
	v_cndmask_b32_e32 v52, v6, v52, vcc
	v_add_u32_e32 v2, 20, v5
	v_lshlrev_b64 v[2:3], v2, -1
	v_lshrrev_b64 v[8:9], v5, v[52:53]
	v_not_b32_e32 v3, v3
	v_not_b32_e32 v2, v2
	v_add_u32_e32 v6, 19, v5
	v_lshrrev_b32_e32 v21, 23, v8
	v_and_b32_e32 v3, 0, v3
	v_and_b32_e32 v2, v52, v2
	v_lshlrev_b64 v[6:7], v6, 1
	v_add3_u32 v21, v5, v18, v21
	v_bfe_u32 v5, v8, 20, 1
	v_add_u32_e32 v5, -1, v5
	v_cmp_eq_u64_e32 vcc, v[2:3], v[6:7]
	v_cndmask_b32_e32 v2, 0, v5, vcc
	v_add_u32_e32 v2, v2, v8
	v_and_b32_e32 v2, 0xfffff, v2
	v_add_co_u32_e32 v2, vcc, v2, v8
	v_add_u32_e32 v18, 6, v21
	v_addc_co_u32_e32 v3, vcc, 0, v9, vcc
	v_cmp_ne_u32_e32 vcc, 0, v18
                                        ; implicit-def: $vgpr5
	s_and_saveexec_b64 s[18:19], vcc
	s_xor_b64 s[18:19], exec, s[18:19]
; %bb.1991:                             ;   in Loop: Header=BB2_1591 Depth=2
	v_cmp_lt_u64_e32 vcc, s[44:45], v[2:3]
	v_add_u32_e32 v5, 7, v21
	v_cndmask_b32_e64 v6, 0, 1, vcc
	v_cndmask_b32_e32 v5, v18, v5, vcc
	v_lshrrev_b64 v[2:3], v6, v[2:3]
; %bb.1992:                             ;   in Loop: Header=BB2_1591 Depth=2
	s_andn2_saveexec_b64 s[18:19], s[18:19]
; %bb.1993:                             ;   in Loop: Header=BB2_1591 Depth=2
	v_bfe_u32 v5, v2, 23, 1
; %bb.1994:                             ;   in Loop: Header=BB2_1591 Depth=2
	s_or_b64 exec, exec, s[18:19]
	v_lshrrev_b64 v[2:3], 20, v[2:3]
	v_cmp_gt_i32_e32 vcc, 16, v5
	v_cndmask_b32_e32 v3, 0, v3, vcc
	v_cndmask_b32_e32 v2, 7, v2, vcc
	v_cmp_eq_u64_e64 s[18:19], 0, v[2:3]
	v_min_i32_e32 v3, 15, v5
	v_cmp_eq_u32_e32 vcc, 0, v5
	v_lshlrev_b32_e32 v3, 3, v3
	v_and_or_b32 v2, v2, 7, v3
	s_and_b64 s[18:19], vcc, s[18:19]
	v_cndmask_b32_e64 v2, v2, 0, s[18:19]
	v_or_b32_e32 v21, v2, v4
.LBB2_1995:                             ;   in Loop: Header=BB2_1591 Depth=2
	s_or_b64 exec, exec, s[56:57]
.LBB2_1996:                             ;   in Loop: Header=BB2_1591 Depth=2
	s_or_b64 exec, exec, s[54:55]
                                        ; implicit-def: $vgpr2
.LBB2_1997:                             ;   in Loop: Header=BB2_1591 Depth=2
	s_andn2_saveexec_b64 s[18:19], s[52:53]
; %bb.1998:                             ;   in Loop: Header=BB2_1591 Depth=2
	v_or_b32_sdwa v2, v2, s69 dst_sel:DWORD dst_unused:UNUSED_PAD src0_sel:BYTE_3 src1_sel:DWORD
	v_cmp_eq_u64_e32 vcc, 0, v[52:53]
	v_cndmask_b32_e32 v21, v2, v21, vcc
; %bb.1999:                             ;   in Loop: Header=BB2_1591 Depth=2
	s_or_b64 exec, exec, s[18:19]
	v_lshrrev_b16_e32 v2, 8, v14
	v_cmp_ne_u16_e32 vcc, 0, v2
	v_mov_b32_e32 v3, 0
	v_mov_b32_e32 v4, 0
	s_and_saveexec_b64 s[18:19], vcc
	s_cbranch_execz .LBB2_2005
; %bb.2000:                             ;   in Loop: Header=BB2_1591 Depth=2
	v_cmp_ne_u16_e32 vcc, s68, v2
	v_bfrev_b32_e32 v4, 1
	s_and_saveexec_b64 s[52:53], vcc
	s_cbranch_execz .LBB2_2004
; %bb.2001:                             ;   in Loop: Header=BB2_1591 Depth=2
	v_and_b32_e32 v5, 0x7f, v2
	v_cmp_ne_u32_e32 vcc, s69, v5
	v_mov_b32_e32 v4, 0x7f800001
	s_and_saveexec_b64 s[54:55], vcc
	s_cbranch_execz .LBB2_2003
; %bb.2002:                             ;   in Loop: Header=BB2_1591 Depth=2
	v_and_b32_e32 v4, 7, v2
	v_ffbh_u32_e32 v6, v4
	v_min_u32_e32 v9, 32, v6
	v_subrev_u32_e32 v6, 28, v9
	v_lshlrev_b64 v[6:7], v6, v[2:3]
	v_lshrrev_b32_e32 v8, 3, v5
	v_sub_u32_e32 v2, 29, v9
	v_and_b32_e32 v6, 7, v6
	v_cmp_gt_u32_e32 vcc, 8, v5
	v_cndmask_b32_e32 v2, v8, v2, vcc
	v_cndmask_b32_e32 v4, v4, v6, vcc
	v_lshlrev_b32_e32 v5, 16, v14
	v_lshlrev_b32_e32 v4, 20, v4
	v_and_b32_e32 v5, 0x80000000, v5
	v_lshl_add_u32 v2, v2, 23, v27
	v_or3_b32 v4, v5, v2, v4
.LBB2_2003:                             ;   in Loop: Header=BB2_1591 Depth=2
	s_or_b64 exec, exec, s[54:55]
.LBB2_2004:                             ;   in Loop: Header=BB2_1591 Depth=2
	s_or_b64 exec, exec, s[52:53]
.LBB2_2005:                             ;   in Loop: Header=BB2_1591 Depth=2
	s_or_b64 exec, exec, s[18:19]
	v_lshrrev_b16_e32 v2, 8, v10
	v_cmp_ne_u16_e32 vcc, 0, v2
	s_and_saveexec_b64 s[18:19], vcc
	s_cbranch_execz .LBB2_2011
; %bb.2006:                             ;   in Loop: Header=BB2_1591 Depth=2
	v_cmp_ne_u16_e32 vcc, s68, v2
	v_bfrev_b32_e32 v3, 1
	s_and_saveexec_b64 s[52:53], vcc
	s_cbranch_execz .LBB2_2010
; %bb.2007:                             ;   in Loop: Header=BB2_1591 Depth=2
	v_and_b32_e32 v5, 0x7f, v2
	v_cmp_ne_u32_e32 vcc, s69, v5
	v_mov_b32_e32 v3, 0x7f800001
	s_and_saveexec_b64 s[54:55], vcc
	s_cbranch_execz .LBB2_2009
; %bb.2008:                             ;   in Loop: Header=BB2_1591 Depth=2
	v_and_b32_e32 v6, 7, v2
	v_ffbh_u32_e32 v3, v6
	v_min_u32_e32 v8, 32, v3
	v_subrev_u32_e32 v3, 28, v8
	v_lshlrev_b64 v[2:3], v3, v[2:3]
	v_lshrrev_b32_e32 v7, 3, v5
	v_sub_u32_e32 v3, 29, v8
	v_and_b32_e32 v2, 7, v2
	v_cmp_gt_u32_e32 vcc, 8, v5
	v_cndmask_b32_e32 v3, v7, v3, vcc
	v_cndmask_b32_e32 v2, v6, v2, vcc
	v_lshlrev_b32_e32 v5, 16, v10
	v_lshlrev_b32_e32 v2, 20, v2
	v_and_b32_e32 v5, 0x80000000, v5
	v_lshl_add_u32 v3, v3, 23, v27
	v_or3_b32 v3, v5, v3, v2
.LBB2_2009:                             ;   in Loop: Header=BB2_1591 Depth=2
	s_or_b64 exec, exec, s[54:55]
.LBB2_2010:                             ;   in Loop: Header=BB2_1591 Depth=2
	s_or_b64 exec, exec, s[52:53]
.LBB2_2011:                             ;   in Loop: Header=BB2_1591 Depth=2
	s_or_b64 exec, exec, s[18:19]
	v_add_f32_e32 v2, v4, v3
	v_and_b32_sdwa v4, v2, s68 dst_sel:DWORD dst_unused:UNUSED_PAD src0_sel:BYTE_3 src1_sel:DWORD
	v_and_b32_e32 v6, 0x7f800000, v2
	v_mov_b32_e32 v7, v53
	v_and_b32_e32 v52, 0x7fffff, v2
	v_or_b32_e32 v24, 0x7e, v4
	v_cmp_ne_u64_e32 vcc, s[38:39], v[6:7]
	s_and_saveexec_b64 s[18:19], vcc
	s_xor_b64 s[52:53], exec, s[18:19]
	s_cbranch_execz .LBB2_2021
; %bb.2012:                             ;   in Loop: Header=BB2_1591 Depth=2
	v_and_b32_e32 v6, 0x7fffffff, v2
	v_mov_b32_e32 v7, v53
	v_cmp_gt_u64_e32 vcc, s[40:41], v[6:7]
	s_and_saveexec_b64 s[54:55], vcc
	s_cbranch_execz .LBB2_2020
; %bb.2013:                             ;   in Loop: Header=BB2_1591 Depth=2
	v_cmp_ne_u32_e32 vcc, 0, v2
	v_mov_b32_e32 v24, 0
	s_and_saveexec_b64 s[56:57], vcc
	s_cbranch_execz .LBB2_2019
; %bb.2014:                             ;   in Loop: Header=BB2_1591 Depth=2
	v_bfe_u32 v2, v2, 23, 8
	v_sub_u32_e32 v5, 0x79, v2
	v_cmp_gt_u32_e32 vcc, s71, v2
	v_add_u32_e32 v3, 0xffffff81, v2
	v_cndmask_b32_e32 v5, 0, v5, vcc
	v_cmp_eq_u32_e32 vcc, 0, v2
	v_mov_b32_e32 v2, 0xffffff82
	v_cndmask_b32_e32 v18, v3, v2, vcc
	v_mov_b32_e32 v2, 0x78
	v_or_b32_e32 v6, 0x800000, v52
	v_cndmask_b32_e32 v5, v5, v2, vcc
	v_cndmask_b32_e32 v52, v6, v52, vcc
	v_add_u32_e32 v2, 20, v5
	v_lshlrev_b64 v[2:3], v2, -1
	v_lshrrev_b64 v[8:9], v5, v[52:53]
	v_not_b32_e32 v3, v3
	v_not_b32_e32 v2, v2
	v_add_u32_e32 v6, 19, v5
	v_lshrrev_b32_e32 v24, 23, v8
	v_and_b32_e32 v3, 0, v3
	v_and_b32_e32 v2, v52, v2
	v_lshlrev_b64 v[6:7], v6, 1
	v_add3_u32 v24, v5, v18, v24
	v_bfe_u32 v5, v8, 20, 1
	v_add_u32_e32 v5, -1, v5
	v_cmp_eq_u64_e32 vcc, v[2:3], v[6:7]
	v_cndmask_b32_e32 v2, 0, v5, vcc
	v_add_u32_e32 v2, v2, v8
	v_and_b32_e32 v2, 0xfffff, v2
	v_add_co_u32_e32 v2, vcc, v2, v8
	v_add_u32_e32 v18, 6, v24
	v_addc_co_u32_e32 v3, vcc, 0, v9, vcc
	v_cmp_ne_u32_e32 vcc, 0, v18
                                        ; implicit-def: $vgpr5
	s_and_saveexec_b64 s[18:19], vcc
	s_xor_b64 s[18:19], exec, s[18:19]
; %bb.2015:                             ;   in Loop: Header=BB2_1591 Depth=2
	v_cmp_lt_u64_e32 vcc, s[44:45], v[2:3]
	v_add_u32_e32 v5, 7, v24
	v_cndmask_b32_e64 v6, 0, 1, vcc
	v_cndmask_b32_e32 v5, v18, v5, vcc
	v_lshrrev_b64 v[2:3], v6, v[2:3]
; %bb.2016:                             ;   in Loop: Header=BB2_1591 Depth=2
	s_andn2_saveexec_b64 s[18:19], s[18:19]
; %bb.2017:                             ;   in Loop: Header=BB2_1591 Depth=2
	v_bfe_u32 v5, v2, 23, 1
; %bb.2018:                             ;   in Loop: Header=BB2_1591 Depth=2
	s_or_b64 exec, exec, s[18:19]
	v_lshrrev_b64 v[2:3], 20, v[2:3]
	v_cmp_gt_i32_e32 vcc, 16, v5
	v_cndmask_b32_e32 v3, 0, v3, vcc
	v_cndmask_b32_e32 v2, 7, v2, vcc
	v_cmp_eq_u64_e64 s[18:19], 0, v[2:3]
	v_min_i32_e32 v3, 15, v5
	v_cmp_eq_u32_e32 vcc, 0, v5
	v_lshlrev_b32_e32 v3, 3, v3
	v_and_or_b32 v2, v2, 7, v3
	s_and_b64 s[18:19], vcc, s[18:19]
	v_cndmask_b32_e64 v2, v2, 0, s[18:19]
	v_or_b32_e32 v24, v2, v4
.LBB2_2019:                             ;   in Loop: Header=BB2_1591 Depth=2
	s_or_b64 exec, exec, s[56:57]
.LBB2_2020:                             ;   in Loop: Header=BB2_1591 Depth=2
	s_or_b64 exec, exec, s[54:55]
                                        ; implicit-def: $vgpr2
.LBB2_2021:                             ;   in Loop: Header=BB2_1591 Depth=2
	s_andn2_saveexec_b64 s[18:19], s[52:53]
; %bb.2022:                             ;   in Loop: Header=BB2_1591 Depth=2
	v_or_b32_sdwa v2, v2, s69 dst_sel:DWORD dst_unused:UNUSED_PAD src0_sel:BYTE_3 src1_sel:DWORD
	v_cmp_eq_u64_e32 vcc, 0, v[52:53]
	v_cndmask_b32_e32 v24, v2, v24, vcc
; %bb.2023:                             ;   in Loop: Header=BB2_1591 Depth=2
	s_or_b64 exec, exec, s[18:19]
	v_lshrrev_b32_e32 v2, 16, v14
	v_cmp_ne_u16_sdwa vcc, v2, v53 src0_sel:BYTE_0 src1_sel:DWORD
	v_mov_b32_e32 v3, 0
	v_mov_b32_e32 v4, 0
	s_and_saveexec_b64 s[18:19], vcc
	s_cbranch_execz .LBB2_2029
; %bb.2024:                             ;   in Loop: Header=BB2_1591 Depth=2
	v_cmp_ne_u16_sdwa vcc, v2, s68 src0_sel:BYTE_0 src1_sel:DWORD
	v_bfrev_b32_e32 v4, 1
	s_and_saveexec_b64 s[52:53], vcc
	s_cbranch_execz .LBB2_2028
; %bb.2025:                             ;   in Loop: Header=BB2_1591 Depth=2
	v_bfe_u32 v5, v14, 16, 7
	v_cmp_ne_u32_e32 vcc, s69, v5
	v_mov_b32_e32 v4, 0x7f800001
	s_and_saveexec_b64 s[54:55], vcc
	s_cbranch_execz .LBB2_2027
; %bb.2026:                             ;   in Loop: Header=BB2_1591 Depth=2
	v_and_b32_e32 v4, 7, v2
	v_ffbh_u32_e32 v6, v4
	v_min_u32_e32 v9, 32, v6
	v_subrev_u32_e32 v6, 28, v9
	v_lshlrev_b64 v[6:7], v6, v[2:3]
	v_lshrrev_b32_e32 v8, 3, v5
	v_sub_u32_e32 v7, 29, v9
	v_and_b32_e32 v6, 7, v6
	v_cmp_gt_u32_e32 vcc, 8, v5
	v_cndmask_b32_e32 v5, v8, v7, vcc
	v_cndmask_b32_e32 v4, v4, v6, vcc
	v_lshlrev_b32_e32 v2, 24, v2
	v_lshlrev_b32_e32 v4, 20, v4
	v_and_b32_e32 v2, 0x80000000, v2
	v_lshl_add_u32 v5, v5, 23, v27
	v_or3_b32 v4, v2, v5, v4
.LBB2_2027:                             ;   in Loop: Header=BB2_1591 Depth=2
	s_or_b64 exec, exec, s[54:55]
.LBB2_2028:                             ;   in Loop: Header=BB2_1591 Depth=2
	s_or_b64 exec, exec, s[52:53]
.LBB2_2029:                             ;   in Loop: Header=BB2_1591 Depth=2
	s_or_b64 exec, exec, s[18:19]
	v_lshrrev_b32_e32 v2, 16, v10
	v_cmp_ne_u16_sdwa vcc, v2, v53 src0_sel:BYTE_0 src1_sel:DWORD
	s_and_saveexec_b64 s[18:19], vcc
	s_cbranch_execz .LBB2_2035
; %bb.2030:                             ;   in Loop: Header=BB2_1591 Depth=2
	v_cmp_ne_u16_sdwa vcc, v2, s68 src0_sel:BYTE_0 src1_sel:DWORD
	v_bfrev_b32_e32 v3, 1
	s_and_saveexec_b64 s[52:53], vcc
	s_cbranch_execz .LBB2_2034
; %bb.2031:                             ;   in Loop: Header=BB2_1591 Depth=2
	v_bfe_u32 v5, v10, 16, 7
	v_cmp_ne_u32_e32 vcc, s69, v5
	v_mov_b32_e32 v3, 0x7f800001
	s_and_saveexec_b64 s[54:55], vcc
	s_cbranch_execz .LBB2_2033
; %bb.2032:                             ;   in Loop: Header=BB2_1591 Depth=2
	v_and_b32_e32 v6, 7, v2
	v_ffbh_u32_e32 v3, v6
	v_min_u32_e32 v8, 32, v3
	v_subrev_u32_e32 v3, 28, v8
	v_lshlrev_b64 v[2:3], v3, v[2:3]
	v_lshrrev_b32_e32 v7, 3, v5
	v_sub_u32_e32 v3, 29, v8
	v_and_b32_e32 v2, 7, v2
	v_cmp_gt_u32_e32 vcc, 8, v5
	v_cndmask_b32_e32 v3, v7, v3, vcc
	v_cndmask_b32_e32 v2, v6, v2, vcc
	v_lshlrev_b32_e32 v5, 8, v10
	v_lshlrev_b32_e32 v2, 20, v2
	v_and_b32_e32 v5, 0x80000000, v5
	v_lshl_add_u32 v3, v3, 23, v27
	v_or3_b32 v3, v5, v3, v2
.LBB2_2033:                             ;   in Loop: Header=BB2_1591 Depth=2
	s_or_b64 exec, exec, s[54:55]
.LBB2_2034:                             ;   in Loop: Header=BB2_1591 Depth=2
	s_or_b64 exec, exec, s[52:53]
.LBB2_2035:                             ;   in Loop: Header=BB2_1591 Depth=2
	s_or_b64 exec, exec, s[18:19]
	v_add_f32_e32 v2, v4, v3
	v_and_b32_sdwa v4, v2, s68 dst_sel:DWORD dst_unused:UNUSED_PAD src0_sel:BYTE_3 src1_sel:DWORD
	v_and_b32_e32 v6, 0x7f800000, v2
	v_mov_b32_e32 v7, v53
	v_and_b32_e32 v52, 0x7fffff, v2
	v_or_b32_e32 v25, 0x7e, v4
	v_cmp_ne_u64_e32 vcc, s[38:39], v[6:7]
	s_and_saveexec_b64 s[18:19], vcc
	s_xor_b64 s[52:53], exec, s[18:19]
	s_cbranch_execz .LBB2_2045
; %bb.2036:                             ;   in Loop: Header=BB2_1591 Depth=2
	v_and_b32_e32 v6, 0x7fffffff, v2
	v_mov_b32_e32 v7, v53
	v_cmp_gt_u64_e32 vcc, s[40:41], v[6:7]
	s_and_saveexec_b64 s[54:55], vcc
	s_cbranch_execz .LBB2_2044
; %bb.2037:                             ;   in Loop: Header=BB2_1591 Depth=2
	v_cmp_ne_u32_e32 vcc, 0, v2
	v_mov_b32_e32 v25, 0
	s_and_saveexec_b64 s[56:57], vcc
	s_cbranch_execz .LBB2_2043
; %bb.2038:                             ;   in Loop: Header=BB2_1591 Depth=2
	v_bfe_u32 v2, v2, 23, 8
	v_sub_u32_e32 v5, 0x79, v2
	v_cmp_gt_u32_e32 vcc, s71, v2
	v_add_u32_e32 v3, 0xffffff81, v2
	v_cndmask_b32_e32 v5, 0, v5, vcc
	v_cmp_eq_u32_e32 vcc, 0, v2
	v_mov_b32_e32 v2, 0xffffff82
	v_cndmask_b32_e32 v18, v3, v2, vcc
	v_mov_b32_e32 v2, 0x78
	v_or_b32_e32 v6, 0x800000, v52
	v_cndmask_b32_e32 v5, v5, v2, vcc
	v_cndmask_b32_e32 v52, v6, v52, vcc
	v_add_u32_e32 v2, 20, v5
	v_lshlrev_b64 v[2:3], v2, -1
	v_lshrrev_b64 v[8:9], v5, v[52:53]
	v_not_b32_e32 v3, v3
	v_not_b32_e32 v2, v2
	v_add_u32_e32 v6, 19, v5
	v_lshrrev_b32_e32 v25, 23, v8
	v_and_b32_e32 v3, 0, v3
	v_and_b32_e32 v2, v52, v2
	v_lshlrev_b64 v[6:7], v6, 1
	v_add3_u32 v25, v5, v18, v25
	v_bfe_u32 v5, v8, 20, 1
	v_add_u32_e32 v5, -1, v5
	v_cmp_eq_u64_e32 vcc, v[2:3], v[6:7]
	v_cndmask_b32_e32 v2, 0, v5, vcc
	v_add_u32_e32 v2, v2, v8
	v_and_b32_e32 v2, 0xfffff, v2
	v_add_co_u32_e32 v2, vcc, v2, v8
	v_add_u32_e32 v18, 6, v25
	v_addc_co_u32_e32 v3, vcc, 0, v9, vcc
	v_cmp_ne_u32_e32 vcc, 0, v18
                                        ; implicit-def: $vgpr5
	s_and_saveexec_b64 s[18:19], vcc
	s_xor_b64 s[18:19], exec, s[18:19]
; %bb.2039:                             ;   in Loop: Header=BB2_1591 Depth=2
	v_cmp_lt_u64_e32 vcc, s[44:45], v[2:3]
	v_add_u32_e32 v5, 7, v25
	v_cndmask_b32_e64 v6, 0, 1, vcc
	v_cndmask_b32_e32 v5, v18, v5, vcc
	v_lshrrev_b64 v[2:3], v6, v[2:3]
; %bb.2040:                             ;   in Loop: Header=BB2_1591 Depth=2
	s_andn2_saveexec_b64 s[18:19], s[18:19]
; %bb.2041:                             ;   in Loop: Header=BB2_1591 Depth=2
	v_bfe_u32 v5, v2, 23, 1
; %bb.2042:                             ;   in Loop: Header=BB2_1591 Depth=2
	s_or_b64 exec, exec, s[18:19]
	v_lshrrev_b64 v[2:3], 20, v[2:3]
	v_cmp_gt_i32_e32 vcc, 16, v5
	v_cndmask_b32_e32 v3, 0, v3, vcc
	v_cndmask_b32_e32 v2, 7, v2, vcc
	v_cmp_eq_u64_e64 s[18:19], 0, v[2:3]
	v_min_i32_e32 v3, 15, v5
	v_cmp_eq_u32_e32 vcc, 0, v5
	v_lshlrev_b32_e32 v3, 3, v3
	v_and_or_b32 v2, v2, 7, v3
	s_and_b64 s[18:19], vcc, s[18:19]
	v_cndmask_b32_e64 v2, v2, 0, s[18:19]
	v_or_b32_e32 v25, v2, v4
.LBB2_2043:                             ;   in Loop: Header=BB2_1591 Depth=2
	s_or_b64 exec, exec, s[56:57]
.LBB2_2044:                             ;   in Loop: Header=BB2_1591 Depth=2
	s_or_b64 exec, exec, s[54:55]
                                        ; implicit-def: $vgpr2
.LBB2_2045:                             ;   in Loop: Header=BB2_1591 Depth=2
	s_andn2_saveexec_b64 s[18:19], s[52:53]
; %bb.2046:                             ;   in Loop: Header=BB2_1591 Depth=2
	v_or_b32_sdwa v2, v2, s69 dst_sel:DWORD dst_unused:UNUSED_PAD src0_sel:BYTE_3 src1_sel:DWORD
	v_cmp_eq_u64_e32 vcc, 0, v[52:53]
	v_cndmask_b32_e32 v25, v2, v25, vcc
; %bb.2047:                             ;   in Loop: Header=BB2_1591 Depth=2
	s_or_b64 exec, exec, s[18:19]
	v_cmp_lt_u32_e32 vcc, s43, v14
	v_mov_b32_e32 v3, 0
	v_mov_b32_e32 v4, 0
	s_and_saveexec_b64 s[18:19], vcc
	s_cbranch_execz .LBB2_2053
; %bb.2048:                             ;   in Loop: Header=BB2_1591 Depth=2
	v_lshrrev_b32_e32 v2, 24, v14
	v_cmp_ne_u32_e32 vcc, s68, v2
	v_bfrev_b32_e32 v4, 1
	s_and_saveexec_b64 s[52:53], vcc
	s_cbranch_execz .LBB2_2052
; %bb.2049:                             ;   in Loop: Header=BB2_1591 Depth=2
	v_bfe_u32 v5, v14, 24, 7
	v_cmp_ne_u32_e32 vcc, s69, v5
	v_mov_b32_e32 v4, 0x7f800001
	s_and_saveexec_b64 s[54:55], vcc
	s_cbranch_execz .LBB2_2051
; %bb.2050:                             ;   in Loop: Header=BB2_1591 Depth=2
	v_and_b32_e32 v4, 7, v2
	v_ffbh_u32_e32 v6, v4
	v_min_u32_e32 v9, 32, v6
	v_subrev_u32_e32 v6, 28, v9
	v_lshlrev_b64 v[6:7], v6, v[2:3]
	v_lshrrev_b32_e32 v8, 3, v5
	v_sub_u32_e32 v7, 29, v9
	v_and_b32_e32 v6, 7, v6
	v_cmp_gt_u32_e32 vcc, 8, v5
	v_cndmask_b32_e32 v5, v8, v7, vcc
	v_cndmask_b32_e32 v4, v4, v6, vcc
	v_lshlrev_b32_e32 v2, 24, v2
	v_lshlrev_b32_e32 v4, 20, v4
	v_and_b32_e32 v2, 0x80000000, v2
	v_lshl_add_u32 v5, v5, 23, v27
	v_or3_b32 v4, v2, v5, v4
.LBB2_2051:                             ;   in Loop: Header=BB2_1591 Depth=2
	s_or_b64 exec, exec, s[54:55]
.LBB2_2052:                             ;   in Loop: Header=BB2_1591 Depth=2
	s_or_b64 exec, exec, s[52:53]
.LBB2_2053:                             ;   in Loop: Header=BB2_1591 Depth=2
	s_or_b64 exec, exec, s[18:19]
	v_cmp_lt_u32_e32 vcc, s43, v10
	s_and_saveexec_b64 s[18:19], vcc
	s_cbranch_execz .LBB2_2059
; %bb.2054:                             ;   in Loop: Header=BB2_1591 Depth=2
	v_lshrrev_b32_e32 v2, 24, v10
	v_cmp_ne_u32_e32 vcc, s68, v2
	v_bfrev_b32_e32 v3, 1
	s_and_saveexec_b64 s[52:53], vcc
	s_cbranch_execz .LBB2_2058
; %bb.2055:                             ;   in Loop: Header=BB2_1591 Depth=2
	v_bfe_u32 v5, v10, 24, 7
	v_cmp_ne_u32_e32 vcc, s69, v5
	v_mov_b32_e32 v3, 0x7f800001
	s_and_saveexec_b64 s[54:55], vcc
	s_cbranch_execz .LBB2_2057
; %bb.2056:                             ;   in Loop: Header=BB2_1591 Depth=2
	v_and_b32_e32 v3, 7, v2
	v_ffbh_u32_e32 v6, v3
	v_min_u32_e32 v9, 32, v6
	v_subrev_u32_e32 v6, 28, v9
	v_lshlrev_b64 v[6:7], v6, v[2:3]
	v_lshrrev_b32_e32 v8, 3, v5
	v_sub_u32_e32 v7, 29, v9
	v_and_b32_e32 v6, 7, v6
	v_cmp_gt_u32_e32 vcc, 8, v5
	v_cndmask_b32_e32 v5, v8, v7, vcc
	v_cndmask_b32_e32 v3, v3, v6, vcc
	v_lshlrev_b32_e32 v2, 24, v2
	v_lshlrev_b32_e32 v3, 20, v3
	v_and_b32_e32 v2, 0x80000000, v2
	v_lshl_add_u32 v5, v5, 23, v27
	v_or3_b32 v3, v2, v5, v3
.LBB2_2057:                             ;   in Loop: Header=BB2_1591 Depth=2
	s_or_b64 exec, exec, s[54:55]
.LBB2_2058:                             ;   in Loop: Header=BB2_1591 Depth=2
	s_or_b64 exec, exec, s[52:53]
.LBB2_2059:                             ;   in Loop: Header=BB2_1591 Depth=2
	s_or_b64 exec, exec, s[18:19]
	v_add_f32_e32 v2, v4, v3
	v_and_b32_sdwa v4, v2, s68 dst_sel:DWORD dst_unused:UNUSED_PAD src0_sel:BYTE_3 src1_sel:DWORD
	v_and_b32_e32 v6, 0x7f800000, v2
	v_mov_b32_e32 v7, v53
	v_and_b32_e32 v52, 0x7fffff, v2
	v_or_b32_e32 v51, 0x7e, v4
	v_cmp_ne_u64_e32 vcc, s[38:39], v[6:7]
	s_and_saveexec_b64 s[18:19], vcc
	s_xor_b64 s[52:53], exec, s[18:19]
	s_cbranch_execz .LBB2_2069
; %bb.2060:                             ;   in Loop: Header=BB2_1591 Depth=2
	v_and_b32_e32 v6, 0x7fffffff, v2
	v_mov_b32_e32 v7, v53
	v_cmp_gt_u64_e32 vcc, s[40:41], v[6:7]
	s_and_saveexec_b64 s[54:55], vcc
	s_cbranch_execz .LBB2_2068
; %bb.2061:                             ;   in Loop: Header=BB2_1591 Depth=2
	v_cmp_ne_u32_e32 vcc, 0, v2
	v_mov_b32_e32 v51, 0
	s_and_saveexec_b64 s[56:57], vcc
	s_cbranch_execz .LBB2_2067
; %bb.2062:                             ;   in Loop: Header=BB2_1591 Depth=2
	v_bfe_u32 v2, v2, 23, 8
	v_sub_u32_e32 v5, 0x79, v2
	v_cmp_gt_u32_e32 vcc, s71, v2
	v_add_u32_e32 v3, 0xffffff81, v2
	v_cndmask_b32_e32 v5, 0, v5, vcc
	v_cmp_eq_u32_e32 vcc, 0, v2
	v_mov_b32_e32 v2, 0xffffff82
	v_cndmask_b32_e32 v18, v3, v2, vcc
	v_mov_b32_e32 v2, 0x78
	v_or_b32_e32 v6, 0x800000, v52
	v_cndmask_b32_e32 v5, v5, v2, vcc
	v_cndmask_b32_e32 v52, v6, v52, vcc
	v_add_u32_e32 v2, 20, v5
	v_lshlrev_b64 v[2:3], v2, -1
	v_lshrrev_b64 v[8:9], v5, v[52:53]
	v_not_b32_e32 v3, v3
	v_not_b32_e32 v2, v2
	v_add_u32_e32 v6, 19, v5
	v_lshrrev_b32_e32 v28, 23, v8
	v_and_b32_e32 v3, 0, v3
	v_and_b32_e32 v2, v52, v2
	v_lshlrev_b64 v[6:7], v6, 1
	v_add3_u32 v28, v5, v18, v28
	v_bfe_u32 v5, v8, 20, 1
	v_add_u32_e32 v5, -1, v5
	v_cmp_eq_u64_e32 vcc, v[2:3], v[6:7]
	v_cndmask_b32_e32 v2, 0, v5, vcc
	v_add_u32_e32 v2, v2, v8
	v_and_b32_e32 v2, 0xfffff, v2
	v_add_co_u32_e32 v2, vcc, v2, v8
	v_add_u32_e32 v18, 6, v28
	v_addc_co_u32_e32 v3, vcc, 0, v9, vcc
	v_cmp_ne_u32_e32 vcc, 0, v18
                                        ; implicit-def: $vgpr5
	s_and_saveexec_b64 s[18:19], vcc
	s_xor_b64 s[18:19], exec, s[18:19]
; %bb.2063:                             ;   in Loop: Header=BB2_1591 Depth=2
	v_cmp_lt_u64_e32 vcc, s[44:45], v[2:3]
	v_add_u32_e32 v5, 7, v28
	v_cndmask_b32_e64 v6, 0, 1, vcc
	v_cndmask_b32_e32 v5, v18, v5, vcc
	v_lshrrev_b64 v[2:3], v6, v[2:3]
; %bb.2064:                             ;   in Loop: Header=BB2_1591 Depth=2
	s_andn2_saveexec_b64 s[18:19], s[18:19]
; %bb.2065:                             ;   in Loop: Header=BB2_1591 Depth=2
	v_bfe_u32 v5, v2, 23, 1
; %bb.2066:                             ;   in Loop: Header=BB2_1591 Depth=2
	s_or_b64 exec, exec, s[18:19]
	v_lshrrev_b64 v[2:3], 20, v[2:3]
	v_cmp_gt_i32_e32 vcc, 16, v5
	v_cndmask_b32_e32 v3, 0, v3, vcc
	v_cndmask_b32_e32 v2, 7, v2, vcc
	v_cmp_eq_u64_e64 s[18:19], 0, v[2:3]
	v_min_i32_e32 v3, 15, v5
	v_cmp_eq_u32_e32 vcc, 0, v5
	v_lshlrev_b32_e32 v3, 3, v3
	v_and_or_b32 v2, v2, 7, v3
	s_and_b64 s[18:19], vcc, s[18:19]
	v_cndmask_b32_e64 v2, v2, 0, s[18:19]
	v_or_b32_e32 v51, v2, v4
.LBB2_2067:                             ;   in Loop: Header=BB2_1591 Depth=2
	s_or_b64 exec, exec, s[56:57]
.LBB2_2068:                             ;   in Loop: Header=BB2_1591 Depth=2
	s_or_b64 exec, exec, s[54:55]
                                        ; implicit-def: $vgpr2
.LBB2_2069:                             ;   in Loop: Header=BB2_1591 Depth=2
	s_andn2_saveexec_b64 s[18:19], s[52:53]
; %bb.2070:                             ;   in Loop: Header=BB2_1591 Depth=2
	v_or_b32_sdwa v2, v2, s69 dst_sel:DWORD dst_unused:UNUSED_PAD src0_sel:BYTE_3 src1_sel:DWORD
	v_cmp_eq_u64_e32 vcc, 0, v[52:53]
	v_cndmask_b32_e32 v51, v2, v51, vcc
; %bb.2071:                             ;   in Loop: Header=BB2_1591 Depth=2
	s_or_b64 exec, exec, s[18:19]
	v_mov_b32_e32 v52, v15
	v_cmp_ne_u16_sdwa vcc, v15, v53 src0_sel:BYTE_0 src1_sel:DWORD
	v_mov_b32_e32 v3, 0
	v_mov_b32_e32 v2, 0
	s_and_saveexec_b64 s[18:19], vcc
	s_cbranch_execz .LBB2_2077
; %bb.2072:                             ;   in Loop: Header=BB2_1591 Depth=2
	v_cmp_ne_u16_sdwa vcc, v15, s68 src0_sel:BYTE_0 src1_sel:DWORD
	v_bfrev_b32_e32 v2, 1
	s_and_saveexec_b64 s[52:53], vcc
	s_cbranch_execz .LBB2_2076
; %bb.2073:                             ;   in Loop: Header=BB2_1591 Depth=2
	v_and_b32_e32 v4, 0x7f, v15
	v_cmp_ne_u32_e32 vcc, s69, v4
	v_mov_b32_e32 v2, 0x7f800001
	s_and_saveexec_b64 s[54:55], vcc
	s_cbranch_execz .LBB2_2075
; %bb.2074:                             ;   in Loop: Header=BB2_1591 Depth=2
	v_and_b32_e32 v2, 7, v15
	v_ffbh_u32_e32 v2, v2
	v_min_u32_e32 v2, 32, v2
	v_subrev_u32_e32 v6, 28, v2
	v_cmp_gt_u32_e32 vcc, 8, v4
	v_lshrrev_b32_e32 v5, 3, v4
	v_sub_u32_e32 v2, 29, v2
	v_cndmask_b32_e32 v4, 0, v6, vcc
	v_cndmask_b32_e32 v2, v5, v2, vcc
	v_lshlrev_b64 v[4:5], v4, v[52:53]
	v_lshlrev_b32_e32 v4, 20, v4
	v_lshlrev_b32_e32 v5, 24, v52
	v_and_b32_e32 v4, 0x700000, v4
	v_and_b32_e32 v5, 0x80000000, v5
	v_lshl_add_u32 v2, v2, 23, v27
	v_or3_b32 v2, v5, v2, v4
.LBB2_2075:                             ;   in Loop: Header=BB2_1591 Depth=2
	s_or_b64 exec, exec, s[54:55]
.LBB2_2076:                             ;   in Loop: Header=BB2_1591 Depth=2
	s_or_b64 exec, exec, s[52:53]
.LBB2_2077:                             ;   in Loop: Header=BB2_1591 Depth=2
	s_or_b64 exec, exec, s[18:19]
	v_cmp_ne_u16_sdwa vcc, v11, v53 src0_sel:BYTE_0 src1_sel:DWORD
	s_and_saveexec_b64 s[18:19], vcc
	s_cbranch_execz .LBB2_2083
; %bb.2078:                             ;   in Loop: Header=BB2_1591 Depth=2
	v_cmp_ne_u16_sdwa vcc, v11, s68 src0_sel:BYTE_0 src1_sel:DWORD
	v_bfrev_b32_e32 v3, 1
	s_and_saveexec_b64 s[52:53], vcc
	s_cbranch_execz .LBB2_2082
; %bb.2079:                             ;   in Loop: Header=BB2_1591 Depth=2
	v_and_b32_e32 v4, 0x7f, v11
	v_cmp_ne_u32_e32 vcc, s69, v4
	v_mov_b32_e32 v3, 0x7f800001
	s_and_saveexec_b64 s[54:55], vcc
	s_cbranch_execz .LBB2_2081
; %bb.2080:                             ;   in Loop: Header=BB2_1591 Depth=2
	v_and_b32_e32 v3, 7, v11
	v_ffbh_u32_e32 v3, v3
	v_min_u32_e32 v3, 32, v3
	v_subrev_u32_e32 v8, 28, v3
	v_cmp_gt_u32_e32 vcc, 8, v4
	v_mov_b32_e32 v6, v11
	v_mov_b32_e32 v7, v53
	v_lshrrev_b32_e32 v5, 3, v4
	v_sub_u32_e32 v3, 29, v3
	v_cndmask_b32_e32 v4, 0, v8, vcc
	v_cndmask_b32_e32 v3, v5, v3, vcc
	v_lshlrev_b64 v[4:5], v4, v[6:7]
	v_lshlrev_b32_e32 v4, 20, v4
	v_lshlrev_b32_e32 v5, 24, v6
	v_and_b32_e32 v4, 0x700000, v4
	v_and_b32_e32 v5, 0x80000000, v5
	v_lshl_add_u32 v3, v3, 23, v27
	v_or3_b32 v3, v5, v3, v4
.LBB2_2081:                             ;   in Loop: Header=BB2_1591 Depth=2
	s_or_b64 exec, exec, s[54:55]
.LBB2_2082:                             ;   in Loop: Header=BB2_1591 Depth=2
	s_or_b64 exec, exec, s[52:53]
.LBB2_2083:                             ;   in Loop: Header=BB2_1591 Depth=2
	s_or_b64 exec, exec, s[18:19]
	v_add_f32_e32 v5, v2, v3
	v_and_b32_sdwa v4, v5, s68 dst_sel:DWORD dst_unused:UNUSED_PAD src0_sel:BYTE_3 src1_sel:DWORD
	v_and_b32_e32 v6, 0x7f800000, v5
	v_mov_b32_e32 v7, v53
	v_and_b32_e32 v2, 0x7fffff, v5
	v_mov_b32_e32 v3, v53
	v_or_b32_e32 v54, 0x7e, v4
	v_cmp_ne_u64_e32 vcc, s[38:39], v[6:7]
	s_and_saveexec_b64 s[18:19], vcc
	s_xor_b64 s[52:53], exec, s[18:19]
	s_cbranch_execz .LBB2_2093
; %bb.2084:                             ;   in Loop: Header=BB2_1591 Depth=2
	v_and_b32_e32 v6, 0x7fffffff, v5
	v_mov_b32_e32 v7, v53
	v_cmp_gt_u64_e32 vcc, s[40:41], v[6:7]
	s_and_saveexec_b64 s[54:55], vcc
	s_cbranch_execz .LBB2_2092
; %bb.2085:                             ;   in Loop: Header=BB2_1591 Depth=2
	v_cmp_ne_u32_e32 vcc, 0, v5
	v_mov_b32_e32 v54, 0
	s_and_saveexec_b64 s[56:57], vcc
	s_cbranch_execz .LBB2_2091
; %bb.2086:                             ;   in Loop: Header=BB2_1591 Depth=2
	v_bfe_u32 v5, v5, 23, 8
	v_sub_u32_e32 v7, 0x79, v5
	v_cmp_gt_u32_e32 vcc, s71, v5
	v_add_u32_e32 v6, 0xffffff81, v5
	v_cndmask_b32_e32 v7, 0, v7, vcc
	v_cmp_eq_u32_e32 vcc, 0, v5
	v_mov_b32_e32 v5, 0xffffff82
	v_cndmask_b32_e32 v5, v6, v5, vcc
	v_mov_b32_e32 v6, 0x78
	v_cndmask_b32_e32 v18, v7, v6, vcc
	v_add_u32_e32 v6, 20, v18
	v_or_b32_e32 v8, 0x800000, v2
	v_lshlrev_b64 v[6:7], v6, -1
	v_cndmask_b32_e32 v2, v8, v2, vcc
	v_not_b32_e32 v6, v6
	v_and_b32_e32 v6, v2, v6
	v_lshrrev_b64 v[2:3], v18, v[2:3]
	v_not_b32_e32 v7, v7
	v_add_u32_e32 v8, 19, v18
	v_lshrrev_b32_e32 v28, 23, v2
	v_and_b32_e32 v7, 0, v7
	v_lshlrev_b64 v[8:9], v8, 1
	v_add3_u32 v28, v18, v5, v28
	v_bfe_u32 v5, v2, 20, 1
	v_add_u32_e32 v5, -1, v5
	v_cmp_eq_u64_e32 vcc, v[6:7], v[8:9]
	v_cndmask_b32_e32 v5, 0, v5, vcc
	v_add_u32_e32 v5, v5, v2
	v_and_b32_e32 v5, 0xfffff, v5
	v_add_co_u32_e32 v2, vcc, v5, v2
	v_add_u32_e32 v18, 6, v28
	v_addc_co_u32_e32 v3, vcc, 0, v3, vcc
	v_cmp_ne_u32_e32 vcc, 0, v18
                                        ; implicit-def: $vgpr5
	s_and_saveexec_b64 s[18:19], vcc
	s_xor_b64 s[18:19], exec, s[18:19]
; %bb.2087:                             ;   in Loop: Header=BB2_1591 Depth=2
	v_cmp_lt_u64_e32 vcc, s[44:45], v[2:3]
	v_add_u32_e32 v5, 7, v28
	v_cndmask_b32_e64 v6, 0, 1, vcc
	v_cndmask_b32_e32 v5, v18, v5, vcc
	v_lshrrev_b64 v[2:3], v6, v[2:3]
; %bb.2088:                             ;   in Loop: Header=BB2_1591 Depth=2
	s_andn2_saveexec_b64 s[18:19], s[18:19]
; %bb.2089:                             ;   in Loop: Header=BB2_1591 Depth=2
	v_bfe_u32 v5, v2, 23, 1
; %bb.2090:                             ;   in Loop: Header=BB2_1591 Depth=2
	s_or_b64 exec, exec, s[18:19]
	v_lshrrev_b64 v[2:3], 20, v[2:3]
	v_cmp_gt_i32_e32 vcc, 16, v5
	v_cndmask_b32_e32 v3, 0, v3, vcc
	v_cndmask_b32_e32 v2, 7, v2, vcc
	v_cmp_eq_u64_e64 s[18:19], 0, v[2:3]
	v_min_i32_e32 v3, 15, v5
	v_cmp_eq_u32_e32 vcc, 0, v5
	v_lshlrev_b32_e32 v3, 3, v3
	v_and_or_b32 v2, v2, 7, v3
	s_and_b64 s[18:19], vcc, s[18:19]
	v_cndmask_b32_e64 v2, v2, 0, s[18:19]
	v_or_b32_e32 v54, v2, v4
.LBB2_2091:                             ;   in Loop: Header=BB2_1591 Depth=2
	s_or_b64 exec, exec, s[56:57]
.LBB2_2092:                             ;   in Loop: Header=BB2_1591 Depth=2
	s_or_b64 exec, exec, s[54:55]
                                        ; implicit-def: $vgpr5
                                        ; implicit-def: $vgpr2_vgpr3
.LBB2_2093:                             ;   in Loop: Header=BB2_1591 Depth=2
	s_andn2_saveexec_b64 s[18:19], s[52:53]
; %bb.2094:                             ;   in Loop: Header=BB2_1591 Depth=2
	v_or_b32_sdwa v4, v5, s69 dst_sel:DWORD dst_unused:UNUSED_PAD src0_sel:BYTE_3 src1_sel:DWORD
	v_cmp_eq_u64_e32 vcc, 0, v[2:3]
	v_cndmask_b32_e32 v54, v4, v54, vcc
; %bb.2095:                             ;   in Loop: Header=BB2_1591 Depth=2
	s_or_b64 exec, exec, s[18:19]
	v_lshrrev_b16_e32 v2, 8, v52
	v_cmp_ne_u16_e32 vcc, 0, v2
	v_mov_b32_e32 v3, 0
	v_mov_b32_e32 v4, 0
	s_and_saveexec_b64 s[18:19], vcc
	s_cbranch_execz .LBB2_2101
; %bb.2096:                             ;   in Loop: Header=BB2_1591 Depth=2
	v_cmp_ne_u16_e32 vcc, s68, v2
	v_bfrev_b32_e32 v4, 1
	s_and_saveexec_b64 s[52:53], vcc
	s_cbranch_execz .LBB2_2100
; %bb.2097:                             ;   in Loop: Header=BB2_1591 Depth=2
	v_and_b32_e32 v5, 0x7f, v2
	v_cmp_ne_u32_e32 vcc, s69, v5
	v_mov_b32_e32 v4, 0x7f800001
	s_and_saveexec_b64 s[54:55], vcc
	s_cbranch_execz .LBB2_2099
; %bb.2098:                             ;   in Loop: Header=BB2_1591 Depth=2
	v_and_b32_e32 v4, 7, v2
	v_ffbh_u32_e32 v6, v4
	v_min_u32_e32 v9, 32, v6
	v_subrev_u32_e32 v6, 28, v9
	v_lshlrev_b64 v[6:7], v6, v[2:3]
	v_lshrrev_b32_e32 v8, 3, v5
	v_sub_u32_e32 v2, 29, v9
	v_and_b32_e32 v6, 7, v6
	v_cmp_gt_u32_e32 vcc, 8, v5
	v_cndmask_b32_e32 v2, v8, v2, vcc
	v_cndmask_b32_e32 v4, v4, v6, vcc
	v_lshlrev_b32_e32 v5, 16, v52
	v_lshlrev_b32_e32 v4, 20, v4
	v_and_b32_e32 v5, 0x80000000, v5
	v_lshl_add_u32 v2, v2, 23, v27
	v_or3_b32 v4, v5, v2, v4
.LBB2_2099:                             ;   in Loop: Header=BB2_1591 Depth=2
	s_or_b64 exec, exec, s[54:55]
.LBB2_2100:                             ;   in Loop: Header=BB2_1591 Depth=2
	s_or_b64 exec, exec, s[52:53]
.LBB2_2101:                             ;   in Loop: Header=BB2_1591 Depth=2
	s_or_b64 exec, exec, s[18:19]
	v_mov_b32_e32 v2, v11
	v_lshrrev_b16_e32 v18, 8, v2
	v_cmp_ne_u16_e32 vcc, 0, v18
	s_and_saveexec_b64 s[18:19], vcc
	s_cbranch_execz .LBB2_2107
; %bb.2102:                             ;   in Loop: Header=BB2_1591 Depth=2
	v_cmp_ne_u16_e32 vcc, s68, v18
	v_bfrev_b32_e32 v3, 1
	s_and_saveexec_b64 s[52:53], vcc
	s_cbranch_execz .LBB2_2106
; %bb.2103:                             ;   in Loop: Header=BB2_1591 Depth=2
	v_and_b32_e32 v5, 0x7f, v18
	v_cmp_ne_u32_e32 vcc, s69, v5
	v_mov_b32_e32 v3, 0x7f800001
	s_and_saveexec_b64 s[54:55], vcc
	s_cbranch_execz .LBB2_2105
; %bb.2104:                             ;   in Loop: Header=BB2_1591 Depth=2
	v_and_b32_e32 v3, 7, v18
	v_ffbh_u32_e32 v6, v3
	v_min_u32_e32 v9, 32, v6
	v_subrev_u32_e32 v6, 28, v9
	v_lshlrev_b64 v[6:7], v6, v[18:19]
	v_lshrrev_b32_e32 v8, 3, v5
	v_sub_u32_e32 v7, 29, v9
	v_and_b32_e32 v6, 7, v6
	v_cmp_gt_u32_e32 vcc, 8, v5
	v_cndmask_b32_e32 v5, v8, v7, vcc
	v_cndmask_b32_e32 v3, v3, v6, vcc
	v_lshlrev_b32_e32 v2, 16, v2
	v_lshlrev_b32_e32 v3, 20, v3
	v_and_b32_e32 v2, 0x80000000, v2
	v_lshl_add_u32 v5, v5, 23, v27
	v_or3_b32 v3, v2, v5, v3
.LBB2_2105:                             ;   in Loop: Header=BB2_1591 Depth=2
	s_or_b64 exec, exec, s[54:55]
.LBB2_2106:                             ;   in Loop: Header=BB2_1591 Depth=2
	s_or_b64 exec, exec, s[52:53]
.LBB2_2107:                             ;   in Loop: Header=BB2_1591 Depth=2
	s_or_b64 exec, exec, s[18:19]
	v_add_f32_e32 v2, v4, v3
	v_and_b32_sdwa v4, v2, s68 dst_sel:DWORD dst_unused:UNUSED_PAD src0_sel:BYTE_3 src1_sel:DWORD
	v_and_b32_e32 v6, 0x7f800000, v2
	v_mov_b32_e32 v7, v53
	v_and_b32_e32 v52, 0x7fffff, v2
	v_or_b32_e32 v18, 0x7e, v4
	v_cmp_ne_u64_e32 vcc, s[38:39], v[6:7]
	s_and_saveexec_b64 s[18:19], vcc
	s_xor_b64 s[52:53], exec, s[18:19]
	s_cbranch_execz .LBB2_2117
; %bb.2108:                             ;   in Loop: Header=BB2_1591 Depth=2
	v_and_b32_e32 v6, 0x7fffffff, v2
	v_mov_b32_e32 v7, v53
	v_cmp_gt_u64_e32 vcc, s[40:41], v[6:7]
	s_and_saveexec_b64 s[54:55], vcc
	s_cbranch_execz .LBB2_2116
; %bb.2109:                             ;   in Loop: Header=BB2_1591 Depth=2
	v_cmp_ne_u32_e32 vcc, 0, v2
	v_mov_b32_e32 v18, 0
	s_and_saveexec_b64 s[56:57], vcc
	s_cbranch_execz .LBB2_2115
; %bb.2110:                             ;   in Loop: Header=BB2_1591 Depth=2
	v_bfe_u32 v2, v2, 23, 8
	v_sub_u32_e32 v5, 0x79, v2
	v_cmp_gt_u32_e32 vcc, s71, v2
	v_add_u32_e32 v3, 0xffffff81, v2
	v_cndmask_b32_e32 v5, 0, v5, vcc
	v_cmp_eq_u32_e32 vcc, 0, v2
	v_mov_b32_e32 v2, 0xffffff82
	v_cndmask_b32_e32 v18, v3, v2, vcc
	v_mov_b32_e32 v2, 0x78
	v_or_b32_e32 v6, 0x800000, v52
	v_cndmask_b32_e32 v5, v5, v2, vcc
	v_cndmask_b32_e32 v52, v6, v52, vcc
	v_add_u32_e32 v2, 20, v5
	v_lshlrev_b64 v[2:3], v2, -1
	v_lshrrev_b64 v[8:9], v5, v[52:53]
	v_not_b32_e32 v3, v3
	v_not_b32_e32 v2, v2
	v_add_u32_e32 v6, 19, v5
	v_lshrrev_b32_e32 v28, 23, v8
	v_and_b32_e32 v3, 0, v3
	v_and_b32_e32 v2, v52, v2
	v_lshlrev_b64 v[6:7], v6, 1
	v_add3_u32 v28, v5, v18, v28
	v_bfe_u32 v5, v8, 20, 1
	v_add_u32_e32 v5, -1, v5
	v_cmp_eq_u64_e32 vcc, v[2:3], v[6:7]
	v_cndmask_b32_e32 v2, 0, v5, vcc
	v_add_u32_e32 v2, v2, v8
	v_and_b32_e32 v2, 0xfffff, v2
	v_add_co_u32_e32 v2, vcc, v2, v8
	v_add_u32_e32 v18, 6, v28
	v_addc_co_u32_e32 v3, vcc, 0, v9, vcc
	v_cmp_ne_u32_e32 vcc, 0, v18
                                        ; implicit-def: $vgpr5
	s_and_saveexec_b64 s[18:19], vcc
	s_xor_b64 s[18:19], exec, s[18:19]
; %bb.2111:                             ;   in Loop: Header=BB2_1591 Depth=2
	v_cmp_lt_u64_e32 vcc, s[44:45], v[2:3]
	v_add_u32_e32 v5, 7, v28
	v_cndmask_b32_e64 v6, 0, 1, vcc
	v_cndmask_b32_e32 v5, v18, v5, vcc
	v_lshrrev_b64 v[2:3], v6, v[2:3]
; %bb.2112:                             ;   in Loop: Header=BB2_1591 Depth=2
	s_andn2_saveexec_b64 s[18:19], s[18:19]
; %bb.2113:                             ;   in Loop: Header=BB2_1591 Depth=2
	v_bfe_u32 v5, v2, 23, 1
; %bb.2114:                             ;   in Loop: Header=BB2_1591 Depth=2
	s_or_b64 exec, exec, s[18:19]
	v_lshrrev_b64 v[2:3], 20, v[2:3]
	v_cmp_gt_i32_e32 vcc, 16, v5
	v_cndmask_b32_e32 v3, 0, v3, vcc
	v_cndmask_b32_e32 v2, 7, v2, vcc
	v_cmp_eq_u64_e64 s[18:19], 0, v[2:3]
	v_min_i32_e32 v3, 15, v5
	v_cmp_eq_u32_e32 vcc, 0, v5
	v_lshlrev_b32_e32 v3, 3, v3
	v_and_or_b32 v2, v2, 7, v3
	s_and_b64 s[18:19], vcc, s[18:19]
	v_cndmask_b32_e64 v2, v2, 0, s[18:19]
	v_or_b32_e32 v18, v2, v4
.LBB2_2115:                             ;   in Loop: Header=BB2_1591 Depth=2
	s_or_b64 exec, exec, s[56:57]
.LBB2_2116:                             ;   in Loop: Header=BB2_1591 Depth=2
	s_or_b64 exec, exec, s[54:55]
                                        ; implicit-def: $vgpr2
.LBB2_2117:                             ;   in Loop: Header=BB2_1591 Depth=2
	s_andn2_saveexec_b64 s[18:19], s[52:53]
; %bb.2118:                             ;   in Loop: Header=BB2_1591 Depth=2
	v_or_b32_sdwa v2, v2, s69 dst_sel:DWORD dst_unused:UNUSED_PAD src0_sel:BYTE_3 src1_sel:DWORD
	v_cmp_eq_u64_e32 vcc, 0, v[52:53]
	v_cndmask_b32_e32 v18, v2, v18, vcc
; %bb.2119:                             ;   in Loop: Header=BB2_1591 Depth=2
	s_or_b64 exec, exec, s[18:19]
	v_lshrrev_b32_e32 v2, 16, v15
	v_cmp_ne_u16_sdwa vcc, v2, v53 src0_sel:BYTE_0 src1_sel:DWORD
	v_mov_b32_e32 v3, 0
	v_mov_b32_e32 v4, 0
	s_and_saveexec_b64 s[18:19], vcc
	s_cbranch_execz .LBB2_2125
; %bb.2120:                             ;   in Loop: Header=BB2_1591 Depth=2
	v_cmp_ne_u16_sdwa vcc, v2, s68 src0_sel:BYTE_0 src1_sel:DWORD
	v_bfrev_b32_e32 v4, 1
	s_and_saveexec_b64 s[52:53], vcc
	s_cbranch_execz .LBB2_2124
; %bb.2121:                             ;   in Loop: Header=BB2_1591 Depth=2
	v_bfe_u32 v5, v15, 16, 7
	v_cmp_ne_u32_e32 vcc, s69, v5
	v_mov_b32_e32 v4, 0x7f800001
	s_and_saveexec_b64 s[54:55], vcc
	s_cbranch_execz .LBB2_2123
; %bb.2122:                             ;   in Loop: Header=BB2_1591 Depth=2
	v_and_b32_e32 v4, 7, v2
	v_ffbh_u32_e32 v6, v4
	v_min_u32_e32 v9, 32, v6
	v_subrev_u32_e32 v6, 28, v9
	v_lshlrev_b64 v[6:7], v6, v[2:3]
	v_lshrrev_b32_e32 v8, 3, v5
	v_sub_u32_e32 v7, 29, v9
	v_and_b32_e32 v6, 7, v6
	v_cmp_gt_u32_e32 vcc, 8, v5
	v_cndmask_b32_e32 v5, v8, v7, vcc
	v_cndmask_b32_e32 v4, v4, v6, vcc
	v_lshlrev_b32_e32 v2, 24, v2
	v_lshlrev_b32_e32 v4, 20, v4
	v_and_b32_e32 v2, 0x80000000, v2
	v_lshl_add_u32 v5, v5, 23, v27
	v_or3_b32 v4, v2, v5, v4
.LBB2_2123:                             ;   in Loop: Header=BB2_1591 Depth=2
	s_or_b64 exec, exec, s[54:55]
.LBB2_2124:                             ;   in Loop: Header=BB2_1591 Depth=2
	s_or_b64 exec, exec, s[52:53]
.LBB2_2125:                             ;   in Loop: Header=BB2_1591 Depth=2
	s_or_b64 exec, exec, s[18:19]
	v_lshrrev_b32_e32 v2, 16, v11
	v_cmp_ne_u16_sdwa vcc, v2, v53 src0_sel:BYTE_0 src1_sel:DWORD
	s_and_saveexec_b64 s[18:19], vcc
	s_cbranch_execz .LBB2_2131
; %bb.2126:                             ;   in Loop: Header=BB2_1591 Depth=2
	v_cmp_ne_u16_sdwa vcc, v2, s68 src0_sel:BYTE_0 src1_sel:DWORD
	v_bfrev_b32_e32 v3, 1
	s_and_saveexec_b64 s[52:53], vcc
	s_cbranch_execz .LBB2_2130
; %bb.2127:                             ;   in Loop: Header=BB2_1591 Depth=2
	v_bfe_u32 v5, v11, 16, 7
	v_cmp_ne_u32_e32 vcc, s69, v5
	v_mov_b32_e32 v3, 0x7f800001
	s_and_saveexec_b64 s[54:55], vcc
	s_cbranch_execz .LBB2_2129
; %bb.2128:                             ;   in Loop: Header=BB2_1591 Depth=2
	v_and_b32_e32 v6, 7, v2
	v_ffbh_u32_e32 v3, v6
	v_min_u32_e32 v8, 32, v3
	v_subrev_u32_e32 v3, 28, v8
	v_lshlrev_b64 v[2:3], v3, v[2:3]
	v_lshrrev_b32_e32 v7, 3, v5
	v_sub_u32_e32 v3, 29, v8
	v_and_b32_e32 v2, 7, v2
	v_cmp_gt_u32_e32 vcc, 8, v5
	v_cndmask_b32_e32 v3, v7, v3, vcc
	v_cndmask_b32_e32 v2, v6, v2, vcc
	v_lshlrev_b32_e32 v5, 8, v11
	v_lshlrev_b32_e32 v2, 20, v2
	v_and_b32_e32 v5, 0x80000000, v5
	v_lshl_add_u32 v3, v3, 23, v27
	v_or3_b32 v3, v5, v3, v2
.LBB2_2129:                             ;   in Loop: Header=BB2_1591 Depth=2
	s_or_b64 exec, exec, s[54:55]
.LBB2_2130:                             ;   in Loop: Header=BB2_1591 Depth=2
	s_or_b64 exec, exec, s[52:53]
.LBB2_2131:                             ;   in Loop: Header=BB2_1591 Depth=2
	s_or_b64 exec, exec, s[18:19]
	v_add_f32_e32 v2, v4, v3
	v_and_b32_sdwa v4, v2, s68 dst_sel:DWORD dst_unused:UNUSED_PAD src0_sel:BYTE_3 src1_sel:DWORD
	v_and_b32_e32 v6, 0x7f800000, v2
	v_mov_b32_e32 v7, v53
	v_and_b32_e32 v52, 0x7fffff, v2
	v_or_b32_e32 v28, 0x7e, v4
	v_cmp_ne_u64_e32 vcc, s[38:39], v[6:7]
	s_and_saveexec_b64 s[18:19], vcc
	s_xor_b64 s[52:53], exec, s[18:19]
	s_cbranch_execz .LBB2_2141
; %bb.2132:                             ;   in Loop: Header=BB2_1591 Depth=2
	v_and_b32_e32 v6, 0x7fffffff, v2
	v_mov_b32_e32 v7, v53
	v_cmp_gt_u64_e32 vcc, s[40:41], v[6:7]
	s_and_saveexec_b64 s[54:55], vcc
	s_cbranch_execz .LBB2_2140
; %bb.2133:                             ;   in Loop: Header=BB2_1591 Depth=2
	v_cmp_ne_u32_e32 vcc, 0, v2
	v_mov_b32_e32 v28, 0
	s_and_saveexec_b64 s[56:57], vcc
	s_cbranch_execz .LBB2_2139
; %bb.2134:                             ;   in Loop: Header=BB2_1591 Depth=2
	v_bfe_u32 v2, v2, 23, 8
	v_sub_u32_e32 v5, 0x79, v2
	v_cmp_gt_u32_e32 vcc, s71, v2
	v_add_u32_e32 v3, 0xffffff81, v2
	v_cndmask_b32_e32 v5, 0, v5, vcc
	v_cmp_eq_u32_e32 vcc, 0, v2
	v_mov_b32_e32 v2, 0xffffff82
	v_cndmask_b32_e32 v28, v3, v2, vcc
	v_mov_b32_e32 v2, 0x78
	v_or_b32_e32 v6, 0x800000, v52
	v_cndmask_b32_e32 v5, v5, v2, vcc
	v_cndmask_b32_e32 v52, v6, v52, vcc
	v_add_u32_e32 v2, 20, v5
	v_lshlrev_b64 v[2:3], v2, -1
	v_lshrrev_b64 v[8:9], v5, v[52:53]
	v_not_b32_e32 v3, v3
	v_not_b32_e32 v2, v2
	v_add_u32_e32 v6, 19, v5
	v_lshrrev_b32_e32 v29, 23, v8
	v_and_b32_e32 v3, 0, v3
	v_and_b32_e32 v2, v52, v2
	v_lshlrev_b64 v[6:7], v6, 1
	v_add3_u32 v29, v5, v28, v29
	v_bfe_u32 v5, v8, 20, 1
	v_add_u32_e32 v5, -1, v5
	v_cmp_eq_u64_e32 vcc, v[2:3], v[6:7]
	v_cndmask_b32_e32 v2, 0, v5, vcc
	v_add_u32_e32 v2, v2, v8
	v_and_b32_e32 v2, 0xfffff, v2
	v_add_co_u32_e32 v2, vcc, v2, v8
	v_add_u32_e32 v28, 6, v29
	v_addc_co_u32_e32 v3, vcc, 0, v9, vcc
	v_cmp_ne_u32_e32 vcc, 0, v28
                                        ; implicit-def: $vgpr5
	s_and_saveexec_b64 s[18:19], vcc
	s_xor_b64 s[18:19], exec, s[18:19]
; %bb.2135:                             ;   in Loop: Header=BB2_1591 Depth=2
	v_cmp_lt_u64_e32 vcc, s[44:45], v[2:3]
	v_add_u32_e32 v5, 7, v29
	v_cndmask_b32_e64 v6, 0, 1, vcc
	v_cndmask_b32_e32 v5, v28, v5, vcc
	v_lshrrev_b64 v[2:3], v6, v[2:3]
; %bb.2136:                             ;   in Loop: Header=BB2_1591 Depth=2
	s_andn2_saveexec_b64 s[18:19], s[18:19]
; %bb.2137:                             ;   in Loop: Header=BB2_1591 Depth=2
	v_bfe_u32 v5, v2, 23, 1
; %bb.2138:                             ;   in Loop: Header=BB2_1591 Depth=2
	s_or_b64 exec, exec, s[18:19]
	v_lshrrev_b64 v[2:3], 20, v[2:3]
	v_cmp_gt_i32_e32 vcc, 16, v5
	v_cndmask_b32_e32 v3, 0, v3, vcc
	v_cndmask_b32_e32 v2, 7, v2, vcc
	v_cmp_eq_u64_e64 s[18:19], 0, v[2:3]
	v_min_i32_e32 v3, 15, v5
	v_lshlrev_b32_e32 v3, 3, v3
	v_cmp_eq_u32_e32 vcc, 0, v5
	v_and_b32_e32 v3, 0xf8, v3
	v_and_or_b32 v2, v2, 7, v3
	s_and_b64 s[18:19], vcc, s[18:19]
	v_cndmask_b32_e64 v2, v2, 0, s[18:19]
	v_or_b32_e32 v28, v2, v4
.LBB2_2139:                             ;   in Loop: Header=BB2_1591 Depth=2
	s_or_b64 exec, exec, s[56:57]
.LBB2_2140:                             ;   in Loop: Header=BB2_1591 Depth=2
	s_or_b64 exec, exec, s[54:55]
                                        ; implicit-def: $vgpr2
.LBB2_2141:                             ;   in Loop: Header=BB2_1591 Depth=2
	s_andn2_saveexec_b64 s[18:19], s[52:53]
; %bb.2142:                             ;   in Loop: Header=BB2_1591 Depth=2
	v_or_b32_sdwa v2, v2, s69 dst_sel:DWORD dst_unused:UNUSED_PAD src0_sel:BYTE_3 src1_sel:DWORD
	v_cmp_eq_u64_e32 vcc, 0, v[52:53]
	v_cndmask_b32_e32 v28, v2, v28, vcc
; %bb.2143:                             ;   in Loop: Header=BB2_1591 Depth=2
	s_or_b64 exec, exec, s[18:19]
	v_cmp_lt_u64_e32 vcc, s[42:43], v[14:15]
	v_mov_b32_e32 v3, 0
	v_mov_b32_e32 v4, 0
	s_and_saveexec_b64 s[18:19], vcc
	s_cbranch_execz .LBB2_2149
; %bb.2144:                             ;   in Loop: Header=BB2_1591 Depth=2
	v_lshrrev_b32_e32 v2, 24, v15
	v_cmp_ne_u32_e32 vcc, s68, v2
	v_bfrev_b32_e32 v4, 1
	s_and_saveexec_b64 s[52:53], vcc
	s_cbranch_execz .LBB2_2148
; %bb.2145:                             ;   in Loop: Header=BB2_1591 Depth=2
	v_bfe_u32 v5, v15, 24, 7
	v_cmp_ne_u32_e32 vcc, s69, v5
	v_mov_b32_e32 v4, 0x7f800001
	s_and_saveexec_b64 s[54:55], vcc
	s_cbranch_execz .LBB2_2147
; %bb.2146:                             ;   in Loop: Header=BB2_1591 Depth=2
	v_and_b32_e32 v4, 7, v2
	v_ffbh_u32_e32 v6, v4
	v_min_u32_e32 v9, 32, v6
	v_subrev_u32_e32 v6, 28, v9
	v_lshlrev_b64 v[6:7], v6, v[2:3]
	v_lshrrev_b32_e32 v8, 3, v5
	v_sub_u32_e32 v7, 29, v9
	v_and_b32_e32 v6, 7, v6
	v_cmp_gt_u32_e32 vcc, 8, v5
	v_cndmask_b32_e32 v5, v8, v7, vcc
	v_cndmask_b32_e32 v4, v4, v6, vcc
	v_lshlrev_b32_e32 v2, 24, v2
	v_lshlrev_b32_e32 v4, 20, v4
	v_and_b32_e32 v2, 0x80000000, v2
	v_lshl_add_u32 v5, v5, 23, v27
	v_or3_b32 v4, v2, v5, v4
.LBB2_2147:                             ;   in Loop: Header=BB2_1591 Depth=2
	s_or_b64 exec, exec, s[54:55]
.LBB2_2148:                             ;   in Loop: Header=BB2_1591 Depth=2
	s_or_b64 exec, exec, s[52:53]
.LBB2_2149:                             ;   in Loop: Header=BB2_1591 Depth=2
	s_or_b64 exec, exec, s[18:19]
	v_cmp_lt_u64_e32 vcc, s[42:43], v[10:11]
	s_and_saveexec_b64 s[18:19], vcc
	s_cbranch_execz .LBB2_2155
; %bb.2150:                             ;   in Loop: Header=BB2_1591 Depth=2
	v_lshrrev_b32_e32 v2, 24, v11
	v_cmp_ne_u32_e32 vcc, s68, v2
	v_bfrev_b32_e32 v3, 1
	s_and_saveexec_b64 s[52:53], vcc
	s_cbranch_execz .LBB2_2154
; %bb.2151:                             ;   in Loop: Header=BB2_1591 Depth=2
	v_bfe_u32 v5, v11, 24, 7
	v_cmp_ne_u32_e32 vcc, s69, v5
	v_mov_b32_e32 v3, 0x7f800001
	s_and_saveexec_b64 s[54:55], vcc
	s_cbranch_execz .LBB2_2153
; %bb.2152:                             ;   in Loop: Header=BB2_1591 Depth=2
	v_and_b32_e32 v3, 7, v2
	v_ffbh_u32_e32 v6, v3
	v_min_u32_e32 v9, 32, v6
	v_subrev_u32_e32 v6, 28, v9
	v_lshlrev_b64 v[6:7], v6, v[2:3]
	v_lshrrev_b32_e32 v8, 3, v5
	v_sub_u32_e32 v7, 29, v9
	v_and_b32_e32 v6, 7, v6
	v_cmp_gt_u32_e32 vcc, 8, v5
	v_cndmask_b32_e32 v5, v8, v7, vcc
	v_cndmask_b32_e32 v3, v3, v6, vcc
	v_lshlrev_b32_e32 v2, 24, v2
	v_lshlrev_b32_e32 v3, 20, v3
	v_and_b32_e32 v2, 0x80000000, v2
	v_lshl_add_u32 v5, v5, 23, v27
	v_or3_b32 v3, v2, v5, v3
.LBB2_2153:                             ;   in Loop: Header=BB2_1591 Depth=2
	s_or_b64 exec, exec, s[54:55]
.LBB2_2154:                             ;   in Loop: Header=BB2_1591 Depth=2
	s_or_b64 exec, exec, s[52:53]
.LBB2_2155:                             ;   in Loop: Header=BB2_1591 Depth=2
	s_or_b64 exec, exec, s[18:19]
	v_add_f32_e32 v2, v4, v3
	v_and_b32_sdwa v4, v2, s68 dst_sel:DWORD dst_unused:UNUSED_PAD src0_sel:BYTE_3 src1_sel:DWORD
	v_and_b32_e32 v6, 0x7f800000, v2
	v_mov_b32_e32 v7, v53
	v_and_b32_e32 v52, 0x7fffff, v2
	v_or_b32_e32 v11, 0x7e, v4
	v_cmp_ne_u64_e32 vcc, s[38:39], v[6:7]
	s_and_saveexec_b64 s[18:19], vcc
	s_xor_b64 s[52:53], exec, s[18:19]
	s_cbranch_execz .LBB2_2165
; %bb.2156:                             ;   in Loop: Header=BB2_1591 Depth=2
	v_and_b32_e32 v6, 0x7fffffff, v2
	v_mov_b32_e32 v7, v53
	v_cmp_gt_u64_e32 vcc, s[40:41], v[6:7]
	s_and_saveexec_b64 s[54:55], vcc
	s_cbranch_execz .LBB2_2164
; %bb.2157:                             ;   in Loop: Header=BB2_1591 Depth=2
	v_cmp_ne_u32_e32 vcc, 0, v2
	v_mov_b32_e32 v11, 0
	s_and_saveexec_b64 s[56:57], vcc
	s_cbranch_execz .LBB2_2163
; %bb.2158:                             ;   in Loop: Header=BB2_1591 Depth=2
	v_bfe_u32 v2, v2, 23, 8
	v_sub_u32_e32 v5, 0x79, v2
	v_cmp_gt_u32_e32 vcc, s71, v2
	v_add_u32_e32 v3, 0xffffff81, v2
	v_cndmask_b32_e32 v5, 0, v5, vcc
	v_cmp_eq_u32_e32 vcc, 0, v2
	v_mov_b32_e32 v2, 0xffffff82
	v_cndmask_b32_e32 v10, v3, v2, vcc
	v_mov_b32_e32 v2, 0x78
	v_or_b32_e32 v6, 0x800000, v52
	v_cndmask_b32_e32 v5, v5, v2, vcc
	v_cndmask_b32_e32 v52, v6, v52, vcc
	v_add_u32_e32 v2, 20, v5
	v_lshlrev_b64 v[2:3], v2, -1
	v_lshrrev_b64 v[8:9], v5, v[52:53]
	v_not_b32_e32 v3, v3
	v_not_b32_e32 v2, v2
	v_add_u32_e32 v6, 19, v5
	v_lshrrev_b32_e32 v11, 23, v8
	v_and_b32_e32 v3, 0, v3
	v_and_b32_e32 v2, v52, v2
	v_lshlrev_b64 v[6:7], v6, 1
	v_add3_u32 v11, v5, v10, v11
	v_bfe_u32 v5, v8, 20, 1
	v_add_u32_e32 v5, -1, v5
	v_cmp_eq_u64_e32 vcc, v[2:3], v[6:7]
	v_cndmask_b32_e32 v2, 0, v5, vcc
	v_add_u32_e32 v2, v2, v8
	v_and_b32_e32 v2, 0xfffff, v2
	v_add_co_u32_e32 v2, vcc, v2, v8
	v_add_u32_e32 v10, 6, v11
	v_addc_co_u32_e32 v3, vcc, 0, v9, vcc
	v_cmp_ne_u32_e32 vcc, 0, v10
                                        ; implicit-def: $vgpr5
	s_and_saveexec_b64 s[18:19], vcc
	s_xor_b64 s[18:19], exec, s[18:19]
; %bb.2159:                             ;   in Loop: Header=BB2_1591 Depth=2
	v_cmp_lt_u64_e32 vcc, s[44:45], v[2:3]
	v_add_u32_e32 v5, 7, v11
	v_cndmask_b32_e64 v6, 0, 1, vcc
	v_cndmask_b32_e32 v5, v10, v5, vcc
	v_lshrrev_b64 v[2:3], v6, v[2:3]
; %bb.2160:                             ;   in Loop: Header=BB2_1591 Depth=2
	s_andn2_saveexec_b64 s[18:19], s[18:19]
; %bb.2161:                             ;   in Loop: Header=BB2_1591 Depth=2
	v_bfe_u32 v5, v2, 23, 1
; %bb.2162:                             ;   in Loop: Header=BB2_1591 Depth=2
	s_or_b64 exec, exec, s[18:19]
	v_lshrrev_b64 v[2:3], 20, v[2:3]
	v_cmp_gt_i32_e32 vcc, 16, v5
	v_cndmask_b32_e32 v3, 0, v3, vcc
	v_cndmask_b32_e32 v2, 7, v2, vcc
	v_cmp_eq_u64_e64 s[18:19], 0, v[2:3]
	v_min_i32_e32 v3, 15, v5
	v_lshlrev_b32_e32 v3, 3, v3
	v_cmp_eq_u32_e32 vcc, 0, v5
	v_and_b32_e32 v3, 0xf8, v3
	v_and_or_b32 v2, v2, 7, v3
	s_and_b64 s[18:19], vcc, s[18:19]
	v_cndmask_b32_e64 v2, v2, 0, s[18:19]
	v_or_b32_e32 v11, v2, v4
.LBB2_2163:                             ;   in Loop: Header=BB2_1591 Depth=2
	s_or_b64 exec, exec, s[56:57]
.LBB2_2164:                             ;   in Loop: Header=BB2_1591 Depth=2
	s_or_b64 exec, exec, s[54:55]
                                        ; implicit-def: $vgpr2
.LBB2_2165:                             ;   in Loop: Header=BB2_1591 Depth=2
	s_andn2_saveexec_b64 s[18:19], s[52:53]
; %bb.2166:                             ;   in Loop: Header=BB2_1591 Depth=2
	v_or_b32_sdwa v2, v2, s69 dst_sel:DWORD dst_unused:UNUSED_PAD src0_sel:BYTE_3 src1_sel:DWORD
	v_cmp_eq_u64_e32 vcc, 0, v[52:53]
	v_cndmask_b32_e32 v11, v2, v11, vcc
; %bb.2167:                             ;   in Loop: Header=BB2_1591 Depth=2
	s_or_b64 exec, exec, s[18:19]
	v_cmp_ne_u16_sdwa vcc, v16, v53 src0_sel:BYTE_0 src1_sel:DWORD
	v_mov_b32_e32 v2, 0
	v_mov_b32_e32 v3, 0
	s_and_saveexec_b64 s[18:19], vcc
	s_cbranch_execz .LBB2_2173
; %bb.2168:                             ;   in Loop: Header=BB2_1591 Depth=2
	v_cmp_ne_u16_sdwa vcc, v16, s68 src0_sel:BYTE_0 src1_sel:DWORD
	v_bfrev_b32_e32 v3, 1
	s_and_saveexec_b64 s[52:53], vcc
	s_cbranch_execz .LBB2_2172
; %bb.2169:                             ;   in Loop: Header=BB2_1591 Depth=2
	v_and_b32_e32 v4, 0x7f, v16
	v_cmp_ne_u32_e32 vcc, s69, v4
	v_mov_b32_e32 v3, 0x7f800001
	s_and_saveexec_b64 s[54:55], vcc
	s_cbranch_execz .LBB2_2171
; %bb.2170:                             ;   in Loop: Header=BB2_1591 Depth=2
	v_and_b32_e32 v3, 7, v16
	v_ffbh_u32_e32 v3, v3
	v_min_u32_e32 v3, 32, v3
	v_subrev_u32_e32 v6, 28, v3
	v_cmp_gt_u32_e32 vcc, 8, v4
	v_lshrrev_b32_e32 v5, 3, v4
	v_sub_u32_e32 v3, 29, v3
	v_cndmask_b32_e32 v4, 0, v6, vcc
	v_cndmask_b32_e32 v3, v5, v3, vcc
	v_lshlrev_b64 v[4:5], v4, v[16:17]
	v_lshlrev_b32_e32 v4, 20, v4
	v_lshlrev_b32_e32 v5, 24, v16
	v_and_b32_e32 v4, 0x700000, v4
	v_and_b32_e32 v5, 0x80000000, v5
	v_lshl_add_u32 v3, v3, 23, v27
	v_or3_b32 v3, v5, v3, v4
.LBB2_2171:                             ;   in Loop: Header=BB2_1591 Depth=2
	s_or_b64 exec, exec, s[54:55]
.LBB2_2172:                             ;   in Loop: Header=BB2_1591 Depth=2
	s_or_b64 exec, exec, s[52:53]
.LBB2_2173:                             ;   in Loop: Header=BB2_1591 Depth=2
	s_or_b64 exec, exec, s[18:19]
	v_cmp_ne_u16_sdwa vcc, v12, v53 src0_sel:BYTE_0 src1_sel:DWORD
	s_and_saveexec_b64 s[18:19], vcc
	s_cbranch_execz .LBB2_2179
; %bb.2174:                             ;   in Loop: Header=BB2_1591 Depth=2
	v_cmp_ne_u16_sdwa vcc, v12, s68 src0_sel:BYTE_0 src1_sel:DWORD
	v_bfrev_b32_e32 v2, 1
	s_and_saveexec_b64 s[52:53], vcc
	s_cbranch_execz .LBB2_2178
; %bb.2175:                             ;   in Loop: Header=BB2_1591 Depth=2
	v_and_b32_e32 v4, 0x7f, v12
	v_cmp_ne_u32_e32 vcc, s69, v4
	v_mov_b32_e32 v2, 0x7f800001
	s_and_saveexec_b64 s[54:55], vcc
	s_cbranch_execz .LBB2_2177
; %bb.2176:                             ;   in Loop: Header=BB2_1591 Depth=2
	v_and_b32_e32 v2, 7, v12
	v_ffbh_u32_e32 v2, v2
	v_min_u32_e32 v2, 32, v2
	v_subrev_u32_e32 v6, 28, v2
	v_cmp_gt_u32_e32 vcc, 8, v4
	v_lshrrev_b32_e32 v5, 3, v4
	v_sub_u32_e32 v2, 29, v2
	v_cndmask_b32_e32 v4, 0, v6, vcc
	v_cndmask_b32_e32 v2, v5, v2, vcc
	v_lshlrev_b64 v[4:5], v4, v[12:13]
	v_lshlrev_b32_e32 v4, 20, v4
	v_lshlrev_b32_e32 v5, 24, v12
	v_and_b32_e32 v4, 0x700000, v4
	v_and_b32_e32 v5, 0x80000000, v5
	v_lshl_add_u32 v2, v2, 23, v27
	v_or3_b32 v2, v5, v2, v4
.LBB2_2177:                             ;   in Loop: Header=BB2_1591 Depth=2
	s_or_b64 exec, exec, s[54:55]
.LBB2_2178:                             ;   in Loop: Header=BB2_1591 Depth=2
	s_or_b64 exec, exec, s[52:53]
.LBB2_2179:                             ;   in Loop: Header=BB2_1591 Depth=2
	s_or_b64 exec, exec, s[18:19]
	v_add_f32_e32 v2, v3, v2
	v_and_b32_sdwa v4, v2, s68 dst_sel:DWORD dst_unused:UNUSED_PAD src0_sel:BYTE_3 src1_sel:DWORD
	v_and_b32_e32 v6, 0x7f800000, v2
	v_mov_b32_e32 v7, v53
	v_and_b32_e32 v52, 0x7fffff, v2
	v_or_b32_e32 v14, 0x7e, v4
	v_cmp_ne_u64_e32 vcc, s[38:39], v[6:7]
	s_and_saveexec_b64 s[18:19], vcc
	s_xor_b64 s[52:53], exec, s[18:19]
	s_cbranch_execz .LBB2_2189
; %bb.2180:                             ;   in Loop: Header=BB2_1591 Depth=2
	v_and_b32_e32 v6, 0x7fffffff, v2
	v_mov_b32_e32 v7, v53
	v_cmp_gt_u64_e32 vcc, s[40:41], v[6:7]
	s_and_saveexec_b64 s[54:55], vcc
	s_cbranch_execz .LBB2_2188
; %bb.2181:                             ;   in Loop: Header=BB2_1591 Depth=2
	v_cmp_ne_u32_e32 vcc, 0, v2
	v_mov_b32_e32 v14, 0
	s_and_saveexec_b64 s[56:57], vcc
	s_cbranch_execz .LBB2_2187
; %bb.2182:                             ;   in Loop: Header=BB2_1591 Depth=2
	v_bfe_u32 v2, v2, 23, 8
	v_sub_u32_e32 v5, 0x79, v2
	v_cmp_gt_u32_e32 vcc, s71, v2
	v_add_u32_e32 v3, 0xffffff81, v2
	v_cndmask_b32_e32 v5, 0, v5, vcc
	v_cmp_eq_u32_e32 vcc, 0, v2
	v_mov_b32_e32 v2, 0xffffff82
	v_cndmask_b32_e32 v10, v3, v2, vcc
	v_mov_b32_e32 v2, 0x78
	v_or_b32_e32 v6, 0x800000, v52
	v_cndmask_b32_e32 v5, v5, v2, vcc
	v_cndmask_b32_e32 v52, v6, v52, vcc
	v_add_u32_e32 v2, 20, v5
	v_lshlrev_b64 v[2:3], v2, -1
	v_lshrrev_b64 v[8:9], v5, v[52:53]
	v_not_b32_e32 v3, v3
	v_not_b32_e32 v2, v2
	v_add_u32_e32 v6, 19, v5
	v_lshrrev_b32_e32 v14, 23, v8
	v_and_b32_e32 v3, 0, v3
	v_and_b32_e32 v2, v52, v2
	v_lshlrev_b64 v[6:7], v6, 1
	v_add3_u32 v14, v5, v10, v14
	v_bfe_u32 v5, v8, 20, 1
	v_add_u32_e32 v5, -1, v5
	v_cmp_eq_u64_e32 vcc, v[2:3], v[6:7]
	v_cndmask_b32_e32 v2, 0, v5, vcc
	v_add_u32_e32 v2, v2, v8
	v_and_b32_e32 v2, 0xfffff, v2
	v_add_co_u32_e32 v2, vcc, v2, v8
	v_add_u32_e32 v10, 6, v14
	v_addc_co_u32_e32 v3, vcc, 0, v9, vcc
	v_cmp_ne_u32_e32 vcc, 0, v10
                                        ; implicit-def: $vgpr5
	s_and_saveexec_b64 s[18:19], vcc
	s_xor_b64 s[18:19], exec, s[18:19]
; %bb.2183:                             ;   in Loop: Header=BB2_1591 Depth=2
	v_cmp_lt_u64_e32 vcc, s[44:45], v[2:3]
	v_add_u32_e32 v5, 7, v14
	v_cndmask_b32_e64 v6, 0, 1, vcc
	v_cndmask_b32_e32 v5, v10, v5, vcc
	v_lshrrev_b64 v[2:3], v6, v[2:3]
; %bb.2184:                             ;   in Loop: Header=BB2_1591 Depth=2
	s_andn2_saveexec_b64 s[18:19], s[18:19]
; %bb.2185:                             ;   in Loop: Header=BB2_1591 Depth=2
	v_bfe_u32 v5, v2, 23, 1
; %bb.2186:                             ;   in Loop: Header=BB2_1591 Depth=2
	s_or_b64 exec, exec, s[18:19]
	v_lshrrev_b64 v[2:3], 20, v[2:3]
	v_cmp_gt_i32_e32 vcc, 16, v5
	v_cndmask_b32_e32 v3, 0, v3, vcc
	v_cndmask_b32_e32 v2, 7, v2, vcc
	v_cmp_eq_u64_e64 s[18:19], 0, v[2:3]
	v_min_i32_e32 v3, 15, v5
	v_cmp_eq_u32_e32 vcc, 0, v5
	v_lshlrev_b32_e32 v3, 3, v3
	v_and_or_b32 v2, v2, 7, v3
	s_and_b64 s[18:19], vcc, s[18:19]
	v_cndmask_b32_e64 v2, v2, 0, s[18:19]
	v_or_b32_e32 v14, v2, v4
.LBB2_2187:                             ;   in Loop: Header=BB2_1591 Depth=2
	s_or_b64 exec, exec, s[56:57]
.LBB2_2188:                             ;   in Loop: Header=BB2_1591 Depth=2
	s_or_b64 exec, exec, s[54:55]
                                        ; implicit-def: $vgpr2
.LBB2_2189:                             ;   in Loop: Header=BB2_1591 Depth=2
	s_andn2_saveexec_b64 s[18:19], s[52:53]
; %bb.2190:                             ;   in Loop: Header=BB2_1591 Depth=2
	v_or_b32_sdwa v2, v2, s69 dst_sel:DWORD dst_unused:UNUSED_PAD src0_sel:BYTE_3 src1_sel:DWORD
	v_cmp_eq_u64_e32 vcc, 0, v[52:53]
	v_cndmask_b32_e32 v14, v2, v14, vcc
; %bb.2191:                             ;   in Loop: Header=BB2_1591 Depth=2
	s_or_b64 exec, exec, s[18:19]
	v_lshrrev_b16_e32 v2, 8, v16
	v_cmp_ne_u16_e32 vcc, 0, v2
	v_mov_b32_e32 v3, 0
	v_mov_b32_e32 v4, 0
	s_and_saveexec_b64 s[18:19], vcc
	s_cbranch_execz .LBB2_2197
; %bb.2192:                             ;   in Loop: Header=BB2_1591 Depth=2
	v_cmp_ne_u16_e32 vcc, s68, v2
	v_bfrev_b32_e32 v4, 1
	s_and_saveexec_b64 s[52:53], vcc
	s_cbranch_execz .LBB2_2196
; %bb.2193:                             ;   in Loop: Header=BB2_1591 Depth=2
	v_and_b32_e32 v5, 0x7f, v2
	v_cmp_ne_u32_e32 vcc, s69, v5
	v_mov_b32_e32 v4, 0x7f800001
	s_and_saveexec_b64 s[54:55], vcc
	s_cbranch_execz .LBB2_2195
; %bb.2194:                             ;   in Loop: Header=BB2_1591 Depth=2
	v_and_b32_e32 v4, 7, v2
	v_ffbh_u32_e32 v6, v4
	v_min_u32_e32 v9, 32, v6
	v_subrev_u32_e32 v6, 28, v9
	v_lshlrev_b64 v[6:7], v6, v[2:3]
	v_lshrrev_b32_e32 v8, 3, v5
	v_sub_u32_e32 v2, 29, v9
	v_and_b32_e32 v6, 7, v6
	v_cmp_gt_u32_e32 vcc, 8, v5
	v_cndmask_b32_e32 v2, v8, v2, vcc
	v_cndmask_b32_e32 v4, v4, v6, vcc
	v_lshlrev_b32_e32 v5, 16, v16
	v_lshlrev_b32_e32 v4, 20, v4
	v_and_b32_e32 v5, 0x80000000, v5
	v_lshl_add_u32 v2, v2, 23, v27
	v_or3_b32 v4, v5, v2, v4
.LBB2_2195:                             ;   in Loop: Header=BB2_1591 Depth=2
	s_or_b64 exec, exec, s[54:55]
.LBB2_2196:                             ;   in Loop: Header=BB2_1591 Depth=2
	s_or_b64 exec, exec, s[52:53]
.LBB2_2197:                             ;   in Loop: Header=BB2_1591 Depth=2
	s_or_b64 exec, exec, s[18:19]
	v_lshrrev_b16_e32 v2, 8, v12
	v_cmp_ne_u16_e32 vcc, 0, v2
	s_and_saveexec_b64 s[18:19], vcc
	s_cbranch_execz .LBB2_2203
; %bb.2198:                             ;   in Loop: Header=BB2_1591 Depth=2
	v_cmp_ne_u16_e32 vcc, s68, v2
	v_bfrev_b32_e32 v3, 1
	s_and_saveexec_b64 s[52:53], vcc
	s_cbranch_execz .LBB2_2202
; %bb.2199:                             ;   in Loop: Header=BB2_1591 Depth=2
	v_and_b32_e32 v5, 0x7f, v2
	v_cmp_ne_u32_e32 vcc, s69, v5
	v_mov_b32_e32 v3, 0x7f800001
	s_and_saveexec_b64 s[54:55], vcc
	s_cbranch_execz .LBB2_2201
; %bb.2200:                             ;   in Loop: Header=BB2_1591 Depth=2
	v_and_b32_e32 v6, 7, v2
	v_ffbh_u32_e32 v3, v6
	v_min_u32_e32 v8, 32, v3
	v_subrev_u32_e32 v3, 28, v8
	v_lshlrev_b64 v[2:3], v3, v[2:3]
	v_lshrrev_b32_e32 v7, 3, v5
	v_sub_u32_e32 v3, 29, v8
	v_and_b32_e32 v2, 7, v2
	v_cmp_gt_u32_e32 vcc, 8, v5
	v_cndmask_b32_e32 v3, v7, v3, vcc
	v_cndmask_b32_e32 v2, v6, v2, vcc
	v_lshlrev_b32_e32 v5, 16, v12
	v_lshlrev_b32_e32 v2, 20, v2
	v_and_b32_e32 v5, 0x80000000, v5
	v_lshl_add_u32 v3, v3, 23, v27
	v_or3_b32 v3, v5, v3, v2
.LBB2_2201:                             ;   in Loop: Header=BB2_1591 Depth=2
	s_or_b64 exec, exec, s[54:55]
.LBB2_2202:                             ;   in Loop: Header=BB2_1591 Depth=2
	s_or_b64 exec, exec, s[52:53]
.LBB2_2203:                             ;   in Loop: Header=BB2_1591 Depth=2
	s_or_b64 exec, exec, s[18:19]
	v_add_f32_e32 v2, v4, v3
	v_and_b32_sdwa v4, v2, s68 dst_sel:DWORD dst_unused:UNUSED_PAD src0_sel:BYTE_3 src1_sel:DWORD
	v_and_b32_e32 v6, 0x7f800000, v2
	v_mov_b32_e32 v7, v53
	v_and_b32_e32 v52, 0x7fffff, v2
	v_or_b32_e32 v15, 0x7e, v4
	v_cmp_ne_u64_e32 vcc, s[38:39], v[6:7]
	s_and_saveexec_b64 s[18:19], vcc
	s_xor_b64 s[52:53], exec, s[18:19]
	s_cbranch_execz .LBB2_2213
; %bb.2204:                             ;   in Loop: Header=BB2_1591 Depth=2
	v_and_b32_e32 v6, 0x7fffffff, v2
	v_mov_b32_e32 v7, v53
	v_cmp_gt_u64_e32 vcc, s[40:41], v[6:7]
	s_and_saveexec_b64 s[54:55], vcc
	s_cbranch_execz .LBB2_2212
; %bb.2205:                             ;   in Loop: Header=BB2_1591 Depth=2
	v_cmp_ne_u32_e32 vcc, 0, v2
	v_mov_b32_e32 v15, 0
	s_and_saveexec_b64 s[56:57], vcc
	s_cbranch_execz .LBB2_2211
; %bb.2206:                             ;   in Loop: Header=BB2_1591 Depth=2
	v_bfe_u32 v2, v2, 23, 8
	v_sub_u32_e32 v5, 0x79, v2
	v_cmp_gt_u32_e32 vcc, s71, v2
	v_add_u32_e32 v3, 0xffffff81, v2
	v_cndmask_b32_e32 v5, 0, v5, vcc
	v_cmp_eq_u32_e32 vcc, 0, v2
	v_mov_b32_e32 v2, 0xffffff82
	v_cndmask_b32_e32 v10, v3, v2, vcc
	v_mov_b32_e32 v2, 0x78
	v_or_b32_e32 v6, 0x800000, v52
	v_cndmask_b32_e32 v5, v5, v2, vcc
	v_cndmask_b32_e32 v52, v6, v52, vcc
	v_add_u32_e32 v2, 20, v5
	v_lshlrev_b64 v[2:3], v2, -1
	v_lshrrev_b64 v[8:9], v5, v[52:53]
	v_not_b32_e32 v3, v3
	v_not_b32_e32 v2, v2
	v_add_u32_e32 v6, 19, v5
	v_lshrrev_b32_e32 v15, 23, v8
	v_and_b32_e32 v3, 0, v3
	v_and_b32_e32 v2, v52, v2
	v_lshlrev_b64 v[6:7], v6, 1
	v_add3_u32 v15, v5, v10, v15
	v_bfe_u32 v5, v8, 20, 1
	v_add_u32_e32 v5, -1, v5
	v_cmp_eq_u64_e32 vcc, v[2:3], v[6:7]
	v_cndmask_b32_e32 v2, 0, v5, vcc
	v_add_u32_e32 v2, v2, v8
	v_and_b32_e32 v2, 0xfffff, v2
	v_add_co_u32_e32 v2, vcc, v2, v8
	v_add_u32_e32 v10, 6, v15
	v_addc_co_u32_e32 v3, vcc, 0, v9, vcc
	v_cmp_ne_u32_e32 vcc, 0, v10
                                        ; implicit-def: $vgpr5
	s_and_saveexec_b64 s[18:19], vcc
	s_xor_b64 s[18:19], exec, s[18:19]
; %bb.2207:                             ;   in Loop: Header=BB2_1591 Depth=2
	v_cmp_lt_u64_e32 vcc, s[44:45], v[2:3]
	v_add_u32_e32 v5, 7, v15
	v_cndmask_b32_e64 v6, 0, 1, vcc
	v_cndmask_b32_e32 v5, v10, v5, vcc
	v_lshrrev_b64 v[2:3], v6, v[2:3]
; %bb.2208:                             ;   in Loop: Header=BB2_1591 Depth=2
	s_andn2_saveexec_b64 s[18:19], s[18:19]
; %bb.2209:                             ;   in Loop: Header=BB2_1591 Depth=2
	v_bfe_u32 v5, v2, 23, 1
; %bb.2210:                             ;   in Loop: Header=BB2_1591 Depth=2
	s_or_b64 exec, exec, s[18:19]
	v_lshrrev_b64 v[2:3], 20, v[2:3]
	v_cmp_gt_i32_e32 vcc, 16, v5
	v_cndmask_b32_e32 v3, 0, v3, vcc
	v_cndmask_b32_e32 v2, 7, v2, vcc
	v_cmp_eq_u64_e64 s[18:19], 0, v[2:3]
	v_min_i32_e32 v3, 15, v5
	v_cmp_eq_u32_e32 vcc, 0, v5
	v_lshlrev_b32_e32 v3, 3, v3
	v_and_or_b32 v2, v2, 7, v3
	s_and_b64 s[18:19], vcc, s[18:19]
	v_cndmask_b32_e64 v2, v2, 0, s[18:19]
	v_or_b32_e32 v15, v2, v4
.LBB2_2211:                             ;   in Loop: Header=BB2_1591 Depth=2
	s_or_b64 exec, exec, s[56:57]
.LBB2_2212:                             ;   in Loop: Header=BB2_1591 Depth=2
	s_or_b64 exec, exec, s[54:55]
                                        ; implicit-def: $vgpr2
.LBB2_2213:                             ;   in Loop: Header=BB2_1591 Depth=2
	s_andn2_saveexec_b64 s[18:19], s[52:53]
; %bb.2214:                             ;   in Loop: Header=BB2_1591 Depth=2
	v_or_b32_sdwa v2, v2, s69 dst_sel:DWORD dst_unused:UNUSED_PAD src0_sel:BYTE_3 src1_sel:DWORD
	v_cmp_eq_u64_e32 vcc, 0, v[52:53]
	v_cndmask_b32_e32 v15, v2, v15, vcc
; %bb.2215:                             ;   in Loop: Header=BB2_1591 Depth=2
	s_or_b64 exec, exec, s[18:19]
	v_lshrrev_b32_e32 v2, 16, v16
	v_cmp_ne_u16_sdwa vcc, v2, v53 src0_sel:BYTE_0 src1_sel:DWORD
	v_mov_b32_e32 v3, 0
	v_mov_b32_e32 v4, 0
	s_and_saveexec_b64 s[18:19], vcc
	s_cbranch_execz .LBB2_2221
; %bb.2216:                             ;   in Loop: Header=BB2_1591 Depth=2
	v_cmp_ne_u16_sdwa vcc, v2, s68 src0_sel:BYTE_0 src1_sel:DWORD
	v_bfrev_b32_e32 v4, 1
	s_and_saveexec_b64 s[52:53], vcc
	s_cbranch_execz .LBB2_2220
; %bb.2217:                             ;   in Loop: Header=BB2_1591 Depth=2
	v_bfe_u32 v5, v16, 16, 7
	v_cmp_ne_u32_e32 vcc, s69, v5
	v_mov_b32_e32 v4, 0x7f800001
	s_and_saveexec_b64 s[54:55], vcc
	s_cbranch_execz .LBB2_2219
; %bb.2218:                             ;   in Loop: Header=BB2_1591 Depth=2
	v_and_b32_e32 v4, 7, v2
	v_ffbh_u32_e32 v6, v4
	v_min_u32_e32 v9, 32, v6
	v_subrev_u32_e32 v6, 28, v9
	v_lshlrev_b64 v[6:7], v6, v[2:3]
	v_lshrrev_b32_e32 v8, 3, v5
	v_sub_u32_e32 v7, 29, v9
	v_and_b32_e32 v6, 7, v6
	v_cmp_gt_u32_e32 vcc, 8, v5
	v_cndmask_b32_e32 v5, v8, v7, vcc
	v_cndmask_b32_e32 v4, v4, v6, vcc
	v_lshlrev_b32_e32 v2, 24, v2
	v_lshlrev_b32_e32 v4, 20, v4
	v_and_b32_e32 v2, 0x80000000, v2
	v_lshl_add_u32 v5, v5, 23, v27
	v_or3_b32 v4, v2, v5, v4
.LBB2_2219:                             ;   in Loop: Header=BB2_1591 Depth=2
	s_or_b64 exec, exec, s[54:55]
.LBB2_2220:                             ;   in Loop: Header=BB2_1591 Depth=2
	s_or_b64 exec, exec, s[52:53]
.LBB2_2221:                             ;   in Loop: Header=BB2_1591 Depth=2
	s_or_b64 exec, exec, s[18:19]
	v_lshrrev_b32_e32 v2, 16, v12
	v_cmp_ne_u16_sdwa vcc, v2, v53 src0_sel:BYTE_0 src1_sel:DWORD
	s_and_saveexec_b64 s[18:19], vcc
	s_cbranch_execz .LBB2_2227
; %bb.2222:                             ;   in Loop: Header=BB2_1591 Depth=2
	v_cmp_ne_u16_sdwa vcc, v2, s68 src0_sel:BYTE_0 src1_sel:DWORD
	v_bfrev_b32_e32 v3, 1
	s_and_saveexec_b64 s[52:53], vcc
	s_cbranch_execz .LBB2_2226
; %bb.2223:                             ;   in Loop: Header=BB2_1591 Depth=2
	v_bfe_u32 v5, v12, 16, 7
	v_cmp_ne_u32_e32 vcc, s69, v5
	v_mov_b32_e32 v3, 0x7f800001
	s_and_saveexec_b64 s[54:55], vcc
	s_cbranch_execz .LBB2_2225
; %bb.2224:                             ;   in Loop: Header=BB2_1591 Depth=2
	v_and_b32_e32 v6, 7, v2
	v_ffbh_u32_e32 v3, v6
	v_min_u32_e32 v8, 32, v3
	v_subrev_u32_e32 v3, 28, v8
	v_lshlrev_b64 v[2:3], v3, v[2:3]
	v_lshrrev_b32_e32 v7, 3, v5
	v_sub_u32_e32 v3, 29, v8
	v_and_b32_e32 v2, 7, v2
	v_cmp_gt_u32_e32 vcc, 8, v5
	v_cndmask_b32_e32 v3, v7, v3, vcc
	v_cndmask_b32_e32 v2, v6, v2, vcc
	v_lshlrev_b32_e32 v5, 8, v12
	v_lshlrev_b32_e32 v2, 20, v2
	v_and_b32_e32 v5, 0x80000000, v5
	v_lshl_add_u32 v3, v3, 23, v27
	v_or3_b32 v3, v5, v3, v2
.LBB2_2225:                             ;   in Loop: Header=BB2_1591 Depth=2
	s_or_b64 exec, exec, s[54:55]
.LBB2_2226:                             ;   in Loop: Header=BB2_1591 Depth=2
	s_or_b64 exec, exec, s[52:53]
.LBB2_2227:                             ;   in Loop: Header=BB2_1591 Depth=2
	s_or_b64 exec, exec, s[18:19]
	v_add_f32_e32 v2, v4, v3
	v_and_b32_sdwa v4, v2, s68 dst_sel:DWORD dst_unused:UNUSED_PAD src0_sel:BYTE_3 src1_sel:DWORD
	v_and_b32_e32 v6, 0x7f800000, v2
	v_mov_b32_e32 v7, v53
	v_and_b32_e32 v52, 0x7fffff, v2
	v_or_b32_e32 v29, 0x7e, v4
	v_cmp_ne_u64_e32 vcc, s[38:39], v[6:7]
	s_and_saveexec_b64 s[18:19], vcc
	s_xor_b64 s[52:53], exec, s[18:19]
	s_cbranch_execz .LBB2_2237
; %bb.2228:                             ;   in Loop: Header=BB2_1591 Depth=2
	v_and_b32_e32 v6, 0x7fffffff, v2
	v_mov_b32_e32 v7, v53
	v_cmp_gt_u64_e32 vcc, s[40:41], v[6:7]
	s_and_saveexec_b64 s[54:55], vcc
	s_cbranch_execz .LBB2_2236
; %bb.2229:                             ;   in Loop: Header=BB2_1591 Depth=2
	v_cmp_ne_u32_e32 vcc, 0, v2
	v_mov_b32_e32 v29, 0
	s_and_saveexec_b64 s[56:57], vcc
	s_cbranch_execz .LBB2_2235
; %bb.2230:                             ;   in Loop: Header=BB2_1591 Depth=2
	v_bfe_u32 v2, v2, 23, 8
	v_sub_u32_e32 v5, 0x79, v2
	v_cmp_gt_u32_e32 vcc, s71, v2
	v_add_u32_e32 v3, 0xffffff81, v2
	v_cndmask_b32_e32 v5, 0, v5, vcc
	v_cmp_eq_u32_e32 vcc, 0, v2
	v_mov_b32_e32 v2, 0xffffff82
	v_cndmask_b32_e32 v10, v3, v2, vcc
	v_mov_b32_e32 v2, 0x78
	v_or_b32_e32 v6, 0x800000, v52
	v_cndmask_b32_e32 v5, v5, v2, vcc
	v_cndmask_b32_e32 v52, v6, v52, vcc
	v_add_u32_e32 v2, 20, v5
	v_lshlrev_b64 v[2:3], v2, -1
	v_lshrrev_b64 v[8:9], v5, v[52:53]
	v_not_b32_e32 v3, v3
	v_not_b32_e32 v2, v2
	v_add_u32_e32 v6, 19, v5
	v_lshrrev_b32_e32 v29, 23, v8
	v_and_b32_e32 v3, 0, v3
	v_and_b32_e32 v2, v52, v2
	v_lshlrev_b64 v[6:7], v6, 1
	v_add3_u32 v29, v5, v10, v29
	v_bfe_u32 v5, v8, 20, 1
	v_add_u32_e32 v5, -1, v5
	v_cmp_eq_u64_e32 vcc, v[2:3], v[6:7]
	v_cndmask_b32_e32 v2, 0, v5, vcc
	v_add_u32_e32 v2, v2, v8
	v_and_b32_e32 v2, 0xfffff, v2
	v_add_co_u32_e32 v2, vcc, v2, v8
	v_add_u32_e32 v10, 6, v29
	v_addc_co_u32_e32 v3, vcc, 0, v9, vcc
	v_cmp_ne_u32_e32 vcc, 0, v10
                                        ; implicit-def: $vgpr5
	s_and_saveexec_b64 s[18:19], vcc
	s_xor_b64 s[18:19], exec, s[18:19]
; %bb.2231:                             ;   in Loop: Header=BB2_1591 Depth=2
	v_cmp_lt_u64_e32 vcc, s[44:45], v[2:3]
	v_add_u32_e32 v5, 7, v29
	v_cndmask_b32_e64 v6, 0, 1, vcc
	v_cndmask_b32_e32 v5, v10, v5, vcc
	v_lshrrev_b64 v[2:3], v6, v[2:3]
; %bb.2232:                             ;   in Loop: Header=BB2_1591 Depth=2
	s_andn2_saveexec_b64 s[18:19], s[18:19]
; %bb.2233:                             ;   in Loop: Header=BB2_1591 Depth=2
	v_bfe_u32 v5, v2, 23, 1
; %bb.2234:                             ;   in Loop: Header=BB2_1591 Depth=2
	s_or_b64 exec, exec, s[18:19]
	v_lshrrev_b64 v[2:3], 20, v[2:3]
	v_cmp_gt_i32_e32 vcc, 16, v5
	v_cndmask_b32_e32 v3, 0, v3, vcc
	v_cndmask_b32_e32 v2, 7, v2, vcc
	v_cmp_eq_u64_e64 s[18:19], 0, v[2:3]
	v_min_i32_e32 v3, 15, v5
	v_cmp_eq_u32_e32 vcc, 0, v5
	v_lshlrev_b32_e32 v3, 3, v3
	v_and_or_b32 v2, v2, 7, v3
	s_and_b64 s[18:19], vcc, s[18:19]
	v_cndmask_b32_e64 v2, v2, 0, s[18:19]
	v_or_b32_e32 v29, v2, v4
.LBB2_2235:                             ;   in Loop: Header=BB2_1591 Depth=2
	s_or_b64 exec, exec, s[56:57]
.LBB2_2236:                             ;   in Loop: Header=BB2_1591 Depth=2
	s_or_b64 exec, exec, s[54:55]
                                        ; implicit-def: $vgpr2
.LBB2_2237:                             ;   in Loop: Header=BB2_1591 Depth=2
	s_andn2_saveexec_b64 s[18:19], s[52:53]
; %bb.2238:                             ;   in Loop: Header=BB2_1591 Depth=2
	v_or_b32_sdwa v2, v2, s69 dst_sel:DWORD dst_unused:UNUSED_PAD src0_sel:BYTE_3 src1_sel:DWORD
	v_cmp_eq_u64_e32 vcc, 0, v[52:53]
	v_cndmask_b32_e32 v29, v2, v29, vcc
; %bb.2239:                             ;   in Loop: Header=BB2_1591 Depth=2
	s_or_b64 exec, exec, s[18:19]
	v_cmp_lt_u32_e32 vcc, s43, v16
	v_mov_b32_e32 v3, 0
	v_mov_b32_e32 v4, 0
	s_and_saveexec_b64 s[18:19], vcc
	s_cbranch_execz .LBB2_2245
; %bb.2240:                             ;   in Loop: Header=BB2_1591 Depth=2
	v_lshrrev_b32_e32 v2, 24, v16
	v_cmp_ne_u32_e32 vcc, s68, v2
	v_bfrev_b32_e32 v4, 1
	s_and_saveexec_b64 s[52:53], vcc
	s_cbranch_execz .LBB2_2244
; %bb.2241:                             ;   in Loop: Header=BB2_1591 Depth=2
	v_bfe_u32 v5, v16, 24, 7
	v_cmp_ne_u32_e32 vcc, s69, v5
	v_mov_b32_e32 v4, 0x7f800001
	s_and_saveexec_b64 s[54:55], vcc
	s_cbranch_execz .LBB2_2243
; %bb.2242:                             ;   in Loop: Header=BB2_1591 Depth=2
	v_and_b32_e32 v4, 7, v2
	v_ffbh_u32_e32 v6, v4
	v_min_u32_e32 v9, 32, v6
	v_subrev_u32_e32 v6, 28, v9
	v_lshlrev_b64 v[6:7], v6, v[2:3]
	v_lshrrev_b32_e32 v8, 3, v5
	v_sub_u32_e32 v7, 29, v9
	v_and_b32_e32 v6, 7, v6
	v_cmp_gt_u32_e32 vcc, 8, v5
	v_cndmask_b32_e32 v5, v8, v7, vcc
	v_cndmask_b32_e32 v4, v4, v6, vcc
	v_lshlrev_b32_e32 v2, 24, v2
	v_lshlrev_b32_e32 v4, 20, v4
	v_and_b32_e32 v2, 0x80000000, v2
	v_lshl_add_u32 v5, v5, 23, v27
	v_or3_b32 v4, v2, v5, v4
.LBB2_2243:                             ;   in Loop: Header=BB2_1591 Depth=2
	s_or_b64 exec, exec, s[54:55]
.LBB2_2244:                             ;   in Loop: Header=BB2_1591 Depth=2
	s_or_b64 exec, exec, s[52:53]
.LBB2_2245:                             ;   in Loop: Header=BB2_1591 Depth=2
	s_or_b64 exec, exec, s[18:19]
	v_cmp_lt_u32_e32 vcc, s43, v12
	s_and_saveexec_b64 s[18:19], vcc
	s_cbranch_execz .LBB2_2251
; %bb.2246:                             ;   in Loop: Header=BB2_1591 Depth=2
	v_lshrrev_b32_e32 v2, 24, v12
	v_cmp_ne_u32_e32 vcc, s68, v2
	v_bfrev_b32_e32 v3, 1
	s_and_saveexec_b64 s[52:53], vcc
	s_cbranch_execz .LBB2_2250
; %bb.2247:                             ;   in Loop: Header=BB2_1591 Depth=2
	v_bfe_u32 v5, v12, 24, 7
	v_cmp_ne_u32_e32 vcc, s69, v5
	v_mov_b32_e32 v3, 0x7f800001
	s_and_saveexec_b64 s[54:55], vcc
	s_cbranch_execz .LBB2_2249
; %bb.2248:                             ;   in Loop: Header=BB2_1591 Depth=2
	v_and_b32_e32 v3, 7, v2
	v_ffbh_u32_e32 v6, v3
	v_min_u32_e32 v9, 32, v6
	v_subrev_u32_e32 v6, 28, v9
	v_lshlrev_b64 v[6:7], v6, v[2:3]
	v_lshrrev_b32_e32 v8, 3, v5
	v_sub_u32_e32 v7, 29, v9
	v_and_b32_e32 v6, 7, v6
	v_cmp_gt_u32_e32 vcc, 8, v5
	v_cndmask_b32_e32 v5, v8, v7, vcc
	v_cndmask_b32_e32 v3, v3, v6, vcc
	v_lshlrev_b32_e32 v2, 24, v2
	v_lshlrev_b32_e32 v3, 20, v3
	v_and_b32_e32 v2, 0x80000000, v2
	v_lshl_add_u32 v5, v5, 23, v27
	v_or3_b32 v3, v2, v5, v3
.LBB2_2249:                             ;   in Loop: Header=BB2_1591 Depth=2
	s_or_b64 exec, exec, s[54:55]
.LBB2_2250:                             ;   in Loop: Header=BB2_1591 Depth=2
	s_or_b64 exec, exec, s[52:53]
.LBB2_2251:                             ;   in Loop: Header=BB2_1591 Depth=2
	s_or_b64 exec, exec, s[18:19]
	v_add_f32_e32 v2, v4, v3
	v_and_b32_sdwa v5, v2, s68 dst_sel:DWORD dst_unused:UNUSED_PAD src0_sel:BYTE_3 src1_sel:DWORD
	v_and_b32_e32 v6, 0x7f800000, v2
	v_mov_b32_e32 v7, v53
	v_and_b32_e32 v52, 0x7fffff, v2
	v_or_b32_e32 v4, 0x7e, v5
	v_cmp_ne_u64_e32 vcc, s[38:39], v[6:7]
	s_and_saveexec_b64 s[18:19], vcc
	s_xor_b64 s[52:53], exec, s[18:19]
	s_cbranch_execz .LBB2_2261
; %bb.2252:                             ;   in Loop: Header=BB2_1591 Depth=2
	v_and_b32_e32 v6, 0x7fffffff, v2
	v_mov_b32_e32 v7, v53
	v_cmp_gt_u64_e32 vcc, s[40:41], v[6:7]
	s_and_saveexec_b64 s[54:55], vcc
	s_cbranch_execz .LBB2_2260
; %bb.2253:                             ;   in Loop: Header=BB2_1591 Depth=2
	v_cmp_ne_u32_e32 vcc, 0, v2
	v_mov_b32_e32 v4, 0
	s_and_saveexec_b64 s[56:57], vcc
	s_cbranch_execz .LBB2_2259
; %bb.2254:                             ;   in Loop: Header=BB2_1591 Depth=2
	v_bfe_u32 v2, v2, 23, 8
	v_sub_u32_e32 v4, 0x79, v2
	v_cmp_gt_u32_e32 vcc, s71, v2
	v_add_u32_e32 v3, 0xffffff81, v2
	v_cndmask_b32_e32 v4, 0, v4, vcc
	v_cmp_eq_u32_e32 vcc, 0, v2
	v_mov_b32_e32 v2, 0xffffff82
	v_cndmask_b32_e32 v10, v3, v2, vcc
	v_mov_b32_e32 v2, 0x78
	v_or_b32_e32 v6, 0x800000, v52
	v_cndmask_b32_e32 v4, v4, v2, vcc
	v_cndmask_b32_e32 v52, v6, v52, vcc
	v_add_u32_e32 v2, 20, v4
	v_lshlrev_b64 v[2:3], v2, -1
	v_lshrrev_b64 v[8:9], v4, v[52:53]
	v_not_b32_e32 v3, v3
	v_not_b32_e32 v2, v2
	v_add_u32_e32 v6, 19, v4
	v_lshrrev_b32_e32 v48, 23, v8
	v_and_b32_e32 v3, 0, v3
	v_and_b32_e32 v2, v52, v2
	v_lshlrev_b64 v[6:7], v6, 1
	v_add3_u32 v48, v4, v10, v48
	v_bfe_u32 v4, v8, 20, 1
	v_add_u32_e32 v4, -1, v4
	v_cmp_eq_u64_e32 vcc, v[2:3], v[6:7]
	v_cndmask_b32_e32 v2, 0, v4, vcc
	v_add_u32_e32 v2, v2, v8
	v_and_b32_e32 v2, 0xfffff, v2
	v_add_co_u32_e32 v2, vcc, v2, v8
	v_add_u32_e32 v10, 6, v48
	v_addc_co_u32_e32 v3, vcc, 0, v9, vcc
	v_cmp_ne_u32_e32 vcc, 0, v10
                                        ; implicit-def: $vgpr4
	s_and_saveexec_b64 s[18:19], vcc
	s_xor_b64 s[18:19], exec, s[18:19]
; %bb.2255:                             ;   in Loop: Header=BB2_1591 Depth=2
	v_cmp_lt_u64_e32 vcc, s[44:45], v[2:3]
	v_add_u32_e32 v4, 7, v48
	v_cndmask_b32_e64 v6, 0, 1, vcc
	v_cndmask_b32_e32 v4, v10, v4, vcc
	v_lshrrev_b64 v[2:3], v6, v[2:3]
; %bb.2256:                             ;   in Loop: Header=BB2_1591 Depth=2
	s_andn2_saveexec_b64 s[18:19], s[18:19]
; %bb.2257:                             ;   in Loop: Header=BB2_1591 Depth=2
	v_bfe_u32 v4, v2, 23, 1
; %bb.2258:                             ;   in Loop: Header=BB2_1591 Depth=2
	s_or_b64 exec, exec, s[18:19]
	v_lshrrev_b64 v[2:3], 20, v[2:3]
	v_cmp_gt_i32_e32 vcc, 16, v4
	v_cndmask_b32_e32 v3, 0, v3, vcc
	v_cndmask_b32_e32 v2, 7, v2, vcc
	v_cmp_eq_u64_e64 s[18:19], 0, v[2:3]
	v_min_i32_e32 v3, 15, v4
	v_cmp_eq_u32_e32 vcc, 0, v4
	v_lshlrev_b32_e32 v3, 3, v3
	v_and_or_b32 v2, v2, 7, v3
	s_and_b64 s[18:19], vcc, s[18:19]
	v_cndmask_b32_e64 v2, v2, 0, s[18:19]
	v_or_b32_e32 v4, v2, v5
.LBB2_2259:                             ;   in Loop: Header=BB2_1591 Depth=2
	s_or_b64 exec, exec, s[56:57]
.LBB2_2260:                             ;   in Loop: Header=BB2_1591 Depth=2
	s_or_b64 exec, exec, s[54:55]
                                        ; implicit-def: $vgpr2
.LBB2_2261:                             ;   in Loop: Header=BB2_1591 Depth=2
	s_andn2_saveexec_b64 s[18:19], s[52:53]
; %bb.2262:                             ;   in Loop: Header=BB2_1591 Depth=2
	v_or_b32_sdwa v2, v2, s69 dst_sel:DWORD dst_unused:UNUSED_PAD src0_sel:BYTE_3 src1_sel:DWORD
	v_cmp_eq_u64_e32 vcc, 0, v[52:53]
	v_cndmask_b32_e32 v4, v2, v4, vcc
; %bb.2263:                             ;   in Loop: Header=BB2_1591 Depth=2
	s_or_b64 exec, exec, s[18:19]
	v_mov_b32_e32 v52, v17
	v_cmp_ne_u16_sdwa vcc, v17, v53 src0_sel:BYTE_0 src1_sel:DWORD
	v_mov_b32_e32 v3, 0
	v_mov_b32_e32 v2, 0
	s_and_saveexec_b64 s[18:19], vcc
	s_cbranch_execz .LBB2_2269
; %bb.2264:                             ;   in Loop: Header=BB2_1591 Depth=2
	v_cmp_ne_u16_sdwa vcc, v17, s68 src0_sel:BYTE_0 src1_sel:DWORD
	v_bfrev_b32_e32 v2, 1
	s_and_saveexec_b64 s[52:53], vcc
	s_cbranch_execz .LBB2_2268
; %bb.2265:                             ;   in Loop: Header=BB2_1591 Depth=2
	v_and_b32_e32 v5, 0x7f, v17
	v_cmp_ne_u32_e32 vcc, s69, v5
	v_mov_b32_e32 v2, 0x7f800001
	s_and_saveexec_b64 s[54:55], vcc
	s_cbranch_execz .LBB2_2267
; %bb.2266:                             ;   in Loop: Header=BB2_1591 Depth=2
	v_and_b32_e32 v2, 7, v17
	v_ffbh_u32_e32 v2, v2
	v_min_u32_e32 v2, 32, v2
	v_subrev_u32_e32 v7, 28, v2
	v_cmp_gt_u32_e32 vcc, 8, v5
	v_lshrrev_b32_e32 v6, 3, v5
	v_sub_u32_e32 v2, 29, v2
	v_cndmask_b32_e32 v5, 0, v7, vcc
	v_cndmask_b32_e32 v2, v6, v2, vcc
	v_lshlrev_b64 v[6:7], v5, v[52:53]
	v_lshlrev_b32_e32 v5, 20, v6
	v_lshlrev_b32_e32 v6, 24, v52
	v_and_b32_e32 v5, 0x700000, v5
	v_and_b32_e32 v6, 0x80000000, v6
	v_lshl_add_u32 v2, v2, 23, v27
	v_or3_b32 v2, v6, v2, v5
.LBB2_2267:                             ;   in Loop: Header=BB2_1591 Depth=2
	s_or_b64 exec, exec, s[54:55]
.LBB2_2268:                             ;   in Loop: Header=BB2_1591 Depth=2
	s_or_b64 exec, exec, s[52:53]
.LBB2_2269:                             ;   in Loop: Header=BB2_1591 Depth=2
	s_or_b64 exec, exec, s[18:19]
	v_cmp_ne_u16_sdwa vcc, v13, v53 src0_sel:BYTE_0 src1_sel:DWORD
	s_and_saveexec_b64 s[18:19], vcc
	s_cbranch_execz .LBB2_2275
; %bb.2270:                             ;   in Loop: Header=BB2_1591 Depth=2
	v_cmp_ne_u16_sdwa vcc, v13, s68 src0_sel:BYTE_0 src1_sel:DWORD
	v_bfrev_b32_e32 v3, 1
	s_and_saveexec_b64 s[52:53], vcc
	s_cbranch_execz .LBB2_2274
; %bb.2271:                             ;   in Loop: Header=BB2_1591 Depth=2
	v_and_b32_e32 v5, 0x7f, v13
	v_cmp_ne_u32_e32 vcc, s69, v5
	v_mov_b32_e32 v3, 0x7f800001
	s_and_saveexec_b64 s[54:55], vcc
	s_cbranch_execz .LBB2_2273
; %bb.2272:                             ;   in Loop: Header=BB2_1591 Depth=2
	v_and_b32_e32 v3, 7, v13
	v_ffbh_u32_e32 v3, v3
	v_min_u32_e32 v3, 32, v3
	v_subrev_u32_e32 v9, 28, v3
	v_cmp_gt_u32_e32 vcc, 8, v5
	v_mov_b32_e32 v6, v13
	v_mov_b32_e32 v7, v53
	v_lshrrev_b32_e32 v8, 3, v5
	v_sub_u32_e32 v3, 29, v3
	v_cndmask_b32_e32 v5, 0, v9, vcc
	v_cndmask_b32_e32 v3, v8, v3, vcc
	v_lshlrev_b64 v[8:9], v5, v[6:7]
	v_lshlrev_b32_e32 v5, 20, v8
	v_lshlrev_b32_e32 v6, 24, v6
	v_and_b32_e32 v5, 0x700000, v5
	v_and_b32_e32 v6, 0x80000000, v6
	v_lshl_add_u32 v3, v3, 23, v27
	v_or3_b32 v3, v6, v3, v5
.LBB2_2273:                             ;   in Loop: Header=BB2_1591 Depth=2
	s_or_b64 exec, exec, s[54:55]
.LBB2_2274:                             ;   in Loop: Header=BB2_1591 Depth=2
	s_or_b64 exec, exec, s[52:53]
.LBB2_2275:                             ;   in Loop: Header=BB2_1591 Depth=2
	s_or_b64 exec, exec, s[18:19]
	v_add_f32_e32 v48, v2, v3
	v_and_b32_sdwa v10, v48, s68 dst_sel:DWORD dst_unused:UNUSED_PAD src0_sel:BYTE_3 src1_sel:DWORD
	v_and_b32_e32 v6, 0x7f800000, v48
	v_mov_b32_e32 v7, v53
	v_and_b32_e32 v2, 0x7fffff, v48
	v_mov_b32_e32 v3, v53
	v_or_b32_e32 v5, 0x7e, v10
	v_cmp_ne_u64_e32 vcc, s[38:39], v[6:7]
	s_and_saveexec_b64 s[18:19], vcc
	s_xor_b64 s[52:53], exec, s[18:19]
	s_cbranch_execz .LBB2_2285
; %bb.2276:                             ;   in Loop: Header=BB2_1591 Depth=2
	v_and_b32_e32 v6, 0x7fffffff, v48
	v_mov_b32_e32 v7, v53
	v_cmp_gt_u64_e32 vcc, s[40:41], v[6:7]
	s_and_saveexec_b64 s[54:55], vcc
	s_cbranch_execz .LBB2_2284
; %bb.2277:                             ;   in Loop: Header=BB2_1591 Depth=2
	v_cmp_ne_u32_e32 vcc, 0, v48
	v_mov_b32_e32 v5, 0
	s_and_saveexec_b64 s[56:57], vcc
	s_cbranch_execz .LBB2_2283
; %bb.2278:                             ;   in Loop: Header=BB2_1591 Depth=2
	v_bfe_u32 v5, v48, 23, 8
	v_sub_u32_e32 v7, 0x79, v5
	v_cmp_gt_u32_e32 vcc, s71, v5
	v_add_u32_e32 v6, 0xffffff81, v5
	v_cndmask_b32_e32 v7, 0, v7, vcc
	v_cmp_eq_u32_e32 vcc, 0, v5
	v_mov_b32_e32 v5, 0xffffff82
	v_cndmask_b32_e32 v5, v6, v5, vcc
	v_mov_b32_e32 v6, 0x78
	v_cndmask_b32_e32 v48, v7, v6, vcc
	v_add_u32_e32 v6, 20, v48
	v_or_b32_e32 v8, 0x800000, v2
	v_lshlrev_b64 v[6:7], v6, -1
	v_cndmask_b32_e32 v2, v8, v2, vcc
	v_not_b32_e32 v6, v6
	v_and_b32_e32 v6, v2, v6
	v_lshrrev_b64 v[2:3], v48, v[2:3]
	v_not_b32_e32 v7, v7
	v_add_u32_e32 v8, 19, v48
	v_lshrrev_b32_e32 v49, 23, v2
	v_and_b32_e32 v7, 0, v7
	v_lshlrev_b64 v[8:9], v8, 1
	v_add3_u32 v49, v48, v5, v49
	v_bfe_u32 v5, v2, 20, 1
	v_add_u32_e32 v5, -1, v5
	v_cmp_eq_u64_e32 vcc, v[6:7], v[8:9]
	v_cndmask_b32_e32 v5, 0, v5, vcc
	v_add_u32_e32 v5, v5, v2
	v_and_b32_e32 v5, 0xfffff, v5
	v_add_co_u32_e32 v2, vcc, v5, v2
	v_add_u32_e32 v48, 6, v49
	v_addc_co_u32_e32 v3, vcc, 0, v3, vcc
	v_cmp_ne_u32_e32 vcc, 0, v48
                                        ; implicit-def: $vgpr5
	s_and_saveexec_b64 s[18:19], vcc
	s_xor_b64 s[18:19], exec, s[18:19]
; %bb.2279:                             ;   in Loop: Header=BB2_1591 Depth=2
	v_cmp_lt_u64_e32 vcc, s[44:45], v[2:3]
	v_add_u32_e32 v5, 7, v49
	v_cndmask_b32_e64 v6, 0, 1, vcc
	v_cndmask_b32_e32 v5, v48, v5, vcc
	v_lshrrev_b64 v[2:3], v6, v[2:3]
; %bb.2280:                             ;   in Loop: Header=BB2_1591 Depth=2
	s_andn2_saveexec_b64 s[18:19], s[18:19]
; %bb.2281:                             ;   in Loop: Header=BB2_1591 Depth=2
	v_bfe_u32 v5, v2, 23, 1
; %bb.2282:                             ;   in Loop: Header=BB2_1591 Depth=2
	s_or_b64 exec, exec, s[18:19]
	v_lshrrev_b64 v[2:3], 20, v[2:3]
	v_cmp_gt_i32_e32 vcc, 16, v5
	v_cndmask_b32_e32 v3, 0, v3, vcc
	v_cndmask_b32_e32 v2, 7, v2, vcc
	v_cmp_eq_u64_e64 s[18:19], 0, v[2:3]
	v_min_i32_e32 v3, 15, v5
	v_cmp_eq_u32_e32 vcc, 0, v5
	v_lshlrev_b32_e32 v3, 3, v3
	v_and_or_b32 v2, v2, 7, v3
	s_and_b64 s[18:19], vcc, s[18:19]
	v_cndmask_b32_e64 v2, v2, 0, s[18:19]
	v_or_b32_e32 v5, v2, v10
.LBB2_2283:                             ;   in Loop: Header=BB2_1591 Depth=2
	s_or_b64 exec, exec, s[56:57]
.LBB2_2284:                             ;   in Loop: Header=BB2_1591 Depth=2
	s_or_b64 exec, exec, s[54:55]
                                        ; implicit-def: $vgpr48
                                        ; implicit-def: $vgpr2_vgpr3
.LBB2_2285:                             ;   in Loop: Header=BB2_1591 Depth=2
	s_andn2_saveexec_b64 s[18:19], s[52:53]
; %bb.2286:                             ;   in Loop: Header=BB2_1591 Depth=2
	v_or_b32_sdwa v6, v48, s69 dst_sel:DWORD dst_unused:UNUSED_PAD src0_sel:BYTE_3 src1_sel:DWORD
	v_cmp_eq_u64_e32 vcc, 0, v[2:3]
	v_cndmask_b32_e32 v5, v6, v5, vcc
; %bb.2287:                             ;   in Loop: Header=BB2_1591 Depth=2
	s_or_b64 exec, exec, s[18:19]
	v_lshrrev_b16_e32 v2, 8, v52
	v_cmp_ne_u16_e32 vcc, 0, v2
	v_mov_b32_e32 v3, 0
	v_mov_b32_e32 v48, 0
	s_and_saveexec_b64 s[18:19], vcc
	s_cbranch_execz .LBB2_2293
; %bb.2288:                             ;   in Loop: Header=BB2_1591 Depth=2
	v_cmp_ne_u16_e32 vcc, s68, v2
	v_bfrev_b32_e32 v48, 1
	s_and_saveexec_b64 s[52:53], vcc
	s_cbranch_execz .LBB2_2292
; %bb.2289:                             ;   in Loop: Header=BB2_1591 Depth=2
	v_and_b32_e32 v10, 0x7f, v2
	v_cmp_ne_u32_e32 vcc, s69, v10
	v_mov_b32_e32 v48, 0x7f800001
	s_and_saveexec_b64 s[54:55], vcc
	s_cbranch_execz .LBB2_2291
; %bb.2290:                             ;   in Loop: Header=BB2_1591 Depth=2
	v_and_b32_e32 v8, 7, v2
	v_ffbh_u32_e32 v6, v8
	v_min_u32_e32 v48, 32, v6
	v_subrev_u32_e32 v6, 28, v48
	v_lshlrev_b64 v[6:7], v6, v[2:3]
	v_lshrrev_b32_e32 v9, 3, v10
	v_sub_u32_e32 v2, 29, v48
	v_and_b32_e32 v6, 7, v6
	v_cmp_gt_u32_e32 vcc, 8, v10
	v_cndmask_b32_e32 v2, v9, v2, vcc
	v_cndmask_b32_e32 v6, v8, v6, vcc
	v_lshlrev_b32_e32 v7, 16, v52
	v_lshlrev_b32_e32 v6, 20, v6
	v_and_b32_e32 v7, 0x80000000, v7
	v_lshl_add_u32 v2, v2, 23, v27
	v_or3_b32 v48, v7, v2, v6
.LBB2_2291:                             ;   in Loop: Header=BB2_1591 Depth=2
	s_or_b64 exec, exec, s[54:55]
.LBB2_2292:                             ;   in Loop: Header=BB2_1591 Depth=2
	s_or_b64 exec, exec, s[52:53]
.LBB2_2293:                             ;   in Loop: Header=BB2_1591 Depth=2
	s_or_b64 exec, exec, s[18:19]
	v_mov_b32_e32 v2, v13
	v_lshrrev_b16_e32 v10, 8, v2
	v_cmp_ne_u16_e32 vcc, 0, v10
	s_and_saveexec_b64 s[18:19], vcc
	s_cbranch_execz .LBB2_2299
; %bb.2294:                             ;   in Loop: Header=BB2_1591 Depth=2
	v_cmp_ne_u16_e32 vcc, s68, v10
	v_bfrev_b32_e32 v3, 1
	s_and_saveexec_b64 s[52:53], vcc
	s_cbranch_execz .LBB2_2298
; %bb.2295:                             ;   in Loop: Header=BB2_1591 Depth=2
	v_and_b32_e32 v49, 0x7f, v10
	v_cmp_ne_u32_e32 vcc, s69, v49
	v_mov_b32_e32 v3, 0x7f800001
	s_and_saveexec_b64 s[54:55], vcc
	s_cbranch_execz .LBB2_2297
; %bb.2296:                             ;   in Loop: Header=BB2_1591 Depth=2
	v_and_b32_e32 v3, 7, v10
	v_ffbh_u32_e32 v6, v3
	v_min_u32_e32 v9, 32, v6
	v_subrev_u32_e32 v6, 28, v9
	v_lshlrev_b64 v[6:7], v6, v[10:11]
	v_lshrrev_b32_e32 v8, 3, v49
	v_sub_u32_e32 v7, 29, v9
	v_and_b32_e32 v6, 7, v6
	v_cmp_gt_u32_e32 vcc, 8, v49
	v_cndmask_b32_e32 v7, v8, v7, vcc
	v_cndmask_b32_e32 v3, v3, v6, vcc
	v_lshlrev_b32_e32 v2, 16, v2
	v_lshlrev_b32_e32 v3, 20, v3
	v_and_b32_e32 v2, 0x80000000, v2
	v_lshl_add_u32 v6, v7, 23, v27
	v_or3_b32 v3, v2, v6, v3
.LBB2_2297:                             ;   in Loop: Header=BB2_1591 Depth=2
	s_or_b64 exec, exec, s[54:55]
.LBB2_2298:                             ;   in Loop: Header=BB2_1591 Depth=2
	s_or_b64 exec, exec, s[52:53]
.LBB2_2299:                             ;   in Loop: Header=BB2_1591 Depth=2
	s_or_b64 exec, exec, s[18:19]
	v_add_f32_e32 v2, v48, v3
	v_and_b32_sdwa v48, v2, s68 dst_sel:DWORD dst_unused:UNUSED_PAD src0_sel:BYTE_3 src1_sel:DWORD
	v_and_b32_e32 v6, 0x7f800000, v2
	v_mov_b32_e32 v7, v53
	v_and_b32_e32 v52, 0x7fffff, v2
	v_or_b32_e32 v10, 0x7e, v48
	v_cmp_ne_u64_e32 vcc, s[38:39], v[6:7]
	s_and_saveexec_b64 s[18:19], vcc
	s_xor_b64 s[52:53], exec, s[18:19]
	s_cbranch_execz .LBB2_2309
; %bb.2300:                             ;   in Loop: Header=BB2_1591 Depth=2
	v_and_b32_e32 v6, 0x7fffffff, v2
	v_mov_b32_e32 v7, v53
	v_cmp_gt_u64_e32 vcc, s[40:41], v[6:7]
	s_and_saveexec_b64 s[54:55], vcc
	s_cbranch_execz .LBB2_2308
; %bb.2301:                             ;   in Loop: Header=BB2_1591 Depth=2
	v_cmp_ne_u32_e32 vcc, 0, v2
	v_mov_b32_e32 v10, 0
	s_and_saveexec_b64 s[56:57], vcc
	s_cbranch_execz .LBB2_2307
; %bb.2302:                             ;   in Loop: Header=BB2_1591 Depth=2
	v_bfe_u32 v2, v2, 23, 8
	v_sub_u32_e32 v6, 0x79, v2
	v_cmp_gt_u32_e32 vcc, s71, v2
	v_add_u32_e32 v3, 0xffffff81, v2
	v_cndmask_b32_e32 v6, 0, v6, vcc
	v_cmp_eq_u32_e32 vcc, 0, v2
	v_mov_b32_e32 v2, 0xffffff82
	v_cndmask_b32_e32 v10, v3, v2, vcc
	v_mov_b32_e32 v2, 0x78
	v_cndmask_b32_e32 v49, v6, v2, vcc
	v_or_b32_e32 v7, 0x800000, v52
	v_add_u32_e32 v2, 20, v49
	v_cndmask_b32_e32 v52, v7, v52, vcc
	v_lshlrev_b64 v[2:3], v2, -1
	v_not_b32_e32 v2, v2
	v_lshrrev_b64 v[8:9], v49, v[52:53]
	v_not_b32_e32 v3, v3
	v_and_b32_e32 v2, v52, v2
	v_add_u32_e32 v6, 19, v49
	v_lshrrev_b32_e32 v52, 23, v8
	v_and_b32_e32 v3, 0, v3
	v_lshlrev_b64 v[6:7], v6, 1
	v_add3_u32 v52, v49, v10, v52
	v_bfe_u32 v10, v8, 20, 1
	v_add_u32_e32 v10, -1, v10
	v_cmp_eq_u64_e32 vcc, v[2:3], v[6:7]
	v_cndmask_b32_e32 v2, 0, v10, vcc
	v_add_u32_e32 v2, v2, v8
	v_and_b32_e32 v2, 0xfffff, v2
	v_add_co_u32_e32 v2, vcc, v2, v8
	v_add_u32_e32 v49, 6, v52
	v_addc_co_u32_e32 v3, vcc, 0, v9, vcc
	v_cmp_ne_u32_e32 vcc, 0, v49
                                        ; implicit-def: $vgpr10
	s_and_saveexec_b64 s[18:19], vcc
	s_xor_b64 s[18:19], exec, s[18:19]
; %bb.2303:                             ;   in Loop: Header=BB2_1591 Depth=2
	v_add_u32_e32 v6, 7, v52
	v_cmp_lt_u64_e32 vcc, s[44:45], v[2:3]
	v_cndmask_b32_e32 v10, v49, v6, vcc
	v_cndmask_b32_e64 v6, 0, 1, vcc
	v_lshrrev_b64 v[2:3], v6, v[2:3]
; %bb.2304:                             ;   in Loop: Header=BB2_1591 Depth=2
	s_andn2_saveexec_b64 s[18:19], s[18:19]
; %bb.2305:                             ;   in Loop: Header=BB2_1591 Depth=2
	v_bfe_u32 v10, v2, 23, 1
; %bb.2306:                             ;   in Loop: Header=BB2_1591 Depth=2
	s_or_b64 exec, exec, s[18:19]
	v_lshrrev_b64 v[2:3], 20, v[2:3]
	v_cmp_gt_i32_e32 vcc, 16, v10
	v_cndmask_b32_e32 v3, 0, v3, vcc
	v_cndmask_b32_e32 v2, 7, v2, vcc
	v_cmp_eq_u64_e64 s[18:19], 0, v[2:3]
	v_min_i32_e32 v3, 15, v10
	v_cmp_eq_u32_e32 vcc, 0, v10
	v_lshlrev_b32_e32 v3, 3, v3
	v_and_or_b32 v2, v2, 7, v3
	s_and_b64 s[18:19], vcc, s[18:19]
	v_cndmask_b32_e64 v2, v2, 0, s[18:19]
	v_or_b32_e32 v10, v2, v48
.LBB2_2307:                             ;   in Loop: Header=BB2_1591 Depth=2
	s_or_b64 exec, exec, s[56:57]
.LBB2_2308:                             ;   in Loop: Header=BB2_1591 Depth=2
	s_or_b64 exec, exec, s[54:55]
                                        ; implicit-def: $vgpr2
.LBB2_2309:                             ;   in Loop: Header=BB2_1591 Depth=2
	s_andn2_saveexec_b64 s[18:19], s[52:53]
; %bb.2310:                             ;   in Loop: Header=BB2_1591 Depth=2
	v_or_b32_sdwa v2, v2, s69 dst_sel:DWORD dst_unused:UNUSED_PAD src0_sel:BYTE_3 src1_sel:DWORD
	v_cmp_eq_u64_e32 vcc, 0, v[52:53]
	v_cndmask_b32_e32 v10, v2, v10, vcc
; %bb.2311:                             ;   in Loop: Header=BB2_1591 Depth=2
	s_or_b64 exec, exec, s[18:19]
	v_lshrrev_b32_e32 v2, 16, v17
	v_cmp_ne_u16_sdwa vcc, v2, v53 src0_sel:BYTE_0 src1_sel:DWORD
	v_mov_b32_e32 v3, 0
	v_mov_b32_e32 v48, 0
	s_and_saveexec_b64 s[18:19], vcc
	s_cbranch_execz .LBB2_2317
; %bb.2312:                             ;   in Loop: Header=BB2_1591 Depth=2
	v_cmp_ne_u16_sdwa vcc, v2, s68 src0_sel:BYTE_0 src1_sel:DWORD
	v_bfrev_b32_e32 v48, 1
	s_and_saveexec_b64 s[52:53], vcc
	s_cbranch_execz .LBB2_2316
; %bb.2313:                             ;   in Loop: Header=BB2_1591 Depth=2
	v_bfe_u32 v49, v17, 16, 7
	v_cmp_ne_u32_e32 vcc, s69, v49
	v_mov_b32_e32 v48, 0x7f800001
	s_and_saveexec_b64 s[54:55], vcc
	s_cbranch_execz .LBB2_2315
; %bb.2314:                             ;   in Loop: Header=BB2_1591 Depth=2
	v_and_b32_e32 v8, 7, v2
	v_ffbh_u32_e32 v6, v8
	v_min_u32_e32 v48, 32, v6
	v_subrev_u32_e32 v6, 28, v48
	v_lshlrev_b64 v[6:7], v6, v[2:3]
	v_lshrrev_b32_e32 v9, 3, v49
	v_sub_u32_e32 v7, 29, v48
	v_and_b32_e32 v6, 7, v6
	v_cmp_gt_u32_e32 vcc, 8, v49
	v_cndmask_b32_e32 v7, v9, v7, vcc
	v_cndmask_b32_e32 v6, v8, v6, vcc
	v_lshlrev_b32_e32 v2, 24, v2
	v_lshlrev_b32_e32 v6, 20, v6
	v_and_b32_e32 v2, 0x80000000, v2
	v_lshl_add_u32 v7, v7, 23, v27
	v_or3_b32 v48, v2, v7, v6
.LBB2_2315:                             ;   in Loop: Header=BB2_1591 Depth=2
	s_or_b64 exec, exec, s[54:55]
.LBB2_2316:                             ;   in Loop: Header=BB2_1591 Depth=2
	s_or_b64 exec, exec, s[52:53]
.LBB2_2317:                             ;   in Loop: Header=BB2_1591 Depth=2
	s_or_b64 exec, exec, s[18:19]
	v_lshrrev_b32_e32 v2, 16, v13
	v_cmp_ne_u16_sdwa vcc, v2, v53 src0_sel:BYTE_0 src1_sel:DWORD
	s_and_saveexec_b64 s[18:19], vcc
	s_cbranch_execz .LBB2_2323
; %bb.2318:                             ;   in Loop: Header=BB2_1591 Depth=2
	v_cmp_ne_u16_sdwa vcc, v2, s68 src0_sel:BYTE_0 src1_sel:DWORD
	v_bfrev_b32_e32 v3, 1
	s_and_saveexec_b64 s[52:53], vcc
	s_cbranch_execz .LBB2_2322
; %bb.2319:                             ;   in Loop: Header=BB2_1591 Depth=2
	v_bfe_u32 v49, v13, 16, 7
	v_cmp_ne_u32_e32 vcc, s69, v49
	v_mov_b32_e32 v3, 0x7f800001
	s_and_saveexec_b64 s[54:55], vcc
	s_cbranch_execz .LBB2_2321
; %bb.2320:                             ;   in Loop: Header=BB2_1591 Depth=2
	v_and_b32_e32 v6, 7, v2
	v_ffbh_u32_e32 v3, v6
	v_min_u32_e32 v8, 32, v3
	v_subrev_u32_e32 v3, 28, v8
	v_lshlrev_b64 v[2:3], v3, v[2:3]
	v_lshrrev_b32_e32 v7, 3, v49
	v_sub_u32_e32 v3, 29, v8
	v_and_b32_e32 v2, 7, v2
	v_cmp_gt_u32_e32 vcc, 8, v49
	v_cndmask_b32_e32 v3, v7, v3, vcc
	v_cndmask_b32_e32 v2, v6, v2, vcc
	v_lshlrev_b32_e32 v6, 8, v13
	v_lshlrev_b32_e32 v2, 20, v2
	v_and_b32_e32 v6, 0x80000000, v6
	v_lshl_add_u32 v3, v3, 23, v27
	v_or3_b32 v3, v6, v3, v2
.LBB2_2321:                             ;   in Loop: Header=BB2_1591 Depth=2
	s_or_b64 exec, exec, s[54:55]
.LBB2_2322:                             ;   in Loop: Header=BB2_1591 Depth=2
	s_or_b64 exec, exec, s[52:53]
.LBB2_2323:                             ;   in Loop: Header=BB2_1591 Depth=2
	s_or_b64 exec, exec, s[18:19]
	v_add_f32_e32 v2, v48, v3
	v_and_b32_sdwa v49, v2, s68 dst_sel:DWORD dst_unused:UNUSED_PAD src0_sel:BYTE_3 src1_sel:DWORD
	v_and_b32_e32 v6, 0x7f800000, v2
	v_mov_b32_e32 v7, v53
	v_and_b32_e32 v52, 0x7fffff, v2
	v_or_b32_e32 v48, 0x7e, v49
	v_cmp_ne_u64_e32 vcc, s[38:39], v[6:7]
	s_and_saveexec_b64 s[18:19], vcc
	s_xor_b64 s[52:53], exec, s[18:19]
	s_cbranch_execz .LBB2_2333
; %bb.2324:                             ;   in Loop: Header=BB2_1591 Depth=2
	v_and_b32_e32 v6, 0x7fffffff, v2
	v_mov_b32_e32 v7, v53
	v_cmp_gt_u64_e32 vcc, s[40:41], v[6:7]
	s_and_saveexec_b64 s[54:55], vcc
	s_cbranch_execz .LBB2_2332
; %bb.2325:                             ;   in Loop: Header=BB2_1591 Depth=2
	v_cmp_ne_u32_e32 vcc, 0, v2
	v_mov_b32_e32 v48, 0
	s_and_saveexec_b64 s[56:57], vcc
	s_cbranch_execz .LBB2_2331
; %bb.2326:                             ;   in Loop: Header=BB2_1591 Depth=2
	v_bfe_u32 v2, v2, 23, 8
	v_sub_u32_e32 v6, 0x79, v2
	v_cmp_gt_u32_e32 vcc, s71, v2
	v_add_u32_e32 v3, 0xffffff81, v2
	v_cndmask_b32_e32 v6, 0, v6, vcc
	v_cmp_eq_u32_e32 vcc, 0, v2
	v_mov_b32_e32 v2, 0xffffff82
	v_cndmask_b32_e32 v48, v3, v2, vcc
	v_mov_b32_e32 v2, 0x78
	v_accvgpr_write_b32 a26, v60
	v_cndmask_b32_e32 v60, v6, v2, vcc
	v_or_b32_e32 v7, 0x800000, v52
	v_add_u32_e32 v2, 20, v60
	v_cndmask_b32_e32 v52, v7, v52, vcc
	v_lshlrev_b64 v[2:3], v2, -1
	v_not_b32_e32 v2, v2
	v_lshrrev_b64 v[8:9], v60, v[52:53]
	v_not_b32_e32 v3, v3
	v_and_b32_e32 v2, v52, v2
	v_add_u32_e32 v6, 19, v60
	v_lshrrev_b32_e32 v52, 23, v8
	v_and_b32_e32 v3, 0, v3
	v_lshlrev_b64 v[6:7], v6, 1
	v_add3_u32 v60, v60, v48, v52
	v_bfe_u32 v48, v8, 20, 1
	v_add_u32_e32 v48, -1, v48
	v_cmp_eq_u64_e32 vcc, v[2:3], v[6:7]
	v_cndmask_b32_e32 v2, 0, v48, vcc
	v_add_u32_e32 v2, v2, v8
	v_and_b32_e32 v2, 0xfffff, v2
	v_add_co_u32_e32 v2, vcc, v2, v8
	v_add_u32_e32 v52, 6, v60
	v_addc_co_u32_e32 v3, vcc, 0, v9, vcc
	v_cmp_ne_u32_e32 vcc, 0, v52
                                        ; implicit-def: $vgpr48
	s_and_saveexec_b64 s[18:19], vcc
	s_xor_b64 s[18:19], exec, s[18:19]
; %bb.2327:                             ;   in Loop: Header=BB2_1591 Depth=2
	v_add_u32_e32 v6, 7, v60
	v_cmp_lt_u64_e32 vcc, s[44:45], v[2:3]
	v_cndmask_b32_e32 v48, v52, v6, vcc
	v_cndmask_b32_e64 v6, 0, 1, vcc
	v_lshrrev_b64 v[2:3], v6, v[2:3]
; %bb.2328:                             ;   in Loop: Header=BB2_1591 Depth=2
	s_andn2_saveexec_b64 s[18:19], s[18:19]
; %bb.2329:                             ;   in Loop: Header=BB2_1591 Depth=2
	v_bfe_u32 v48, v2, 23, 1
; %bb.2330:                             ;   in Loop: Header=BB2_1591 Depth=2
	s_or_b64 exec, exec, s[18:19]
	v_lshrrev_b64 v[2:3], 20, v[2:3]
	v_cmp_gt_i32_e32 vcc, 16, v48
	v_cndmask_b32_e32 v3, 0, v3, vcc
	v_cndmask_b32_e32 v2, 7, v2, vcc
	v_cmp_eq_u64_e64 s[18:19], 0, v[2:3]
	v_min_i32_e32 v3, 15, v48
	v_lshlrev_b32_e32 v3, 3, v3
	v_cmp_eq_u32_e32 vcc, 0, v48
	v_and_b32_e32 v3, 0xf8, v3
	v_and_or_b32 v2, v2, 7, v3
	s_and_b64 s[18:19], vcc, s[18:19]
	v_cndmask_b32_e64 v2, v2, 0, s[18:19]
	v_or_b32_e32 v48, v2, v49
	v_accvgpr_read_b32 v60, a26
.LBB2_2331:                             ;   in Loop: Header=BB2_1591 Depth=2
	s_or_b64 exec, exec, s[56:57]
.LBB2_2332:                             ;   in Loop: Header=BB2_1591 Depth=2
	s_or_b64 exec, exec, s[54:55]
                                        ; implicit-def: $vgpr2
.LBB2_2333:                             ;   in Loop: Header=BB2_1591 Depth=2
	s_andn2_saveexec_b64 s[18:19], s[52:53]
; %bb.2334:                             ;   in Loop: Header=BB2_1591 Depth=2
	v_or_b32_sdwa v2, v2, s69 dst_sel:DWORD dst_unused:UNUSED_PAD src0_sel:BYTE_3 src1_sel:DWORD
	v_cmp_eq_u64_e32 vcc, 0, v[52:53]
	v_cndmask_b32_e32 v48, v2, v48, vcc
; %bb.2335:                             ;   in Loop: Header=BB2_1591 Depth=2
	s_or_b64 exec, exec, s[18:19]
	v_cmp_lt_u64_e32 vcc, s[42:43], v[16:17]
	v_mov_b32_e32 v3, 0
	v_mov_b32_e32 v16, 0
	s_and_saveexec_b64 s[18:19], vcc
	s_cbranch_execz .LBB2_2341
; %bb.2336:                             ;   in Loop: Header=BB2_1591 Depth=2
	v_lshrrev_b32_e32 v2, 24, v17
	v_cmp_ne_u32_e32 vcc, s68, v2
	v_bfrev_b32_e32 v16, 1
	s_and_saveexec_b64 s[52:53], vcc
	s_cbranch_execz .LBB2_2340
; %bb.2337:                             ;   in Loop: Header=BB2_1591 Depth=2
	v_bfe_u32 v17, v17, 24, 7
	v_cmp_ne_u32_e32 vcc, s69, v17
	v_mov_b32_e32 v16, 0x7f800001
	s_and_saveexec_b64 s[54:55], vcc
	s_cbranch_execz .LBB2_2339
; %bb.2338:                             ;   in Loop: Header=BB2_1591 Depth=2
	v_and_b32_e32 v8, 7, v2
	v_ffbh_u32_e32 v6, v8
	v_min_u32_e32 v16, 32, v6
	v_subrev_u32_e32 v6, 28, v16
	v_lshlrev_b64 v[6:7], v6, v[2:3]
	v_lshrrev_b32_e32 v9, 3, v17
	v_sub_u32_e32 v7, 29, v16
	v_and_b32_e32 v6, 7, v6
	v_cmp_gt_u32_e32 vcc, 8, v17
	v_cndmask_b32_e32 v7, v9, v7, vcc
	v_cndmask_b32_e32 v6, v8, v6, vcc
	v_lshlrev_b32_e32 v2, 24, v2
	v_lshlrev_b32_e32 v6, 20, v6
	v_and_b32_e32 v2, 0x80000000, v2
	v_lshl_add_u32 v7, v7, 23, v27
	v_or3_b32 v16, v2, v7, v6
.LBB2_2339:                             ;   in Loop: Header=BB2_1591 Depth=2
	s_or_b64 exec, exec, s[54:55]
.LBB2_2340:                             ;   in Loop: Header=BB2_1591 Depth=2
	s_or_b64 exec, exec, s[52:53]
.LBB2_2341:                             ;   in Loop: Header=BB2_1591 Depth=2
	s_or_b64 exec, exec, s[18:19]
	v_cmp_lt_u64_e32 vcc, s[42:43], v[12:13]
	s_and_saveexec_b64 s[18:19], vcc
	s_cbranch_execz .LBB2_2347
; %bb.2342:                             ;   in Loop: Header=BB2_1591 Depth=2
	v_lshrrev_b32_e32 v2, 24, v13
	v_cmp_ne_u32_e32 vcc, s68, v2
	v_bfrev_b32_e32 v3, 1
	s_and_saveexec_b64 s[52:53], vcc
	s_cbranch_execz .LBB2_2346
; %bb.2343:                             ;   in Loop: Header=BB2_1591 Depth=2
	v_bfe_u32 v12, v13, 24, 7
	v_cmp_ne_u32_e32 vcc, s69, v12
	v_mov_b32_e32 v3, 0x7f800001
	s_and_saveexec_b64 s[54:55], vcc
	s_cbranch_execz .LBB2_2345
; %bb.2344:                             ;   in Loop: Header=BB2_1591 Depth=2
	v_and_b32_e32 v3, 7, v2
	v_ffbh_u32_e32 v6, v3
	v_min_u32_e32 v9, 32, v6
	v_subrev_u32_e32 v6, 28, v9
	v_lshlrev_b64 v[6:7], v6, v[2:3]
	v_lshrrev_b32_e32 v8, 3, v12
	v_sub_u32_e32 v7, 29, v9
	v_and_b32_e32 v6, 7, v6
	v_cmp_gt_u32_e32 vcc, 8, v12
	v_cndmask_b32_e32 v7, v8, v7, vcc
	v_cndmask_b32_e32 v3, v3, v6, vcc
	v_lshlrev_b32_e32 v2, 24, v2
	v_lshlrev_b32_e32 v3, 20, v3
	v_and_b32_e32 v2, 0x80000000, v2
	v_lshl_add_u32 v6, v7, 23, v27
	v_or3_b32 v3, v2, v6, v3
.LBB2_2345:                             ;   in Loop: Header=BB2_1591 Depth=2
	s_or_b64 exec, exec, s[54:55]
.LBB2_2346:                             ;   in Loop: Header=BB2_1591 Depth=2
	s_or_b64 exec, exec, s[52:53]
.LBB2_2347:                             ;   in Loop: Header=BB2_1591 Depth=2
	s_or_b64 exec, exec, s[18:19]
	v_add_f32_e32 v3, v16, v3
	v_and_b32_sdwa v12, v3, s68 dst_sel:DWORD dst_unused:UNUSED_PAD src0_sel:BYTE_3 src1_sel:DWORD
	v_and_b32_e32 v6, 0x7f800000, v3
	v_mov_b32_e32 v7, v53
	v_and_b32_e32 v52, 0x7fffff, v3
	v_or_b32_e32 v2, 0x7e, v12
	v_cmp_ne_u64_e32 vcc, s[38:39], v[6:7]
	s_and_saveexec_b64 s[18:19], vcc
	s_xor_b64 s[52:53], exec, s[18:19]
	s_cbranch_execz .LBB2_2357
; %bb.2348:                             ;   in Loop: Header=BB2_1591 Depth=2
	v_and_b32_e32 v6, 0x7fffffff, v3
	v_mov_b32_e32 v7, v53
	v_cmp_gt_u64_e32 vcc, s[40:41], v[6:7]
	s_and_saveexec_b64 s[54:55], vcc
	s_cbranch_execz .LBB2_2356
; %bb.2349:                             ;   in Loop: Header=BB2_1591 Depth=2
	v_cmp_ne_u32_e32 vcc, 0, v3
	v_mov_b32_e32 v2, 0
	s_and_saveexec_b64 s[56:57], vcc
	s_cbranch_execz .LBB2_2355
; %bb.2350:                             ;   in Loop: Header=BB2_1591 Depth=2
	v_bfe_u32 v2, v3, 23, 8
	v_sub_u32_e32 v6, 0x79, v2
	v_cmp_gt_u32_e32 vcc, s71, v2
	v_add_u32_e32 v3, 0xffffff81, v2
	v_cndmask_b32_e32 v6, 0, v6, vcc
	v_cmp_eq_u32_e32 vcc, 0, v2
	v_mov_b32_e32 v2, 0xffffff82
	v_cndmask_b32_e32 v13, v3, v2, vcc
	v_mov_b32_e32 v2, 0x78
	v_or_b32_e32 v7, 0x800000, v52
	v_cndmask_b32_e32 v16, v6, v2, vcc
	v_cndmask_b32_e32 v52, v7, v52, vcc
	v_add_u32_e32 v2, 20, v16
	v_lshlrev_b64 v[2:3], v2, -1
	v_lshrrev_b64 v[8:9], v16, v[52:53]
	v_not_b32_e32 v3, v3
	v_not_b32_e32 v2, v2
	v_add_u32_e32 v6, 19, v16
	v_lshrrev_b32_e32 v17, 23, v8
	v_and_b32_e32 v3, 0, v3
	v_and_b32_e32 v2, v52, v2
	v_lshlrev_b64 v[6:7], v6, 1
	v_add3_u32 v17, v16, v13, v17
	v_bfe_u32 v13, v8, 20, 1
	v_add_u32_e32 v13, -1, v13
	v_cmp_eq_u64_e32 vcc, v[2:3], v[6:7]
	v_cndmask_b32_e32 v2, 0, v13, vcc
	v_add_u32_e32 v2, v2, v8
	v_and_b32_e32 v2, 0xfffff, v2
	v_add_co_u32_e32 v2, vcc, v2, v8
	v_add_u32_e32 v16, 6, v17
	v_addc_co_u32_e32 v3, vcc, 0, v9, vcc
	v_cmp_ne_u32_e32 vcc, 0, v16
                                        ; implicit-def: $vgpr13
	s_and_saveexec_b64 s[18:19], vcc
	s_xor_b64 s[18:19], exec, s[18:19]
; %bb.2351:                             ;   in Loop: Header=BB2_1591 Depth=2
	v_add_u32_e32 v6, 7, v17
	v_cmp_lt_u64_e32 vcc, s[44:45], v[2:3]
	v_cndmask_b32_e32 v13, v16, v6, vcc
	v_cndmask_b32_e64 v6, 0, 1, vcc
	v_lshrrev_b64 v[2:3], v6, v[2:3]
; %bb.2352:                             ;   in Loop: Header=BB2_1591 Depth=2
	s_andn2_saveexec_b64 s[18:19], s[18:19]
; %bb.2353:                             ;   in Loop: Header=BB2_1591 Depth=2
	v_bfe_u32 v13, v2, 23, 1
; %bb.2354:                             ;   in Loop: Header=BB2_1591 Depth=2
	s_or_b64 exec, exec, s[18:19]
	v_lshrrev_b64 v[2:3], 20, v[2:3]
	v_cmp_gt_i32_e32 vcc, 16, v13
	v_cndmask_b32_e32 v3, 0, v3, vcc
	v_cndmask_b32_e32 v2, 7, v2, vcc
	v_cmp_eq_u64_e64 s[18:19], 0, v[2:3]
	v_min_i32_e32 v3, 15, v13
	v_lshlrev_b32_e32 v3, 3, v3
	v_cmp_eq_u32_e32 vcc, 0, v13
	v_and_b32_e32 v3, 0xf8, v3
	v_and_or_b32 v2, v2, 7, v3
	s_and_b64 s[18:19], vcc, s[18:19]
	v_cndmask_b32_e64 v2, v2, 0, s[18:19]
	v_or_b32_e32 v2, v2, v12
.LBB2_2355:                             ;   in Loop: Header=BB2_1591 Depth=2
	s_or_b64 exec, exec, s[56:57]
.LBB2_2356:                             ;   in Loop: Header=BB2_1591 Depth=2
	s_or_b64 exec, exec, s[54:55]
                                        ; implicit-def: $vgpr3
.LBB2_2357:                             ;   in Loop: Header=BB2_1591 Depth=2
	s_andn2_saveexec_b64 s[18:19], s[52:53]
	s_cbranch_execz .LBB2_1590
; %bb.2358:                             ;   in Loop: Header=BB2_1591 Depth=2
	v_or_b32_sdwa v3, v3, s69 dst_sel:DWORD dst_unused:UNUSED_PAD src0_sel:BYTE_3 src1_sel:DWORD
	v_cmp_eq_u64_e32 vcc, 0, v[52:53]
	v_cndmask_b32_e32 v2, v3, v2, vcc
	s_branch .LBB2_1590
.LBB2_2359:                             ;   in Loop: Header=BB2_1518 Depth=1
	s_or_b64 exec, exec, s[50:51]
	v_accvgpr_read_b32 v45, a5
	v_accvgpr_read_b32 v59, a7
	;; [unrolled: 1-line block ×13, first 2 shown]
.LBB2_2360:                             ;   in Loop: Header=BB2_1518 Depth=1
	s_or_b64 exec, exec, s[20:21]
	v_accvgpr_read_b32 v0, a36
	v_and_b32_e32 v3, 0x3ffff800, v0
	v_cmp_ne_u32_e32 vcc, v3, v0
	s_mov_b64 s[18:19], 0
	v_mov_b32_e32 v16, 0
                                        ; implicit-def: $vgpr17
                                        ; implicit-def: $vgpr18
                                        ; implicit-def: $vgpr2
	s_and_saveexec_b64 s[50:51], vcc
	s_cbranch_execz .LBB2_2752
; %bb.2361:                             ;   in Loop: Header=BB2_1518 Depth=1
	v_lshlrev_b32_e32 v0, 6, v30
	v_accvgpr_read_b32 v2, a23
	v_sub_u32_e32 v0, v2, v0
	v_ashrrev_i32_e32 v2, 31, v0
	v_lshrrev_b32_e32 v2, 26, v2
	v_add_u32_e32 v2, v0, v2
	v_accvgpr_read_b32 v6, a36
	v_ashrrev_i32_e32 v4, 6, v2
	v_and_b32_e32 v2, 0xffffffc0, v2
	v_and_b32_e32 v1, 0x7ff, v6
	v_sub_u32_e32 v0, v0, v2
	v_bfe_u32 v5, v6, 10, 1
	v_and_b32_e32 v6, 0x400, v6
	v_lshlrev_b32_e32 v2, 4, v0
	v_sub_u32_e32 v25, v1, v6
	v_lshl_add_u32 v2, v4, 10, v2
	v_cmp_lt_i32_e32 vcc, 15, v25
	v_sub_u32_e32 v26, v1, v2
	v_addc_co_u32_e64 v1, s[18:19], 0, v5, vcc
	v_sub_u32_e32 v1, v1, v4
	v_cmp_lt_i32_e64 s[18:19], 15, v26
	s_and_saveexec_b64 s[52:53], s[18:19]
	s_cbranch_execz .LBB2_2749
; %bb.2362:                             ;   in Loop: Header=BB2_1518 Depth=1
	s_trap 2
	ds_read_b128 v[4:7], v0
	v_add_u32_e32 v8, v2, v3
	ds_read_b64 v[2:3], v0
	v_ashrrev_i32_e32 v9, 31, v8
	s_mov_b64 s[54:55], 0
	s_waitcnt lgkmcnt(0)
	v_add_co_u32_e64 v18, s[18:19], v4, v8
	v_addc_co_u32_e64 v19, s[18:19], v5, v9, s[18:19]
	v_add_co_u32_e64 v20, s[18:19], v6, v8
	v_addc_co_u32_e64 v21, s[18:19], v7, v9, s[18:19]
	s_waitcnt lgkmcnt(0)
	v_add_co_u32_e64 v22, s[18:19], v2, v8
	v_addc_co_u32_e64 v23, s[18:19], v3, v9, s[18:19]
	s_branch .LBB2_2364
.LBB2_2363:                             ;   in Loop: Header=BB2_2364 Depth=2
	s_or_b64 exec, exec, s[20:21]
	v_lshlrev_b32_e32 v3, 8, v24
	v_perm_b32 v3, v3, v50, s72
	v_lshl_or_b32 v3, v28, 16, v3
	v_lshl_or_b32 v7, v11, 24, v3
	v_and_b32_e32 v3, 0xff, v34
	v_lshlrev_b32_e32 v8, 8, v55
	v_lshlrev_b32_e32 v6, 24, v35
	;; [unrolled: 1-line block ×3, first 2 shown]
	v_perm_b32 v8, v8, v30, s72
	v_or3_b32 v6, v6, v3, v8
	v_and_b32_e32 v3, 0xff, v29
	v_lshlrev_b32_e32 v8, 8, v15
	v_lshlrev_b32_e32 v4, 24, v4
	;; [unrolled: 1-line block ×3, first 2 shown]
	v_perm_b32 v8, v8, v14, s72
	v_or3_b32 v8, v4, v3, v8
	v_lshlrev_b32_e32 v3, 8, v10
	v_perm_b32 v3, v3, v5, s72
	v_lshl_or_b32 v3, v48, 16, v3
	v_lshl_or_b32 v9, v2, 24, v3
	v_accvgpr_read_b32 v2, a29
	v_add_co_u32_e64 v18, s[18:19], v18, v2
	v_accvgpr_read_b32 v3, a30
	v_addc_co_u32_e64 v19, s[18:19], v19, v3, s[18:19]
	v_add_co_u32_e64 v20, s[18:19], v20, v2
	v_addc_co_u32_e64 v21, s[18:19], v21, v3, s[18:19]
	global_store_dwordx4 v[22:23], v[6:9], off glc slc
	v_add_co_u32_e64 v22, s[18:19], v22, v2
	v_accvgpr_read_b32 v2, a28
	v_addc_co_u32_e64 v23, s[18:19], v23, v3, s[18:19]
	v_sub_u32_e32 v26, v26, v2
	v_cmp_gt_i32_e64 s[18:19], 16, v26
	v_accvgpr_read_b32 v2, a22
	s_or_b64 s[54:55], s[18:19], s[54:55]
	v_sub_u32_e32 v1, v1, v2
	s_andn2_b64 exec, exec, s[54:55]
	s_cbranch_execz .LBB2_2748
.LBB2_2364:                             ;   Parent Loop BB2_1518 Depth=1
                                        ; =>  This Inner Loop Header: Depth=2
	global_load_dwordx4 v[14:17], v[18:19], off glc slc
	global_load_dwordx4 v[10:13], v[20:21], off glc slc
	v_mov_b32_e32 v2, 0
	v_mov_b32_e32 v3, 0
	s_waitcnt vmcnt(0)
	v_cmp_ne_u16_sdwa s[18:19], v14, v53 src0_sel:BYTE_0 src1_sel:DWORD
	s_and_saveexec_b64 s[20:21], s[18:19]
	s_cbranch_execz .LBB2_2370
; %bb.2365:                             ;   in Loop: Header=BB2_2364 Depth=2
	v_cmp_ne_u16_sdwa s[18:19], v14, s68 src0_sel:BYTE_0 src1_sel:DWORD
	v_bfrev_b32_e32 v3, 1
	s_and_saveexec_b64 s[56:57], s[18:19]
	s_cbranch_execz .LBB2_2369
; %bb.2366:                             ;   in Loop: Header=BB2_2364 Depth=2
	v_and_b32_e32 v4, 0x7f, v14
	v_cmp_ne_u32_e64 s[18:19], s69, v4
	v_mov_b32_e32 v3, 0x7f800001
	s_and_saveexec_b64 s[58:59], s[18:19]
	s_cbranch_execz .LBB2_2368
; %bb.2367:                             ;   in Loop: Header=BB2_2364 Depth=2
	v_and_b32_e32 v3, 7, v14
	v_ffbh_u32_e32 v3, v3
	v_min_u32_e32 v3, 32, v3
	v_subrev_u32_e32 v6, 28, v3
	v_cmp_gt_u32_e64 s[18:19], 8, v4
	v_lshrrev_b32_e32 v5, 3, v4
	v_sub_u32_e32 v3, 29, v3
	v_cndmask_b32_e64 v4, 0, v6, s[18:19]
	v_cndmask_b32_e64 v3, v5, v3, s[18:19]
	v_lshlrev_b64 v[4:5], v4, v[14:15]
	v_lshlrev_b32_e32 v4, 20, v4
	v_lshlrev_b32_e32 v5, 24, v14
	v_and_b32_e32 v4, 0x700000, v4
	v_and_b32_e32 v5, 0x80000000, v5
	v_lshl_add_u32 v3, v3, 23, v27
	v_or3_b32 v3, v5, v3, v4
.LBB2_2368:                             ;   in Loop: Header=BB2_2364 Depth=2
	s_or_b64 exec, exec, s[58:59]
.LBB2_2369:                             ;   in Loop: Header=BB2_2364 Depth=2
	s_or_b64 exec, exec, s[56:57]
.LBB2_2370:                             ;   in Loop: Header=BB2_2364 Depth=2
	s_or_b64 exec, exec, s[20:21]
	s_waitcnt vmcnt(0)
	v_cmp_ne_u16_sdwa s[18:19], v10, v53 src0_sel:BYTE_0 src1_sel:DWORD
	s_and_saveexec_b64 s[20:21], s[18:19]
	s_cbranch_execz .LBB2_2376
; %bb.2371:                             ;   in Loop: Header=BB2_2364 Depth=2
	v_cmp_ne_u16_sdwa s[18:19], v10, s68 src0_sel:BYTE_0 src1_sel:DWORD
	v_bfrev_b32_e32 v2, 1
	s_and_saveexec_b64 s[56:57], s[18:19]
	s_cbranch_execz .LBB2_2375
; %bb.2372:                             ;   in Loop: Header=BB2_2364 Depth=2
	v_and_b32_e32 v4, 0x7f, v10
	v_cmp_ne_u32_e64 s[18:19], s69, v4
	v_mov_b32_e32 v2, 0x7f800001
	s_and_saveexec_b64 s[58:59], s[18:19]
	s_cbranch_execz .LBB2_2374
; %bb.2373:                             ;   in Loop: Header=BB2_2364 Depth=2
	v_and_b32_e32 v2, 7, v10
	v_ffbh_u32_e32 v2, v2
	v_min_u32_e32 v2, 32, v2
	v_subrev_u32_e32 v6, 28, v2
	v_cmp_gt_u32_e64 s[18:19], 8, v4
	v_lshrrev_b32_e32 v5, 3, v4
	v_sub_u32_e32 v2, 29, v2
	v_cndmask_b32_e64 v4, 0, v6, s[18:19]
	v_cndmask_b32_e64 v2, v5, v2, s[18:19]
	v_lshlrev_b64 v[4:5], v4, v[10:11]
	v_lshlrev_b32_e32 v4, 20, v4
	v_lshlrev_b32_e32 v5, 24, v10
	v_and_b32_e32 v4, 0x700000, v4
	v_and_b32_e32 v5, 0x80000000, v5
	v_lshl_add_u32 v2, v2, 23, v27
	v_or3_b32 v2, v5, v2, v4
.LBB2_2374:                             ;   in Loop: Header=BB2_2364 Depth=2
	s_or_b64 exec, exec, s[58:59]
.LBB2_2375:                             ;   in Loop: Header=BB2_2364 Depth=2
	s_or_b64 exec, exec, s[56:57]
.LBB2_2376:                             ;   in Loop: Header=BB2_2364 Depth=2
	s_or_b64 exec, exec, s[20:21]
	v_add_f32_e32 v2, v3, v2
	v_and_b32_sdwa v4, v2, s68 dst_sel:DWORD dst_unused:UNUSED_PAD src0_sel:BYTE_3 src1_sel:DWORD
	v_and_b32_e32 v6, 0x7f800000, v2
	v_mov_b32_e32 v7, v53
	v_and_b32_e32 v52, 0x7fffff, v2
	v_or_b32_e32 v30, 0x7e, v4
	v_cmp_ne_u64_e64 s[18:19], s[38:39], v[6:7]
	s_and_saveexec_b64 s[20:21], s[18:19]
	s_xor_b64 s[56:57], exec, s[20:21]
	s_cbranch_execz .LBB2_2386
; %bb.2377:                             ;   in Loop: Header=BB2_2364 Depth=2
	v_and_b32_e32 v6, 0x7fffffff, v2
	v_mov_b32_e32 v7, v53
	v_cmp_gt_u64_e64 s[18:19], s[40:41], v[6:7]
	s_and_saveexec_b64 s[58:59], s[18:19]
	s_cbranch_execz .LBB2_2385
; %bb.2378:                             ;   in Loop: Header=BB2_2364 Depth=2
	v_cmp_ne_u32_e64 s[18:19], 0, v2
	v_mov_b32_e32 v30, 0
	s_and_saveexec_b64 s[60:61], s[18:19]
	s_cbranch_execz .LBB2_2384
; %bb.2379:                             ;   in Loop: Header=BB2_2364 Depth=2
	v_bfe_u32 v2, v2, 23, 8
	v_sub_u32_e32 v5, 0x79, v2
	v_cmp_gt_u32_e64 s[18:19], s71, v2
	v_add_u32_e32 v3, 0xffffff81, v2
	v_cndmask_b32_e64 v5, 0, v5, s[18:19]
	v_cmp_eq_u32_e64 s[18:19], 0, v2
	v_mov_b32_e32 v2, 0xffffff82
	v_cndmask_b32_e64 v24, v3, v2, s[18:19]
	v_mov_b32_e32 v2, 0x78
	v_or_b32_e32 v6, 0x800000, v52
	v_cndmask_b32_e64 v5, v5, v2, s[18:19]
	v_cndmask_b32_e64 v52, v6, v52, s[18:19]
	v_add_u32_e32 v2, 20, v5
	v_lshlrev_b64 v[2:3], v2, -1
	v_lshrrev_b64 v[8:9], v5, v[52:53]
	v_not_b32_e32 v3, v3
	v_not_b32_e32 v2, v2
	v_add_u32_e32 v6, 19, v5
	v_lshrrev_b32_e32 v28, 23, v8
	v_and_b32_e32 v3, 0, v3
	v_and_b32_e32 v2, v52, v2
	v_lshlrev_b64 v[6:7], v6, 1
	v_add3_u32 v28, v5, v24, v28
	v_bfe_u32 v5, v8, 20, 1
	v_add_u32_e32 v5, -1, v5
	v_cmp_eq_u64_e64 s[18:19], v[2:3], v[6:7]
	v_cndmask_b32_e64 v2, 0, v5, s[18:19]
	v_add_u32_e32 v2, v2, v8
	v_and_b32_e32 v2, 0xfffff, v2
	v_add_co_u32_e64 v2, s[18:19], v2, v8
	v_add_u32_e32 v24, 6, v28
	v_addc_co_u32_e64 v3, s[18:19], 0, v9, s[18:19]
	v_cmp_ne_u32_e64 s[18:19], 0, v24
                                        ; implicit-def: $vgpr5
	s_and_saveexec_b64 s[20:21], s[18:19]
	s_xor_b64 s[20:21], exec, s[20:21]
; %bb.2380:                             ;   in Loop: Header=BB2_2364 Depth=2
	v_cmp_lt_u64_e64 s[18:19], s[44:45], v[2:3]
	v_add_u32_e32 v5, 7, v28
	v_cndmask_b32_e64 v6, 0, 1, s[18:19]
	v_cndmask_b32_e64 v5, v24, v5, s[18:19]
	v_lshrrev_b64 v[2:3], v6, v[2:3]
; %bb.2381:                             ;   in Loop: Header=BB2_2364 Depth=2
	s_andn2_saveexec_b64 s[18:19], s[20:21]
; %bb.2382:                             ;   in Loop: Header=BB2_2364 Depth=2
	v_bfe_u32 v5, v2, 23, 1
; %bb.2383:                             ;   in Loop: Header=BB2_2364 Depth=2
	s_or_b64 exec, exec, s[18:19]
	v_lshrrev_b64 v[2:3], 20, v[2:3]
	v_cmp_gt_i32_e64 s[18:19], 16, v5
	v_cndmask_b32_e64 v3, 0, v3, s[18:19]
	v_cndmask_b32_e64 v2, 7, v2, s[18:19]
	v_cmp_eq_u64_e64 s[20:21], 0, v[2:3]
	v_min_i32_e32 v3, 15, v5
	v_cmp_eq_u32_e64 s[18:19], 0, v5
	v_lshlrev_b32_e32 v3, 3, v3
	v_and_or_b32 v2, v2, 7, v3
	s_and_b64 s[18:19], s[18:19], s[20:21]
	v_cndmask_b32_e64 v2, v2, 0, s[18:19]
	v_or_b32_e32 v30, v2, v4
.LBB2_2384:                             ;   in Loop: Header=BB2_2364 Depth=2
	s_or_b64 exec, exec, s[60:61]
.LBB2_2385:                             ;   in Loop: Header=BB2_2364 Depth=2
	s_or_b64 exec, exec, s[58:59]
                                        ; implicit-def: $vgpr2
.LBB2_2386:                             ;   in Loop: Header=BB2_2364 Depth=2
	s_andn2_saveexec_b64 s[20:21], s[56:57]
; %bb.2387:                             ;   in Loop: Header=BB2_2364 Depth=2
	v_or_b32_sdwa v2, v2, s69 dst_sel:DWORD dst_unused:UNUSED_PAD src0_sel:BYTE_3 src1_sel:DWORD
	v_cmp_eq_u64_e64 s[18:19], 0, v[52:53]
	v_cndmask_b32_e64 v30, v2, v30, s[18:19]
; %bb.2388:                             ;   in Loop: Header=BB2_2364 Depth=2
	s_or_b64 exec, exec, s[20:21]
	v_lshrrev_b16_e32 v2, 8, v14
	v_cmp_ne_u16_e64 s[18:19], 0, v2
	v_mov_b32_e32 v3, 0
	v_mov_b32_e32 v4, 0
	s_and_saveexec_b64 s[20:21], s[18:19]
	s_cbranch_execz .LBB2_2394
; %bb.2389:                             ;   in Loop: Header=BB2_2364 Depth=2
	v_cmp_ne_u16_e64 s[18:19], s68, v2
	v_bfrev_b32_e32 v4, 1
	s_and_saveexec_b64 s[56:57], s[18:19]
	s_cbranch_execz .LBB2_2393
; %bb.2390:                             ;   in Loop: Header=BB2_2364 Depth=2
	v_and_b32_e32 v5, 0x7f, v2
	v_cmp_ne_u32_e64 s[18:19], s69, v5
	v_mov_b32_e32 v4, 0x7f800001
	s_and_saveexec_b64 s[58:59], s[18:19]
	s_cbranch_execz .LBB2_2392
; %bb.2391:                             ;   in Loop: Header=BB2_2364 Depth=2
	v_and_b32_e32 v4, 7, v2
	v_ffbh_u32_e32 v6, v4
	v_min_u32_e32 v9, 32, v6
	v_subrev_u32_e32 v6, 28, v9
	v_lshlrev_b64 v[6:7], v6, v[2:3]
	v_lshrrev_b32_e32 v8, 3, v5
	v_sub_u32_e32 v2, 29, v9
	v_and_b32_e32 v6, 7, v6
	v_cmp_gt_u32_e64 s[18:19], 8, v5
	v_cndmask_b32_e64 v2, v8, v2, s[18:19]
	v_cndmask_b32_e64 v4, v4, v6, s[18:19]
	v_lshlrev_b32_e32 v5, 16, v14
	v_lshlrev_b32_e32 v4, 20, v4
	v_and_b32_e32 v5, 0x80000000, v5
	v_lshl_add_u32 v2, v2, 23, v27
	v_or3_b32 v4, v5, v2, v4
.LBB2_2392:                             ;   in Loop: Header=BB2_2364 Depth=2
	s_or_b64 exec, exec, s[58:59]
.LBB2_2393:                             ;   in Loop: Header=BB2_2364 Depth=2
	s_or_b64 exec, exec, s[56:57]
.LBB2_2394:                             ;   in Loop: Header=BB2_2364 Depth=2
	s_or_b64 exec, exec, s[20:21]
	v_lshrrev_b16_e32 v2, 8, v10
	v_cmp_ne_u16_e64 s[18:19], 0, v2
	s_and_saveexec_b64 s[20:21], s[18:19]
	s_cbranch_execz .LBB2_2400
; %bb.2395:                             ;   in Loop: Header=BB2_2364 Depth=2
	v_cmp_ne_u16_e64 s[18:19], s68, v2
	v_bfrev_b32_e32 v3, 1
	s_and_saveexec_b64 s[56:57], s[18:19]
	s_cbranch_execz .LBB2_2399
; %bb.2396:                             ;   in Loop: Header=BB2_2364 Depth=2
	v_and_b32_e32 v5, 0x7f, v2
	v_cmp_ne_u32_e64 s[18:19], s69, v5
	v_mov_b32_e32 v3, 0x7f800001
	s_and_saveexec_b64 s[58:59], s[18:19]
	s_cbranch_execz .LBB2_2398
; %bb.2397:                             ;   in Loop: Header=BB2_2364 Depth=2
	v_and_b32_e32 v6, 7, v2
	v_ffbh_u32_e32 v3, v6
	v_min_u32_e32 v8, 32, v3
	v_subrev_u32_e32 v3, 28, v8
	v_lshlrev_b64 v[2:3], v3, v[2:3]
	v_lshrrev_b32_e32 v7, 3, v5
	v_sub_u32_e32 v3, 29, v8
	v_and_b32_e32 v2, 7, v2
	v_cmp_gt_u32_e64 s[18:19], 8, v5
	v_cndmask_b32_e64 v3, v7, v3, s[18:19]
	v_cndmask_b32_e64 v2, v6, v2, s[18:19]
	v_lshlrev_b32_e32 v5, 16, v10
	v_lshlrev_b32_e32 v2, 20, v2
	v_and_b32_e32 v5, 0x80000000, v5
	v_lshl_add_u32 v3, v3, 23, v27
	v_or3_b32 v3, v5, v3, v2
.LBB2_2398:                             ;   in Loop: Header=BB2_2364 Depth=2
	s_or_b64 exec, exec, s[58:59]
.LBB2_2399:                             ;   in Loop: Header=BB2_2364 Depth=2
	s_or_b64 exec, exec, s[56:57]
.LBB2_2400:                             ;   in Loop: Header=BB2_2364 Depth=2
	s_or_b64 exec, exec, s[20:21]
	v_add_f32_e32 v2, v4, v3
	v_and_b32_sdwa v4, v2, s68 dst_sel:DWORD dst_unused:UNUSED_PAD src0_sel:BYTE_3 src1_sel:DWORD
	v_and_b32_e32 v6, 0x7f800000, v2
	v_mov_b32_e32 v7, v53
	v_and_b32_e32 v52, 0x7fffff, v2
	v_or_b32_e32 v55, 0x7e, v4
	v_cmp_ne_u64_e64 s[18:19], s[38:39], v[6:7]
	s_and_saveexec_b64 s[20:21], s[18:19]
	s_xor_b64 s[56:57], exec, s[20:21]
	s_cbranch_execz .LBB2_2410
; %bb.2401:                             ;   in Loop: Header=BB2_2364 Depth=2
	v_and_b32_e32 v6, 0x7fffffff, v2
	v_mov_b32_e32 v7, v53
	v_cmp_gt_u64_e64 s[18:19], s[40:41], v[6:7]
	s_and_saveexec_b64 s[58:59], s[18:19]
	s_cbranch_execz .LBB2_2409
; %bb.2402:                             ;   in Loop: Header=BB2_2364 Depth=2
	v_cmp_ne_u32_e64 s[18:19], 0, v2
	v_mov_b32_e32 v55, 0
	s_and_saveexec_b64 s[60:61], s[18:19]
	s_cbranch_execz .LBB2_2408
; %bb.2403:                             ;   in Loop: Header=BB2_2364 Depth=2
	v_bfe_u32 v2, v2, 23, 8
	v_sub_u32_e32 v5, 0x79, v2
	v_cmp_gt_u32_e64 s[18:19], s71, v2
	v_add_u32_e32 v3, 0xffffff81, v2
	v_cndmask_b32_e64 v5, 0, v5, s[18:19]
	v_cmp_eq_u32_e64 s[18:19], 0, v2
	v_mov_b32_e32 v2, 0xffffff82
	v_cndmask_b32_e64 v24, v3, v2, s[18:19]
	v_mov_b32_e32 v2, 0x78
	v_or_b32_e32 v6, 0x800000, v52
	v_cndmask_b32_e64 v5, v5, v2, s[18:19]
	v_cndmask_b32_e64 v52, v6, v52, s[18:19]
	v_add_u32_e32 v2, 20, v5
	v_lshlrev_b64 v[2:3], v2, -1
	v_lshrrev_b64 v[8:9], v5, v[52:53]
	v_not_b32_e32 v3, v3
	v_not_b32_e32 v2, v2
	v_add_u32_e32 v6, 19, v5
	v_lshrrev_b32_e32 v28, 23, v8
	v_and_b32_e32 v3, 0, v3
	v_and_b32_e32 v2, v52, v2
	v_lshlrev_b64 v[6:7], v6, 1
	v_add3_u32 v28, v5, v24, v28
	v_bfe_u32 v5, v8, 20, 1
	v_add_u32_e32 v5, -1, v5
	v_cmp_eq_u64_e64 s[18:19], v[2:3], v[6:7]
	v_cndmask_b32_e64 v2, 0, v5, s[18:19]
	v_add_u32_e32 v2, v2, v8
	v_and_b32_e32 v2, 0xfffff, v2
	v_add_co_u32_e64 v2, s[18:19], v2, v8
	v_add_u32_e32 v24, 6, v28
	v_addc_co_u32_e64 v3, s[18:19], 0, v9, s[18:19]
	v_cmp_ne_u32_e64 s[18:19], 0, v24
                                        ; implicit-def: $vgpr5
	s_and_saveexec_b64 s[20:21], s[18:19]
	s_xor_b64 s[20:21], exec, s[20:21]
; %bb.2404:                             ;   in Loop: Header=BB2_2364 Depth=2
	v_cmp_lt_u64_e64 s[18:19], s[44:45], v[2:3]
	v_add_u32_e32 v5, 7, v28
	v_cndmask_b32_e64 v6, 0, 1, s[18:19]
	v_cndmask_b32_e64 v5, v24, v5, s[18:19]
	v_lshrrev_b64 v[2:3], v6, v[2:3]
; %bb.2405:                             ;   in Loop: Header=BB2_2364 Depth=2
	s_andn2_saveexec_b64 s[18:19], s[20:21]
; %bb.2406:                             ;   in Loop: Header=BB2_2364 Depth=2
	v_bfe_u32 v5, v2, 23, 1
; %bb.2407:                             ;   in Loop: Header=BB2_2364 Depth=2
	s_or_b64 exec, exec, s[18:19]
	v_lshrrev_b64 v[2:3], 20, v[2:3]
	v_cmp_gt_i32_e64 s[18:19], 16, v5
	v_cndmask_b32_e64 v3, 0, v3, s[18:19]
	v_cndmask_b32_e64 v2, 7, v2, s[18:19]
	v_cmp_eq_u64_e64 s[20:21], 0, v[2:3]
	v_min_i32_e32 v3, 15, v5
	v_cmp_eq_u32_e64 s[18:19], 0, v5
	v_lshlrev_b32_e32 v3, 3, v3
	v_and_or_b32 v2, v2, 7, v3
	s_and_b64 s[18:19], s[18:19], s[20:21]
	v_cndmask_b32_e64 v2, v2, 0, s[18:19]
	v_or_b32_e32 v55, v2, v4
.LBB2_2408:                             ;   in Loop: Header=BB2_2364 Depth=2
	s_or_b64 exec, exec, s[60:61]
.LBB2_2409:                             ;   in Loop: Header=BB2_2364 Depth=2
	s_or_b64 exec, exec, s[58:59]
                                        ; implicit-def: $vgpr2
.LBB2_2410:                             ;   in Loop: Header=BB2_2364 Depth=2
	s_andn2_saveexec_b64 s[20:21], s[56:57]
; %bb.2411:                             ;   in Loop: Header=BB2_2364 Depth=2
	v_or_b32_sdwa v2, v2, s69 dst_sel:DWORD dst_unused:UNUSED_PAD src0_sel:BYTE_3 src1_sel:DWORD
	v_cmp_eq_u64_e64 s[18:19], 0, v[52:53]
	v_cndmask_b32_e64 v55, v2, v55, s[18:19]
; %bb.2412:                             ;   in Loop: Header=BB2_2364 Depth=2
	s_or_b64 exec, exec, s[20:21]
	v_lshrrev_b32_e32 v2, 16, v14
	v_cmp_ne_u16_sdwa s[18:19], v2, v53 src0_sel:BYTE_0 src1_sel:DWORD
	v_mov_b32_e32 v3, 0
	v_mov_b32_e32 v4, 0
	s_and_saveexec_b64 s[20:21], s[18:19]
	s_cbranch_execz .LBB2_2418
; %bb.2413:                             ;   in Loop: Header=BB2_2364 Depth=2
	v_cmp_ne_u16_sdwa s[18:19], v2, s68 src0_sel:BYTE_0 src1_sel:DWORD
	v_bfrev_b32_e32 v4, 1
	s_and_saveexec_b64 s[56:57], s[18:19]
	s_cbranch_execz .LBB2_2417
; %bb.2414:                             ;   in Loop: Header=BB2_2364 Depth=2
	v_bfe_u32 v5, v14, 16, 7
	v_cmp_ne_u32_e64 s[18:19], s69, v5
	v_mov_b32_e32 v4, 0x7f800001
	s_and_saveexec_b64 s[58:59], s[18:19]
	s_cbranch_execz .LBB2_2416
; %bb.2415:                             ;   in Loop: Header=BB2_2364 Depth=2
	v_and_b32_e32 v4, 7, v2
	v_ffbh_u32_e32 v6, v4
	v_min_u32_e32 v9, 32, v6
	v_subrev_u32_e32 v6, 28, v9
	v_lshlrev_b64 v[6:7], v6, v[2:3]
	v_lshrrev_b32_e32 v8, 3, v5
	v_sub_u32_e32 v7, 29, v9
	v_and_b32_e32 v6, 7, v6
	v_cmp_gt_u32_e64 s[18:19], 8, v5
	v_cndmask_b32_e64 v5, v8, v7, s[18:19]
	v_cndmask_b32_e64 v4, v4, v6, s[18:19]
	v_lshlrev_b32_e32 v2, 24, v2
	v_lshlrev_b32_e32 v4, 20, v4
	v_and_b32_e32 v2, 0x80000000, v2
	v_lshl_add_u32 v5, v5, 23, v27
	v_or3_b32 v4, v2, v5, v4
.LBB2_2416:                             ;   in Loop: Header=BB2_2364 Depth=2
	s_or_b64 exec, exec, s[58:59]
.LBB2_2417:                             ;   in Loop: Header=BB2_2364 Depth=2
	s_or_b64 exec, exec, s[56:57]
.LBB2_2418:                             ;   in Loop: Header=BB2_2364 Depth=2
	s_or_b64 exec, exec, s[20:21]
	v_lshrrev_b32_e32 v2, 16, v10
	v_cmp_ne_u16_sdwa s[18:19], v2, v53 src0_sel:BYTE_0 src1_sel:DWORD
	s_and_saveexec_b64 s[20:21], s[18:19]
	s_cbranch_execz .LBB2_2424
; %bb.2419:                             ;   in Loop: Header=BB2_2364 Depth=2
	v_cmp_ne_u16_sdwa s[18:19], v2, s68 src0_sel:BYTE_0 src1_sel:DWORD
	v_bfrev_b32_e32 v3, 1
	s_and_saveexec_b64 s[56:57], s[18:19]
	s_cbranch_execz .LBB2_2423
; %bb.2420:                             ;   in Loop: Header=BB2_2364 Depth=2
	v_bfe_u32 v5, v10, 16, 7
	v_cmp_ne_u32_e64 s[18:19], s69, v5
	v_mov_b32_e32 v3, 0x7f800001
	s_and_saveexec_b64 s[58:59], s[18:19]
	s_cbranch_execz .LBB2_2422
; %bb.2421:                             ;   in Loop: Header=BB2_2364 Depth=2
	v_and_b32_e32 v6, 7, v2
	v_ffbh_u32_e32 v3, v6
	v_min_u32_e32 v8, 32, v3
	v_subrev_u32_e32 v3, 28, v8
	v_lshlrev_b64 v[2:3], v3, v[2:3]
	v_lshrrev_b32_e32 v7, 3, v5
	v_sub_u32_e32 v3, 29, v8
	v_and_b32_e32 v2, 7, v2
	v_cmp_gt_u32_e64 s[18:19], 8, v5
	v_cndmask_b32_e64 v3, v7, v3, s[18:19]
	v_cndmask_b32_e64 v2, v6, v2, s[18:19]
	v_lshlrev_b32_e32 v5, 8, v10
	v_lshlrev_b32_e32 v2, 20, v2
	v_and_b32_e32 v5, 0x80000000, v5
	v_lshl_add_u32 v3, v3, 23, v27
	v_or3_b32 v3, v5, v3, v2
.LBB2_2422:                             ;   in Loop: Header=BB2_2364 Depth=2
	s_or_b64 exec, exec, s[58:59]
.LBB2_2423:                             ;   in Loop: Header=BB2_2364 Depth=2
	s_or_b64 exec, exec, s[56:57]
.LBB2_2424:                             ;   in Loop: Header=BB2_2364 Depth=2
	s_or_b64 exec, exec, s[20:21]
	v_add_f32_e32 v2, v4, v3
	v_and_b32_sdwa v4, v2, s68 dst_sel:DWORD dst_unused:UNUSED_PAD src0_sel:BYTE_3 src1_sel:DWORD
	v_and_b32_e32 v6, 0x7f800000, v2
	v_mov_b32_e32 v7, v53
	v_and_b32_e32 v52, 0x7fffff, v2
	v_or_b32_e32 v34, 0x7e, v4
	v_cmp_ne_u64_e64 s[18:19], s[38:39], v[6:7]
	s_and_saveexec_b64 s[20:21], s[18:19]
	s_xor_b64 s[56:57], exec, s[20:21]
	s_cbranch_execz .LBB2_2434
; %bb.2425:                             ;   in Loop: Header=BB2_2364 Depth=2
	v_and_b32_e32 v6, 0x7fffffff, v2
	v_mov_b32_e32 v7, v53
	v_cmp_gt_u64_e64 s[18:19], s[40:41], v[6:7]
	s_and_saveexec_b64 s[58:59], s[18:19]
	s_cbranch_execz .LBB2_2433
; %bb.2426:                             ;   in Loop: Header=BB2_2364 Depth=2
	v_cmp_ne_u32_e64 s[18:19], 0, v2
	v_mov_b32_e32 v34, 0
	s_and_saveexec_b64 s[60:61], s[18:19]
	s_cbranch_execz .LBB2_2432
; %bb.2427:                             ;   in Loop: Header=BB2_2364 Depth=2
	v_bfe_u32 v2, v2, 23, 8
	v_sub_u32_e32 v5, 0x79, v2
	v_cmp_gt_u32_e64 s[18:19], s71, v2
	v_add_u32_e32 v3, 0xffffff81, v2
	v_cndmask_b32_e64 v5, 0, v5, s[18:19]
	v_cmp_eq_u32_e64 s[18:19], 0, v2
	v_mov_b32_e32 v2, 0xffffff82
	v_cndmask_b32_e64 v24, v3, v2, s[18:19]
	v_mov_b32_e32 v2, 0x78
	v_or_b32_e32 v6, 0x800000, v52
	v_cndmask_b32_e64 v5, v5, v2, s[18:19]
	v_cndmask_b32_e64 v52, v6, v52, s[18:19]
	v_add_u32_e32 v2, 20, v5
	v_lshlrev_b64 v[2:3], v2, -1
	v_lshrrev_b64 v[8:9], v5, v[52:53]
	v_not_b32_e32 v3, v3
	v_not_b32_e32 v2, v2
	v_add_u32_e32 v6, 19, v5
	v_lshrrev_b32_e32 v28, 23, v8
	v_and_b32_e32 v3, 0, v3
	v_and_b32_e32 v2, v52, v2
	v_lshlrev_b64 v[6:7], v6, 1
	v_add3_u32 v28, v5, v24, v28
	v_bfe_u32 v5, v8, 20, 1
	v_add_u32_e32 v5, -1, v5
	v_cmp_eq_u64_e64 s[18:19], v[2:3], v[6:7]
	v_cndmask_b32_e64 v2, 0, v5, s[18:19]
	v_add_u32_e32 v2, v2, v8
	v_and_b32_e32 v2, 0xfffff, v2
	v_add_co_u32_e64 v2, s[18:19], v2, v8
	v_add_u32_e32 v24, 6, v28
	v_addc_co_u32_e64 v3, s[18:19], 0, v9, s[18:19]
	v_cmp_ne_u32_e64 s[18:19], 0, v24
                                        ; implicit-def: $vgpr5
	s_and_saveexec_b64 s[20:21], s[18:19]
	s_xor_b64 s[20:21], exec, s[20:21]
; %bb.2428:                             ;   in Loop: Header=BB2_2364 Depth=2
	v_cmp_lt_u64_e64 s[18:19], s[44:45], v[2:3]
	v_add_u32_e32 v5, 7, v28
	v_cndmask_b32_e64 v6, 0, 1, s[18:19]
	v_cndmask_b32_e64 v5, v24, v5, s[18:19]
	v_lshrrev_b64 v[2:3], v6, v[2:3]
; %bb.2429:                             ;   in Loop: Header=BB2_2364 Depth=2
	s_andn2_saveexec_b64 s[18:19], s[20:21]
; %bb.2430:                             ;   in Loop: Header=BB2_2364 Depth=2
	v_bfe_u32 v5, v2, 23, 1
; %bb.2431:                             ;   in Loop: Header=BB2_2364 Depth=2
	s_or_b64 exec, exec, s[18:19]
	v_lshrrev_b64 v[2:3], 20, v[2:3]
	v_cmp_gt_i32_e64 s[18:19], 16, v5
	v_cndmask_b32_e64 v3, 0, v3, s[18:19]
	v_cndmask_b32_e64 v2, 7, v2, s[18:19]
	v_cmp_eq_u64_e64 s[20:21], 0, v[2:3]
	v_min_i32_e32 v3, 15, v5
	v_cmp_eq_u32_e64 s[18:19], 0, v5
	v_lshlrev_b32_e32 v3, 3, v3
	v_and_or_b32 v2, v2, 7, v3
	s_and_b64 s[18:19], s[18:19], s[20:21]
	v_cndmask_b32_e64 v2, v2, 0, s[18:19]
	v_or_b32_e32 v34, v2, v4
.LBB2_2432:                             ;   in Loop: Header=BB2_2364 Depth=2
	s_or_b64 exec, exec, s[60:61]
.LBB2_2433:                             ;   in Loop: Header=BB2_2364 Depth=2
	s_or_b64 exec, exec, s[58:59]
                                        ; implicit-def: $vgpr2
.LBB2_2434:                             ;   in Loop: Header=BB2_2364 Depth=2
	s_andn2_saveexec_b64 s[20:21], s[56:57]
; %bb.2435:                             ;   in Loop: Header=BB2_2364 Depth=2
	v_or_b32_sdwa v2, v2, s69 dst_sel:DWORD dst_unused:UNUSED_PAD src0_sel:BYTE_3 src1_sel:DWORD
	v_cmp_eq_u64_e64 s[18:19], 0, v[52:53]
	v_cndmask_b32_e64 v34, v2, v34, s[18:19]
; %bb.2436:                             ;   in Loop: Header=BB2_2364 Depth=2
	s_or_b64 exec, exec, s[20:21]
	v_cmp_lt_u32_e64 s[18:19], s43, v14
	v_mov_b32_e32 v3, 0
	v_mov_b32_e32 v4, 0
	s_and_saveexec_b64 s[20:21], s[18:19]
	s_cbranch_execz .LBB2_2442
; %bb.2437:                             ;   in Loop: Header=BB2_2364 Depth=2
	v_lshrrev_b32_e32 v2, 24, v14
	v_cmp_ne_u32_e64 s[18:19], s68, v2
	v_bfrev_b32_e32 v4, 1
	s_and_saveexec_b64 s[56:57], s[18:19]
	s_cbranch_execz .LBB2_2441
; %bb.2438:                             ;   in Loop: Header=BB2_2364 Depth=2
	v_bfe_u32 v5, v14, 24, 7
	v_cmp_ne_u32_e64 s[18:19], s69, v5
	v_mov_b32_e32 v4, 0x7f800001
	s_and_saveexec_b64 s[58:59], s[18:19]
	s_cbranch_execz .LBB2_2440
; %bb.2439:                             ;   in Loop: Header=BB2_2364 Depth=2
	v_and_b32_e32 v4, 7, v2
	v_ffbh_u32_e32 v6, v4
	v_min_u32_e32 v9, 32, v6
	v_subrev_u32_e32 v6, 28, v9
	v_lshlrev_b64 v[6:7], v6, v[2:3]
	v_lshrrev_b32_e32 v8, 3, v5
	v_sub_u32_e32 v7, 29, v9
	v_and_b32_e32 v6, 7, v6
	v_cmp_gt_u32_e64 s[18:19], 8, v5
	v_cndmask_b32_e64 v5, v8, v7, s[18:19]
	v_cndmask_b32_e64 v4, v4, v6, s[18:19]
	v_lshlrev_b32_e32 v2, 24, v2
	v_lshlrev_b32_e32 v4, 20, v4
	v_and_b32_e32 v2, 0x80000000, v2
	v_lshl_add_u32 v5, v5, 23, v27
	v_or3_b32 v4, v2, v5, v4
.LBB2_2440:                             ;   in Loop: Header=BB2_2364 Depth=2
	s_or_b64 exec, exec, s[58:59]
.LBB2_2441:                             ;   in Loop: Header=BB2_2364 Depth=2
	s_or_b64 exec, exec, s[56:57]
.LBB2_2442:                             ;   in Loop: Header=BB2_2364 Depth=2
	s_or_b64 exec, exec, s[20:21]
	v_cmp_lt_u32_e64 s[18:19], s43, v10
	s_and_saveexec_b64 s[20:21], s[18:19]
	s_cbranch_execz .LBB2_2448
; %bb.2443:                             ;   in Loop: Header=BB2_2364 Depth=2
	v_lshrrev_b32_e32 v2, 24, v10
	v_cmp_ne_u32_e64 s[18:19], s68, v2
	v_bfrev_b32_e32 v3, 1
	s_and_saveexec_b64 s[56:57], s[18:19]
	s_cbranch_execz .LBB2_2447
; %bb.2444:                             ;   in Loop: Header=BB2_2364 Depth=2
	v_bfe_u32 v5, v10, 24, 7
	v_cmp_ne_u32_e64 s[18:19], s69, v5
	v_mov_b32_e32 v3, 0x7f800001
	s_and_saveexec_b64 s[58:59], s[18:19]
	s_cbranch_execz .LBB2_2446
; %bb.2445:                             ;   in Loop: Header=BB2_2364 Depth=2
	v_and_b32_e32 v3, 7, v2
	v_ffbh_u32_e32 v6, v3
	v_min_u32_e32 v9, 32, v6
	v_subrev_u32_e32 v6, 28, v9
	v_lshlrev_b64 v[6:7], v6, v[2:3]
	v_lshrrev_b32_e32 v8, 3, v5
	v_sub_u32_e32 v7, 29, v9
	v_and_b32_e32 v6, 7, v6
	v_cmp_gt_u32_e64 s[18:19], 8, v5
	v_cndmask_b32_e64 v5, v8, v7, s[18:19]
	v_cndmask_b32_e64 v3, v3, v6, s[18:19]
	v_lshlrev_b32_e32 v2, 24, v2
	v_lshlrev_b32_e32 v3, 20, v3
	v_and_b32_e32 v2, 0x80000000, v2
	v_lshl_add_u32 v5, v5, 23, v27
	v_or3_b32 v3, v2, v5, v3
.LBB2_2446:                             ;   in Loop: Header=BB2_2364 Depth=2
	s_or_b64 exec, exec, s[58:59]
.LBB2_2447:                             ;   in Loop: Header=BB2_2364 Depth=2
	s_or_b64 exec, exec, s[56:57]
.LBB2_2448:                             ;   in Loop: Header=BB2_2364 Depth=2
	s_or_b64 exec, exec, s[20:21]
	v_add_f32_e32 v2, v4, v3
	v_and_b32_sdwa v4, v2, s68 dst_sel:DWORD dst_unused:UNUSED_PAD src0_sel:BYTE_3 src1_sel:DWORD
	v_and_b32_e32 v6, 0x7f800000, v2
	v_mov_b32_e32 v7, v53
	v_and_b32_e32 v52, 0x7fffff, v2
	v_or_b32_e32 v35, 0x7e, v4
	v_cmp_ne_u64_e64 s[18:19], s[38:39], v[6:7]
	s_and_saveexec_b64 s[20:21], s[18:19]
	s_xor_b64 s[56:57], exec, s[20:21]
	s_cbranch_execz .LBB2_2458
; %bb.2449:                             ;   in Loop: Header=BB2_2364 Depth=2
	v_and_b32_e32 v6, 0x7fffffff, v2
	v_mov_b32_e32 v7, v53
	v_cmp_gt_u64_e64 s[18:19], s[40:41], v[6:7]
	s_and_saveexec_b64 s[58:59], s[18:19]
	s_cbranch_execz .LBB2_2457
; %bb.2450:                             ;   in Loop: Header=BB2_2364 Depth=2
	v_cmp_ne_u32_e64 s[18:19], 0, v2
	v_mov_b32_e32 v35, 0
	s_and_saveexec_b64 s[60:61], s[18:19]
	s_cbranch_execz .LBB2_2456
; %bb.2451:                             ;   in Loop: Header=BB2_2364 Depth=2
	v_bfe_u32 v2, v2, 23, 8
	v_sub_u32_e32 v5, 0x79, v2
	v_cmp_gt_u32_e64 s[18:19], s71, v2
	v_add_u32_e32 v3, 0xffffff81, v2
	v_cndmask_b32_e64 v5, 0, v5, s[18:19]
	v_cmp_eq_u32_e64 s[18:19], 0, v2
	v_mov_b32_e32 v2, 0xffffff82
	v_cndmask_b32_e64 v24, v3, v2, s[18:19]
	v_mov_b32_e32 v2, 0x78
	v_or_b32_e32 v6, 0x800000, v52
	v_cndmask_b32_e64 v5, v5, v2, s[18:19]
	v_cndmask_b32_e64 v52, v6, v52, s[18:19]
	v_add_u32_e32 v2, 20, v5
	v_lshlrev_b64 v[2:3], v2, -1
	v_lshrrev_b64 v[8:9], v5, v[52:53]
	v_not_b32_e32 v3, v3
	v_not_b32_e32 v2, v2
	v_add_u32_e32 v6, 19, v5
	v_lshrrev_b32_e32 v28, 23, v8
	v_and_b32_e32 v3, 0, v3
	v_and_b32_e32 v2, v52, v2
	v_lshlrev_b64 v[6:7], v6, 1
	v_add3_u32 v28, v5, v24, v28
	v_bfe_u32 v5, v8, 20, 1
	v_add_u32_e32 v5, -1, v5
	v_cmp_eq_u64_e64 s[18:19], v[2:3], v[6:7]
	v_cndmask_b32_e64 v2, 0, v5, s[18:19]
	v_add_u32_e32 v2, v2, v8
	v_and_b32_e32 v2, 0xfffff, v2
	v_add_co_u32_e64 v2, s[18:19], v2, v8
	v_add_u32_e32 v24, 6, v28
	v_addc_co_u32_e64 v3, s[18:19], 0, v9, s[18:19]
	v_cmp_ne_u32_e64 s[18:19], 0, v24
                                        ; implicit-def: $vgpr5
	s_and_saveexec_b64 s[20:21], s[18:19]
	s_xor_b64 s[20:21], exec, s[20:21]
; %bb.2452:                             ;   in Loop: Header=BB2_2364 Depth=2
	v_cmp_lt_u64_e64 s[18:19], s[44:45], v[2:3]
	v_add_u32_e32 v5, 7, v28
	v_cndmask_b32_e64 v6, 0, 1, s[18:19]
	v_cndmask_b32_e64 v5, v24, v5, s[18:19]
	v_lshrrev_b64 v[2:3], v6, v[2:3]
; %bb.2453:                             ;   in Loop: Header=BB2_2364 Depth=2
	s_andn2_saveexec_b64 s[18:19], s[20:21]
; %bb.2454:                             ;   in Loop: Header=BB2_2364 Depth=2
	v_bfe_u32 v5, v2, 23, 1
; %bb.2455:                             ;   in Loop: Header=BB2_2364 Depth=2
	s_or_b64 exec, exec, s[18:19]
	v_lshrrev_b64 v[2:3], 20, v[2:3]
	v_cmp_gt_i32_e64 s[18:19], 16, v5
	v_cndmask_b32_e64 v3, 0, v3, s[18:19]
	v_cndmask_b32_e64 v2, 7, v2, s[18:19]
	v_cmp_eq_u64_e64 s[20:21], 0, v[2:3]
	v_min_i32_e32 v3, 15, v5
	v_cmp_eq_u32_e64 s[18:19], 0, v5
	v_lshlrev_b32_e32 v3, 3, v3
	v_and_or_b32 v2, v2, 7, v3
	s_and_b64 s[18:19], s[18:19], s[20:21]
	v_cndmask_b32_e64 v2, v2, 0, s[18:19]
	v_or_b32_e32 v35, v2, v4
.LBB2_2456:                             ;   in Loop: Header=BB2_2364 Depth=2
	s_or_b64 exec, exec, s[60:61]
.LBB2_2457:                             ;   in Loop: Header=BB2_2364 Depth=2
	s_or_b64 exec, exec, s[58:59]
                                        ; implicit-def: $vgpr2
.LBB2_2458:                             ;   in Loop: Header=BB2_2364 Depth=2
	s_andn2_saveexec_b64 s[20:21], s[56:57]
; %bb.2459:                             ;   in Loop: Header=BB2_2364 Depth=2
	v_or_b32_sdwa v2, v2, s69 dst_sel:DWORD dst_unused:UNUSED_PAD src0_sel:BYTE_3 src1_sel:DWORD
	v_cmp_eq_u64_e64 s[18:19], 0, v[52:53]
	v_cndmask_b32_e64 v35, v2, v35, s[18:19]
; %bb.2460:                             ;   in Loop: Header=BB2_2364 Depth=2
	s_or_b64 exec, exec, s[20:21]
	v_mov_b32_e32 v52, v15
	v_cmp_ne_u16_sdwa s[18:19], v15, v53 src0_sel:BYTE_0 src1_sel:DWORD
	v_mov_b32_e32 v3, 0
	v_mov_b32_e32 v2, 0
	s_and_saveexec_b64 s[20:21], s[18:19]
	s_cbranch_execz .LBB2_2466
; %bb.2461:                             ;   in Loop: Header=BB2_2364 Depth=2
	v_cmp_ne_u16_sdwa s[18:19], v15, s68 src0_sel:BYTE_0 src1_sel:DWORD
	v_bfrev_b32_e32 v2, 1
	s_and_saveexec_b64 s[56:57], s[18:19]
	s_cbranch_execz .LBB2_2465
; %bb.2462:                             ;   in Loop: Header=BB2_2364 Depth=2
	v_and_b32_e32 v4, 0x7f, v15
	v_cmp_ne_u32_e64 s[18:19], s69, v4
	v_mov_b32_e32 v2, 0x7f800001
	s_and_saveexec_b64 s[58:59], s[18:19]
	s_cbranch_execz .LBB2_2464
; %bb.2463:                             ;   in Loop: Header=BB2_2364 Depth=2
	v_and_b32_e32 v2, 7, v15
	v_ffbh_u32_e32 v2, v2
	v_min_u32_e32 v2, 32, v2
	v_subrev_u32_e32 v6, 28, v2
	v_cmp_gt_u32_e64 s[18:19], 8, v4
	v_lshrrev_b32_e32 v5, 3, v4
	v_sub_u32_e32 v2, 29, v2
	v_cndmask_b32_e64 v4, 0, v6, s[18:19]
	v_cndmask_b32_e64 v2, v5, v2, s[18:19]
	v_lshlrev_b64 v[4:5], v4, v[52:53]
	v_lshlrev_b32_e32 v4, 20, v4
	v_lshlrev_b32_e32 v5, 24, v52
	v_and_b32_e32 v4, 0x700000, v4
	v_and_b32_e32 v5, 0x80000000, v5
	v_lshl_add_u32 v2, v2, 23, v27
	v_or3_b32 v2, v5, v2, v4
.LBB2_2464:                             ;   in Loop: Header=BB2_2364 Depth=2
	s_or_b64 exec, exec, s[58:59]
.LBB2_2465:                             ;   in Loop: Header=BB2_2364 Depth=2
	s_or_b64 exec, exec, s[56:57]
.LBB2_2466:                             ;   in Loop: Header=BB2_2364 Depth=2
	s_or_b64 exec, exec, s[20:21]
	v_cmp_ne_u16_sdwa s[18:19], v11, v53 src0_sel:BYTE_0 src1_sel:DWORD
	s_and_saveexec_b64 s[20:21], s[18:19]
	s_cbranch_execz .LBB2_2472
; %bb.2467:                             ;   in Loop: Header=BB2_2364 Depth=2
	v_cmp_ne_u16_sdwa s[18:19], v11, s68 src0_sel:BYTE_0 src1_sel:DWORD
	v_bfrev_b32_e32 v3, 1
	s_and_saveexec_b64 s[56:57], s[18:19]
	s_cbranch_execz .LBB2_2471
; %bb.2468:                             ;   in Loop: Header=BB2_2364 Depth=2
	v_and_b32_e32 v4, 0x7f, v11
	v_cmp_ne_u32_e64 s[18:19], s69, v4
	v_mov_b32_e32 v3, 0x7f800001
	s_and_saveexec_b64 s[58:59], s[18:19]
	s_cbranch_execz .LBB2_2470
; %bb.2469:                             ;   in Loop: Header=BB2_2364 Depth=2
	v_and_b32_e32 v3, 7, v11
	v_ffbh_u32_e32 v3, v3
	v_min_u32_e32 v3, 32, v3
	v_subrev_u32_e32 v8, 28, v3
	v_cmp_gt_u32_e64 s[18:19], 8, v4
	v_mov_b32_e32 v6, v11
	v_mov_b32_e32 v7, v53
	v_lshrrev_b32_e32 v5, 3, v4
	v_sub_u32_e32 v3, 29, v3
	v_cndmask_b32_e64 v4, 0, v8, s[18:19]
	v_cndmask_b32_e64 v3, v5, v3, s[18:19]
	v_lshlrev_b64 v[4:5], v4, v[6:7]
	v_lshlrev_b32_e32 v4, 20, v4
	v_lshlrev_b32_e32 v5, 24, v6
	v_and_b32_e32 v4, 0x700000, v4
	v_and_b32_e32 v5, 0x80000000, v5
	v_lshl_add_u32 v3, v3, 23, v27
	v_or3_b32 v3, v5, v3, v4
.LBB2_2470:                             ;   in Loop: Header=BB2_2364 Depth=2
	s_or_b64 exec, exec, s[58:59]
.LBB2_2471:                             ;   in Loop: Header=BB2_2364 Depth=2
	s_or_b64 exec, exec, s[56:57]
.LBB2_2472:                             ;   in Loop: Header=BB2_2364 Depth=2
	s_or_b64 exec, exec, s[20:21]
	v_add_f32_e32 v5, v2, v3
	v_and_b32_sdwa v4, v5, s68 dst_sel:DWORD dst_unused:UNUSED_PAD src0_sel:BYTE_3 src1_sel:DWORD
	v_and_b32_e32 v6, 0x7f800000, v5
	v_mov_b32_e32 v7, v53
	v_and_b32_e32 v2, 0x7fffff, v5
	v_mov_b32_e32 v3, v53
	v_or_b32_e32 v50, 0x7e, v4
	v_cmp_ne_u64_e64 s[18:19], s[38:39], v[6:7]
	s_and_saveexec_b64 s[20:21], s[18:19]
	s_xor_b64 s[56:57], exec, s[20:21]
	s_cbranch_execz .LBB2_2482
; %bb.2473:                             ;   in Loop: Header=BB2_2364 Depth=2
	v_and_b32_e32 v6, 0x7fffffff, v5
	v_mov_b32_e32 v7, v53
	v_cmp_gt_u64_e64 s[18:19], s[40:41], v[6:7]
	s_and_saveexec_b64 s[58:59], s[18:19]
	s_cbranch_execz .LBB2_2481
; %bb.2474:                             ;   in Loop: Header=BB2_2364 Depth=2
	v_cmp_ne_u32_e64 s[18:19], 0, v5
	v_mov_b32_e32 v50, 0
	s_and_saveexec_b64 s[60:61], s[18:19]
	s_cbranch_execz .LBB2_2480
; %bb.2475:                             ;   in Loop: Header=BB2_2364 Depth=2
	v_bfe_u32 v5, v5, 23, 8
	v_sub_u32_e32 v7, 0x79, v5
	v_cmp_gt_u32_e64 s[18:19], s71, v5
	v_add_u32_e32 v6, 0xffffff81, v5
	v_cndmask_b32_e64 v7, 0, v7, s[18:19]
	v_cmp_eq_u32_e64 s[18:19], 0, v5
	v_mov_b32_e32 v5, 0xffffff82
	v_cndmask_b32_e64 v5, v6, v5, s[18:19]
	v_mov_b32_e32 v6, 0x78
	v_cndmask_b32_e64 v24, v7, v6, s[18:19]
	v_add_u32_e32 v6, 20, v24
	v_or_b32_e32 v8, 0x800000, v2
	v_lshlrev_b64 v[6:7], v6, -1
	v_cndmask_b32_e64 v2, v8, v2, s[18:19]
	v_not_b32_e32 v6, v6
	v_and_b32_e32 v6, v2, v6
	v_lshrrev_b64 v[2:3], v24, v[2:3]
	v_not_b32_e32 v7, v7
	v_add_u32_e32 v8, 19, v24
	v_lshrrev_b32_e32 v28, 23, v2
	v_and_b32_e32 v7, 0, v7
	v_lshlrev_b64 v[8:9], v8, 1
	v_add3_u32 v28, v24, v5, v28
	v_bfe_u32 v5, v2, 20, 1
	v_add_u32_e32 v5, -1, v5
	v_cmp_eq_u64_e64 s[18:19], v[6:7], v[8:9]
	v_cndmask_b32_e64 v5, 0, v5, s[18:19]
	v_add_u32_e32 v5, v5, v2
	v_and_b32_e32 v5, 0xfffff, v5
	v_add_co_u32_e64 v2, s[18:19], v5, v2
	v_add_u32_e32 v24, 6, v28
	v_addc_co_u32_e64 v3, s[18:19], 0, v3, s[18:19]
	v_cmp_ne_u32_e64 s[18:19], 0, v24
                                        ; implicit-def: $vgpr5
	s_and_saveexec_b64 s[20:21], s[18:19]
	s_xor_b64 s[20:21], exec, s[20:21]
; %bb.2476:                             ;   in Loop: Header=BB2_2364 Depth=2
	v_cmp_lt_u64_e64 s[18:19], s[44:45], v[2:3]
	v_add_u32_e32 v5, 7, v28
	v_cndmask_b32_e64 v6, 0, 1, s[18:19]
	v_cndmask_b32_e64 v5, v24, v5, s[18:19]
	v_lshrrev_b64 v[2:3], v6, v[2:3]
; %bb.2477:                             ;   in Loop: Header=BB2_2364 Depth=2
	s_andn2_saveexec_b64 s[18:19], s[20:21]
; %bb.2478:                             ;   in Loop: Header=BB2_2364 Depth=2
	v_bfe_u32 v5, v2, 23, 1
; %bb.2479:                             ;   in Loop: Header=BB2_2364 Depth=2
	s_or_b64 exec, exec, s[18:19]
	v_lshrrev_b64 v[2:3], 20, v[2:3]
	v_cmp_gt_i32_e64 s[18:19], 16, v5
	v_cndmask_b32_e64 v3, 0, v3, s[18:19]
	v_cndmask_b32_e64 v2, 7, v2, s[18:19]
	v_cmp_eq_u64_e64 s[20:21], 0, v[2:3]
	v_min_i32_e32 v3, 15, v5
	v_cmp_eq_u32_e64 s[18:19], 0, v5
	v_lshlrev_b32_e32 v3, 3, v3
	v_and_or_b32 v2, v2, 7, v3
	s_and_b64 s[18:19], s[18:19], s[20:21]
	v_cndmask_b32_e64 v2, v2, 0, s[18:19]
	v_or_b32_e32 v50, v2, v4
.LBB2_2480:                             ;   in Loop: Header=BB2_2364 Depth=2
	s_or_b64 exec, exec, s[60:61]
.LBB2_2481:                             ;   in Loop: Header=BB2_2364 Depth=2
	s_or_b64 exec, exec, s[58:59]
                                        ; implicit-def: $vgpr5
                                        ; implicit-def: $vgpr2_vgpr3
.LBB2_2482:                             ;   in Loop: Header=BB2_2364 Depth=2
	s_andn2_saveexec_b64 s[20:21], s[56:57]
; %bb.2483:                             ;   in Loop: Header=BB2_2364 Depth=2
	v_or_b32_sdwa v4, v5, s69 dst_sel:DWORD dst_unused:UNUSED_PAD src0_sel:BYTE_3 src1_sel:DWORD
	v_cmp_eq_u64_e64 s[18:19], 0, v[2:3]
	v_cndmask_b32_e64 v50, v4, v50, s[18:19]
; %bb.2484:                             ;   in Loop: Header=BB2_2364 Depth=2
	s_or_b64 exec, exec, s[20:21]
	v_lshrrev_b16_e32 v2, 8, v52
	v_cmp_ne_u16_e64 s[18:19], 0, v2
	v_mov_b32_e32 v3, 0
	v_mov_b32_e32 v4, 0
	s_and_saveexec_b64 s[20:21], s[18:19]
	s_cbranch_execz .LBB2_2490
; %bb.2485:                             ;   in Loop: Header=BB2_2364 Depth=2
	v_cmp_ne_u16_e64 s[18:19], s68, v2
	v_bfrev_b32_e32 v4, 1
	s_and_saveexec_b64 s[56:57], s[18:19]
	s_cbranch_execz .LBB2_2489
; %bb.2486:                             ;   in Loop: Header=BB2_2364 Depth=2
	v_and_b32_e32 v5, 0x7f, v2
	v_cmp_ne_u32_e64 s[18:19], s69, v5
	v_mov_b32_e32 v4, 0x7f800001
	s_and_saveexec_b64 s[58:59], s[18:19]
	s_cbranch_execz .LBB2_2488
; %bb.2487:                             ;   in Loop: Header=BB2_2364 Depth=2
	v_and_b32_e32 v4, 7, v2
	v_ffbh_u32_e32 v6, v4
	v_min_u32_e32 v9, 32, v6
	v_subrev_u32_e32 v6, 28, v9
	v_lshlrev_b64 v[6:7], v6, v[2:3]
	v_lshrrev_b32_e32 v8, 3, v5
	v_sub_u32_e32 v2, 29, v9
	v_and_b32_e32 v6, 7, v6
	v_cmp_gt_u32_e64 s[18:19], 8, v5
	v_cndmask_b32_e64 v2, v8, v2, s[18:19]
	v_cndmask_b32_e64 v4, v4, v6, s[18:19]
	v_lshlrev_b32_e32 v5, 16, v52
	v_lshlrev_b32_e32 v4, 20, v4
	v_and_b32_e32 v5, 0x80000000, v5
	v_lshl_add_u32 v2, v2, 23, v27
	v_or3_b32 v4, v5, v2, v4
.LBB2_2488:                             ;   in Loop: Header=BB2_2364 Depth=2
	s_or_b64 exec, exec, s[58:59]
.LBB2_2489:                             ;   in Loop: Header=BB2_2364 Depth=2
	s_or_b64 exec, exec, s[56:57]
.LBB2_2490:                             ;   in Loop: Header=BB2_2364 Depth=2
	s_or_b64 exec, exec, s[20:21]
	v_mov_b32_e32 v2, v11
	v_lshrrev_b16_e32 v24, 8, v2
	v_cmp_ne_u16_e64 s[18:19], 0, v24
	s_and_saveexec_b64 s[20:21], s[18:19]
	s_cbranch_execz .LBB2_2496
; %bb.2491:                             ;   in Loop: Header=BB2_2364 Depth=2
	v_cmp_ne_u16_e64 s[18:19], s68, v24
	v_bfrev_b32_e32 v3, 1
	s_and_saveexec_b64 s[56:57], s[18:19]
	s_cbranch_execz .LBB2_2495
; %bb.2492:                             ;   in Loop: Header=BB2_2364 Depth=2
	v_and_b32_e32 v5, 0x7f, v24
	v_cmp_ne_u32_e64 s[18:19], s69, v5
	v_mov_b32_e32 v3, 0x7f800001
	s_and_saveexec_b64 s[58:59], s[18:19]
	s_cbranch_execz .LBB2_2494
; %bb.2493:                             ;   in Loop: Header=BB2_2364 Depth=2
	v_and_b32_e32 v3, 7, v24
	v_ffbh_u32_e32 v6, v3
	v_min_u32_e32 v9, 32, v6
	v_subrev_u32_e32 v6, 28, v9
	v_lshlrev_b64 v[6:7], v6, v[24:25]
	v_lshrrev_b32_e32 v8, 3, v5
	v_sub_u32_e32 v7, 29, v9
	v_and_b32_e32 v6, 7, v6
	v_cmp_gt_u32_e64 s[18:19], 8, v5
	v_cndmask_b32_e64 v5, v8, v7, s[18:19]
	v_cndmask_b32_e64 v3, v3, v6, s[18:19]
	v_lshlrev_b32_e32 v2, 16, v2
	v_lshlrev_b32_e32 v3, 20, v3
	v_and_b32_e32 v2, 0x80000000, v2
	v_lshl_add_u32 v5, v5, 23, v27
	v_or3_b32 v3, v2, v5, v3
.LBB2_2494:                             ;   in Loop: Header=BB2_2364 Depth=2
	s_or_b64 exec, exec, s[58:59]
.LBB2_2495:                             ;   in Loop: Header=BB2_2364 Depth=2
	s_or_b64 exec, exec, s[56:57]
.LBB2_2496:                             ;   in Loop: Header=BB2_2364 Depth=2
	s_or_b64 exec, exec, s[20:21]
	v_add_f32_e32 v2, v4, v3
	v_and_b32_sdwa v4, v2, s68 dst_sel:DWORD dst_unused:UNUSED_PAD src0_sel:BYTE_3 src1_sel:DWORD
	v_and_b32_e32 v6, 0x7f800000, v2
	v_mov_b32_e32 v7, v53
	v_and_b32_e32 v52, 0x7fffff, v2
	v_or_b32_e32 v24, 0x7e, v4
	v_cmp_ne_u64_e64 s[18:19], s[38:39], v[6:7]
	s_and_saveexec_b64 s[20:21], s[18:19]
	s_xor_b64 s[56:57], exec, s[20:21]
	s_cbranch_execz .LBB2_2506
; %bb.2497:                             ;   in Loop: Header=BB2_2364 Depth=2
	v_and_b32_e32 v6, 0x7fffffff, v2
	v_mov_b32_e32 v7, v53
	v_cmp_gt_u64_e64 s[18:19], s[40:41], v[6:7]
	s_and_saveexec_b64 s[58:59], s[18:19]
	s_cbranch_execz .LBB2_2505
; %bb.2498:                             ;   in Loop: Header=BB2_2364 Depth=2
	v_cmp_ne_u32_e64 s[18:19], 0, v2
	v_mov_b32_e32 v24, 0
	s_and_saveexec_b64 s[60:61], s[18:19]
	s_cbranch_execz .LBB2_2504
; %bb.2499:                             ;   in Loop: Header=BB2_2364 Depth=2
	v_bfe_u32 v2, v2, 23, 8
	v_sub_u32_e32 v5, 0x79, v2
	v_cmp_gt_u32_e64 s[18:19], s71, v2
	v_add_u32_e32 v3, 0xffffff81, v2
	v_cndmask_b32_e64 v5, 0, v5, s[18:19]
	v_cmp_eq_u32_e64 s[18:19], 0, v2
	v_mov_b32_e32 v2, 0xffffff82
	v_cndmask_b32_e64 v24, v3, v2, s[18:19]
	v_mov_b32_e32 v2, 0x78
	v_or_b32_e32 v6, 0x800000, v52
	v_cndmask_b32_e64 v5, v5, v2, s[18:19]
	v_cndmask_b32_e64 v52, v6, v52, s[18:19]
	v_add_u32_e32 v2, 20, v5
	v_lshlrev_b64 v[2:3], v2, -1
	v_lshrrev_b64 v[8:9], v5, v[52:53]
	v_not_b32_e32 v3, v3
	v_not_b32_e32 v2, v2
	v_add_u32_e32 v6, 19, v5
	v_lshrrev_b32_e32 v28, 23, v8
	v_and_b32_e32 v3, 0, v3
	v_and_b32_e32 v2, v52, v2
	v_lshlrev_b64 v[6:7], v6, 1
	v_add3_u32 v28, v5, v24, v28
	v_bfe_u32 v5, v8, 20, 1
	v_add_u32_e32 v5, -1, v5
	v_cmp_eq_u64_e64 s[18:19], v[2:3], v[6:7]
	v_cndmask_b32_e64 v2, 0, v5, s[18:19]
	v_add_u32_e32 v2, v2, v8
	v_and_b32_e32 v2, 0xfffff, v2
	v_add_co_u32_e64 v2, s[18:19], v2, v8
	v_add_u32_e32 v24, 6, v28
	v_addc_co_u32_e64 v3, s[18:19], 0, v9, s[18:19]
	v_cmp_ne_u32_e64 s[18:19], 0, v24
                                        ; implicit-def: $vgpr5
	s_and_saveexec_b64 s[20:21], s[18:19]
	s_xor_b64 s[20:21], exec, s[20:21]
; %bb.2500:                             ;   in Loop: Header=BB2_2364 Depth=2
	v_cmp_lt_u64_e64 s[18:19], s[44:45], v[2:3]
	v_add_u32_e32 v5, 7, v28
	v_cndmask_b32_e64 v6, 0, 1, s[18:19]
	v_cndmask_b32_e64 v5, v24, v5, s[18:19]
	v_lshrrev_b64 v[2:3], v6, v[2:3]
; %bb.2501:                             ;   in Loop: Header=BB2_2364 Depth=2
	s_andn2_saveexec_b64 s[18:19], s[20:21]
; %bb.2502:                             ;   in Loop: Header=BB2_2364 Depth=2
	v_bfe_u32 v5, v2, 23, 1
; %bb.2503:                             ;   in Loop: Header=BB2_2364 Depth=2
	s_or_b64 exec, exec, s[18:19]
	v_lshrrev_b64 v[2:3], 20, v[2:3]
	v_cmp_gt_i32_e64 s[18:19], 16, v5
	v_cndmask_b32_e64 v3, 0, v3, s[18:19]
	v_cndmask_b32_e64 v2, 7, v2, s[18:19]
	v_cmp_eq_u64_e64 s[20:21], 0, v[2:3]
	v_min_i32_e32 v3, 15, v5
	v_cmp_eq_u32_e64 s[18:19], 0, v5
	v_lshlrev_b32_e32 v3, 3, v3
	v_and_or_b32 v2, v2, 7, v3
	s_and_b64 s[18:19], s[18:19], s[20:21]
	v_cndmask_b32_e64 v2, v2, 0, s[18:19]
	v_or_b32_e32 v24, v2, v4
.LBB2_2504:                             ;   in Loop: Header=BB2_2364 Depth=2
	s_or_b64 exec, exec, s[60:61]
.LBB2_2505:                             ;   in Loop: Header=BB2_2364 Depth=2
	s_or_b64 exec, exec, s[58:59]
                                        ; implicit-def: $vgpr2
.LBB2_2506:                             ;   in Loop: Header=BB2_2364 Depth=2
	s_andn2_saveexec_b64 s[20:21], s[56:57]
; %bb.2507:                             ;   in Loop: Header=BB2_2364 Depth=2
	v_or_b32_sdwa v2, v2, s69 dst_sel:DWORD dst_unused:UNUSED_PAD src0_sel:BYTE_3 src1_sel:DWORD
	v_cmp_eq_u64_e64 s[18:19], 0, v[52:53]
	v_cndmask_b32_e64 v24, v2, v24, s[18:19]
; %bb.2508:                             ;   in Loop: Header=BB2_2364 Depth=2
	s_or_b64 exec, exec, s[20:21]
	v_lshrrev_b32_e32 v2, 16, v15
	v_cmp_ne_u16_sdwa s[18:19], v2, v53 src0_sel:BYTE_0 src1_sel:DWORD
	v_mov_b32_e32 v3, 0
	v_mov_b32_e32 v4, 0
	s_and_saveexec_b64 s[20:21], s[18:19]
	s_cbranch_execz .LBB2_2514
; %bb.2509:                             ;   in Loop: Header=BB2_2364 Depth=2
	v_cmp_ne_u16_sdwa s[18:19], v2, s68 src0_sel:BYTE_0 src1_sel:DWORD
	v_bfrev_b32_e32 v4, 1
	s_and_saveexec_b64 s[56:57], s[18:19]
	s_cbranch_execz .LBB2_2513
; %bb.2510:                             ;   in Loop: Header=BB2_2364 Depth=2
	v_bfe_u32 v5, v15, 16, 7
	v_cmp_ne_u32_e64 s[18:19], s69, v5
	v_mov_b32_e32 v4, 0x7f800001
	s_and_saveexec_b64 s[58:59], s[18:19]
	s_cbranch_execz .LBB2_2512
; %bb.2511:                             ;   in Loop: Header=BB2_2364 Depth=2
	v_and_b32_e32 v4, 7, v2
	v_ffbh_u32_e32 v6, v4
	v_min_u32_e32 v9, 32, v6
	v_subrev_u32_e32 v6, 28, v9
	v_lshlrev_b64 v[6:7], v6, v[2:3]
	v_lshrrev_b32_e32 v8, 3, v5
	v_sub_u32_e32 v7, 29, v9
	v_and_b32_e32 v6, 7, v6
	v_cmp_gt_u32_e64 s[18:19], 8, v5
	v_cndmask_b32_e64 v5, v8, v7, s[18:19]
	v_cndmask_b32_e64 v4, v4, v6, s[18:19]
	v_lshlrev_b32_e32 v2, 24, v2
	v_lshlrev_b32_e32 v4, 20, v4
	v_and_b32_e32 v2, 0x80000000, v2
	v_lshl_add_u32 v5, v5, 23, v27
	v_or3_b32 v4, v2, v5, v4
.LBB2_2512:                             ;   in Loop: Header=BB2_2364 Depth=2
	s_or_b64 exec, exec, s[58:59]
.LBB2_2513:                             ;   in Loop: Header=BB2_2364 Depth=2
	s_or_b64 exec, exec, s[56:57]
.LBB2_2514:                             ;   in Loop: Header=BB2_2364 Depth=2
	s_or_b64 exec, exec, s[20:21]
	v_lshrrev_b32_e32 v2, 16, v11
	v_cmp_ne_u16_sdwa s[18:19], v2, v53 src0_sel:BYTE_0 src1_sel:DWORD
	s_and_saveexec_b64 s[20:21], s[18:19]
	s_cbranch_execz .LBB2_2520
; %bb.2515:                             ;   in Loop: Header=BB2_2364 Depth=2
	v_cmp_ne_u16_sdwa s[18:19], v2, s68 src0_sel:BYTE_0 src1_sel:DWORD
	v_bfrev_b32_e32 v3, 1
	s_and_saveexec_b64 s[56:57], s[18:19]
	s_cbranch_execz .LBB2_2519
; %bb.2516:                             ;   in Loop: Header=BB2_2364 Depth=2
	v_bfe_u32 v5, v11, 16, 7
	v_cmp_ne_u32_e64 s[18:19], s69, v5
	v_mov_b32_e32 v3, 0x7f800001
	s_and_saveexec_b64 s[58:59], s[18:19]
	s_cbranch_execz .LBB2_2518
; %bb.2517:                             ;   in Loop: Header=BB2_2364 Depth=2
	v_and_b32_e32 v6, 7, v2
	v_ffbh_u32_e32 v3, v6
	v_min_u32_e32 v8, 32, v3
	v_subrev_u32_e32 v3, 28, v8
	v_lshlrev_b64 v[2:3], v3, v[2:3]
	v_lshrrev_b32_e32 v7, 3, v5
	v_sub_u32_e32 v3, 29, v8
	v_and_b32_e32 v2, 7, v2
	v_cmp_gt_u32_e64 s[18:19], 8, v5
	v_cndmask_b32_e64 v3, v7, v3, s[18:19]
	v_cndmask_b32_e64 v2, v6, v2, s[18:19]
	v_lshlrev_b32_e32 v5, 8, v11
	v_lshlrev_b32_e32 v2, 20, v2
	v_and_b32_e32 v5, 0x80000000, v5
	v_lshl_add_u32 v3, v3, 23, v27
	v_or3_b32 v3, v5, v3, v2
.LBB2_2518:                             ;   in Loop: Header=BB2_2364 Depth=2
	s_or_b64 exec, exec, s[58:59]
.LBB2_2519:                             ;   in Loop: Header=BB2_2364 Depth=2
	s_or_b64 exec, exec, s[56:57]
.LBB2_2520:                             ;   in Loop: Header=BB2_2364 Depth=2
	s_or_b64 exec, exec, s[20:21]
	v_add_f32_e32 v2, v4, v3
	v_and_b32_sdwa v4, v2, s68 dst_sel:DWORD dst_unused:UNUSED_PAD src0_sel:BYTE_3 src1_sel:DWORD
	v_and_b32_e32 v6, 0x7f800000, v2
	v_mov_b32_e32 v7, v53
	v_and_b32_e32 v52, 0x7fffff, v2
	v_or_b32_e32 v28, 0x7e, v4
	v_cmp_ne_u64_e64 s[18:19], s[38:39], v[6:7]
	s_and_saveexec_b64 s[20:21], s[18:19]
	s_xor_b64 s[56:57], exec, s[20:21]
	s_cbranch_execz .LBB2_2530
; %bb.2521:                             ;   in Loop: Header=BB2_2364 Depth=2
	v_and_b32_e32 v6, 0x7fffffff, v2
	v_mov_b32_e32 v7, v53
	v_cmp_gt_u64_e64 s[18:19], s[40:41], v[6:7]
	s_and_saveexec_b64 s[58:59], s[18:19]
	s_cbranch_execz .LBB2_2529
; %bb.2522:                             ;   in Loop: Header=BB2_2364 Depth=2
	v_cmp_ne_u32_e64 s[18:19], 0, v2
	v_mov_b32_e32 v28, 0
	s_and_saveexec_b64 s[60:61], s[18:19]
	s_cbranch_execz .LBB2_2528
; %bb.2523:                             ;   in Loop: Header=BB2_2364 Depth=2
	v_bfe_u32 v2, v2, 23, 8
	v_sub_u32_e32 v5, 0x79, v2
	v_cmp_gt_u32_e64 s[18:19], s71, v2
	v_add_u32_e32 v3, 0xffffff81, v2
	v_cndmask_b32_e64 v5, 0, v5, s[18:19]
	v_cmp_eq_u32_e64 s[18:19], 0, v2
	v_mov_b32_e32 v2, 0xffffff82
	v_cndmask_b32_e64 v28, v3, v2, s[18:19]
	v_mov_b32_e32 v2, 0x78
	v_or_b32_e32 v6, 0x800000, v52
	v_cndmask_b32_e64 v5, v5, v2, s[18:19]
	v_cndmask_b32_e64 v52, v6, v52, s[18:19]
	v_add_u32_e32 v2, 20, v5
	v_lshlrev_b64 v[2:3], v2, -1
	v_lshrrev_b64 v[8:9], v5, v[52:53]
	v_not_b32_e32 v3, v3
	v_not_b32_e32 v2, v2
	v_add_u32_e32 v6, 19, v5
	v_lshrrev_b32_e32 v29, 23, v8
	v_and_b32_e32 v3, 0, v3
	v_and_b32_e32 v2, v52, v2
	v_lshlrev_b64 v[6:7], v6, 1
	v_add3_u32 v29, v5, v28, v29
	v_bfe_u32 v5, v8, 20, 1
	v_add_u32_e32 v5, -1, v5
	v_cmp_eq_u64_e64 s[18:19], v[2:3], v[6:7]
	v_cndmask_b32_e64 v2, 0, v5, s[18:19]
	v_add_u32_e32 v2, v2, v8
	v_and_b32_e32 v2, 0xfffff, v2
	v_add_co_u32_e64 v2, s[18:19], v2, v8
	v_add_u32_e32 v28, 6, v29
	v_addc_co_u32_e64 v3, s[18:19], 0, v9, s[18:19]
	v_cmp_ne_u32_e64 s[18:19], 0, v28
                                        ; implicit-def: $vgpr5
	s_and_saveexec_b64 s[20:21], s[18:19]
	s_xor_b64 s[20:21], exec, s[20:21]
; %bb.2524:                             ;   in Loop: Header=BB2_2364 Depth=2
	v_cmp_lt_u64_e64 s[18:19], s[44:45], v[2:3]
	v_add_u32_e32 v5, 7, v29
	v_cndmask_b32_e64 v6, 0, 1, s[18:19]
	v_cndmask_b32_e64 v5, v28, v5, s[18:19]
	v_lshrrev_b64 v[2:3], v6, v[2:3]
; %bb.2525:                             ;   in Loop: Header=BB2_2364 Depth=2
	s_andn2_saveexec_b64 s[18:19], s[20:21]
; %bb.2526:                             ;   in Loop: Header=BB2_2364 Depth=2
	v_bfe_u32 v5, v2, 23, 1
; %bb.2527:                             ;   in Loop: Header=BB2_2364 Depth=2
	s_or_b64 exec, exec, s[18:19]
	v_lshrrev_b64 v[2:3], 20, v[2:3]
	v_cmp_gt_i32_e64 s[18:19], 16, v5
	v_cndmask_b32_e64 v3, 0, v3, s[18:19]
	v_cndmask_b32_e64 v2, 7, v2, s[18:19]
	v_cmp_eq_u64_e64 s[20:21], 0, v[2:3]
	v_min_i32_e32 v3, 15, v5
	v_lshlrev_b32_e32 v3, 3, v3
	v_cmp_eq_u32_e64 s[18:19], 0, v5
	v_and_b32_e32 v3, 0xf8, v3
	v_and_or_b32 v2, v2, 7, v3
	s_and_b64 s[18:19], s[18:19], s[20:21]
	v_cndmask_b32_e64 v2, v2, 0, s[18:19]
	v_or_b32_e32 v28, v2, v4
.LBB2_2528:                             ;   in Loop: Header=BB2_2364 Depth=2
	s_or_b64 exec, exec, s[60:61]
.LBB2_2529:                             ;   in Loop: Header=BB2_2364 Depth=2
	s_or_b64 exec, exec, s[58:59]
                                        ; implicit-def: $vgpr2
.LBB2_2530:                             ;   in Loop: Header=BB2_2364 Depth=2
	s_andn2_saveexec_b64 s[20:21], s[56:57]
; %bb.2531:                             ;   in Loop: Header=BB2_2364 Depth=2
	v_or_b32_sdwa v2, v2, s69 dst_sel:DWORD dst_unused:UNUSED_PAD src0_sel:BYTE_3 src1_sel:DWORD
	v_cmp_eq_u64_e64 s[18:19], 0, v[52:53]
	v_cndmask_b32_e64 v28, v2, v28, s[18:19]
; %bb.2532:                             ;   in Loop: Header=BB2_2364 Depth=2
	s_or_b64 exec, exec, s[20:21]
	v_cmp_lt_u64_e64 s[18:19], s[42:43], v[14:15]
	v_mov_b32_e32 v3, 0
	v_mov_b32_e32 v4, 0
	s_and_saveexec_b64 s[20:21], s[18:19]
	s_cbranch_execz .LBB2_2538
; %bb.2533:                             ;   in Loop: Header=BB2_2364 Depth=2
	v_lshrrev_b32_e32 v2, 24, v15
	v_cmp_ne_u32_e64 s[18:19], s68, v2
	v_bfrev_b32_e32 v4, 1
	s_and_saveexec_b64 s[56:57], s[18:19]
	s_cbranch_execz .LBB2_2537
; %bb.2534:                             ;   in Loop: Header=BB2_2364 Depth=2
	v_bfe_u32 v5, v15, 24, 7
	v_cmp_ne_u32_e64 s[18:19], s69, v5
	v_mov_b32_e32 v4, 0x7f800001
	s_and_saveexec_b64 s[58:59], s[18:19]
	s_cbranch_execz .LBB2_2536
; %bb.2535:                             ;   in Loop: Header=BB2_2364 Depth=2
	v_and_b32_e32 v4, 7, v2
	v_ffbh_u32_e32 v6, v4
	v_min_u32_e32 v9, 32, v6
	v_subrev_u32_e32 v6, 28, v9
	v_lshlrev_b64 v[6:7], v6, v[2:3]
	v_lshrrev_b32_e32 v8, 3, v5
	v_sub_u32_e32 v7, 29, v9
	v_and_b32_e32 v6, 7, v6
	v_cmp_gt_u32_e64 s[18:19], 8, v5
	v_cndmask_b32_e64 v5, v8, v7, s[18:19]
	v_cndmask_b32_e64 v4, v4, v6, s[18:19]
	v_lshlrev_b32_e32 v2, 24, v2
	v_lshlrev_b32_e32 v4, 20, v4
	v_and_b32_e32 v2, 0x80000000, v2
	v_lshl_add_u32 v5, v5, 23, v27
	v_or3_b32 v4, v2, v5, v4
.LBB2_2536:                             ;   in Loop: Header=BB2_2364 Depth=2
	s_or_b64 exec, exec, s[58:59]
.LBB2_2537:                             ;   in Loop: Header=BB2_2364 Depth=2
	s_or_b64 exec, exec, s[56:57]
.LBB2_2538:                             ;   in Loop: Header=BB2_2364 Depth=2
	s_or_b64 exec, exec, s[20:21]
	v_cmp_lt_u64_e64 s[18:19], s[42:43], v[10:11]
	s_and_saveexec_b64 s[20:21], s[18:19]
	s_cbranch_execz .LBB2_2544
; %bb.2539:                             ;   in Loop: Header=BB2_2364 Depth=2
	v_lshrrev_b32_e32 v2, 24, v11
	v_cmp_ne_u32_e64 s[18:19], s68, v2
	v_bfrev_b32_e32 v3, 1
	s_and_saveexec_b64 s[56:57], s[18:19]
	s_cbranch_execz .LBB2_2543
; %bb.2540:                             ;   in Loop: Header=BB2_2364 Depth=2
	v_bfe_u32 v5, v11, 24, 7
	v_cmp_ne_u32_e64 s[18:19], s69, v5
	v_mov_b32_e32 v3, 0x7f800001
	s_and_saveexec_b64 s[58:59], s[18:19]
	s_cbranch_execz .LBB2_2542
; %bb.2541:                             ;   in Loop: Header=BB2_2364 Depth=2
	v_and_b32_e32 v3, 7, v2
	v_ffbh_u32_e32 v6, v3
	v_min_u32_e32 v9, 32, v6
	v_subrev_u32_e32 v6, 28, v9
	v_lshlrev_b64 v[6:7], v6, v[2:3]
	v_lshrrev_b32_e32 v8, 3, v5
	v_sub_u32_e32 v7, 29, v9
	v_and_b32_e32 v6, 7, v6
	v_cmp_gt_u32_e64 s[18:19], 8, v5
	v_cndmask_b32_e64 v5, v8, v7, s[18:19]
	v_cndmask_b32_e64 v3, v3, v6, s[18:19]
	v_lshlrev_b32_e32 v2, 24, v2
	v_lshlrev_b32_e32 v3, 20, v3
	v_and_b32_e32 v2, 0x80000000, v2
	v_lshl_add_u32 v5, v5, 23, v27
	v_or3_b32 v3, v2, v5, v3
.LBB2_2542:                             ;   in Loop: Header=BB2_2364 Depth=2
	s_or_b64 exec, exec, s[58:59]
.LBB2_2543:                             ;   in Loop: Header=BB2_2364 Depth=2
	s_or_b64 exec, exec, s[56:57]
.LBB2_2544:                             ;   in Loop: Header=BB2_2364 Depth=2
	s_or_b64 exec, exec, s[20:21]
	v_add_f32_e32 v2, v4, v3
	v_and_b32_sdwa v4, v2, s68 dst_sel:DWORD dst_unused:UNUSED_PAD src0_sel:BYTE_3 src1_sel:DWORD
	v_and_b32_e32 v6, 0x7f800000, v2
	v_mov_b32_e32 v7, v53
	v_and_b32_e32 v52, 0x7fffff, v2
	v_or_b32_e32 v11, 0x7e, v4
	v_cmp_ne_u64_e64 s[18:19], s[38:39], v[6:7]
	s_and_saveexec_b64 s[20:21], s[18:19]
	s_xor_b64 s[56:57], exec, s[20:21]
	s_cbranch_execz .LBB2_2554
; %bb.2545:                             ;   in Loop: Header=BB2_2364 Depth=2
	v_and_b32_e32 v6, 0x7fffffff, v2
	v_mov_b32_e32 v7, v53
	v_cmp_gt_u64_e64 s[18:19], s[40:41], v[6:7]
	s_and_saveexec_b64 s[58:59], s[18:19]
	s_cbranch_execz .LBB2_2553
; %bb.2546:                             ;   in Loop: Header=BB2_2364 Depth=2
	v_cmp_ne_u32_e64 s[18:19], 0, v2
	v_mov_b32_e32 v11, 0
	s_and_saveexec_b64 s[60:61], s[18:19]
	s_cbranch_execz .LBB2_2552
; %bb.2547:                             ;   in Loop: Header=BB2_2364 Depth=2
	v_bfe_u32 v2, v2, 23, 8
	v_sub_u32_e32 v5, 0x79, v2
	v_cmp_gt_u32_e64 s[18:19], s71, v2
	v_add_u32_e32 v3, 0xffffff81, v2
	v_cndmask_b32_e64 v5, 0, v5, s[18:19]
	v_cmp_eq_u32_e64 s[18:19], 0, v2
	v_mov_b32_e32 v2, 0xffffff82
	v_cndmask_b32_e64 v10, v3, v2, s[18:19]
	v_mov_b32_e32 v2, 0x78
	v_or_b32_e32 v6, 0x800000, v52
	v_cndmask_b32_e64 v5, v5, v2, s[18:19]
	v_cndmask_b32_e64 v52, v6, v52, s[18:19]
	v_add_u32_e32 v2, 20, v5
	v_lshlrev_b64 v[2:3], v2, -1
	v_lshrrev_b64 v[8:9], v5, v[52:53]
	v_not_b32_e32 v3, v3
	v_not_b32_e32 v2, v2
	v_add_u32_e32 v6, 19, v5
	v_lshrrev_b32_e32 v11, 23, v8
	v_and_b32_e32 v3, 0, v3
	v_and_b32_e32 v2, v52, v2
	v_lshlrev_b64 v[6:7], v6, 1
	v_add3_u32 v11, v5, v10, v11
	v_bfe_u32 v5, v8, 20, 1
	v_add_u32_e32 v5, -1, v5
	v_cmp_eq_u64_e64 s[18:19], v[2:3], v[6:7]
	v_cndmask_b32_e64 v2, 0, v5, s[18:19]
	v_add_u32_e32 v2, v2, v8
	v_and_b32_e32 v2, 0xfffff, v2
	v_add_co_u32_e64 v2, s[18:19], v2, v8
	v_add_u32_e32 v10, 6, v11
	v_addc_co_u32_e64 v3, s[18:19], 0, v9, s[18:19]
	v_cmp_ne_u32_e64 s[18:19], 0, v10
                                        ; implicit-def: $vgpr5
	s_and_saveexec_b64 s[20:21], s[18:19]
	s_xor_b64 s[20:21], exec, s[20:21]
; %bb.2548:                             ;   in Loop: Header=BB2_2364 Depth=2
	v_cmp_lt_u64_e64 s[18:19], s[44:45], v[2:3]
	v_add_u32_e32 v5, 7, v11
	v_cndmask_b32_e64 v6, 0, 1, s[18:19]
	v_cndmask_b32_e64 v5, v10, v5, s[18:19]
	v_lshrrev_b64 v[2:3], v6, v[2:3]
; %bb.2549:                             ;   in Loop: Header=BB2_2364 Depth=2
	s_andn2_saveexec_b64 s[18:19], s[20:21]
; %bb.2550:                             ;   in Loop: Header=BB2_2364 Depth=2
	v_bfe_u32 v5, v2, 23, 1
; %bb.2551:                             ;   in Loop: Header=BB2_2364 Depth=2
	s_or_b64 exec, exec, s[18:19]
	v_lshrrev_b64 v[2:3], 20, v[2:3]
	v_cmp_gt_i32_e64 s[18:19], 16, v5
	v_cndmask_b32_e64 v3, 0, v3, s[18:19]
	v_cndmask_b32_e64 v2, 7, v2, s[18:19]
	v_cmp_eq_u64_e64 s[20:21], 0, v[2:3]
	v_min_i32_e32 v3, 15, v5
	v_lshlrev_b32_e32 v3, 3, v3
	v_cmp_eq_u32_e64 s[18:19], 0, v5
	v_and_b32_e32 v3, 0xf8, v3
	v_and_or_b32 v2, v2, 7, v3
	s_and_b64 s[18:19], s[18:19], s[20:21]
	v_cndmask_b32_e64 v2, v2, 0, s[18:19]
	v_or_b32_e32 v11, v2, v4
.LBB2_2552:                             ;   in Loop: Header=BB2_2364 Depth=2
	s_or_b64 exec, exec, s[60:61]
.LBB2_2553:                             ;   in Loop: Header=BB2_2364 Depth=2
	s_or_b64 exec, exec, s[58:59]
                                        ; implicit-def: $vgpr2
.LBB2_2554:                             ;   in Loop: Header=BB2_2364 Depth=2
	s_andn2_saveexec_b64 s[20:21], s[56:57]
; %bb.2555:                             ;   in Loop: Header=BB2_2364 Depth=2
	v_or_b32_sdwa v2, v2, s69 dst_sel:DWORD dst_unused:UNUSED_PAD src0_sel:BYTE_3 src1_sel:DWORD
	v_cmp_eq_u64_e64 s[18:19], 0, v[52:53]
	v_cndmask_b32_e64 v11, v2, v11, s[18:19]
; %bb.2556:                             ;   in Loop: Header=BB2_2364 Depth=2
	s_or_b64 exec, exec, s[20:21]
	v_cmp_ne_u16_sdwa s[18:19], v16, v53 src0_sel:BYTE_0 src1_sel:DWORD
	v_mov_b32_e32 v2, 0
	v_mov_b32_e32 v3, 0
	s_and_saveexec_b64 s[20:21], s[18:19]
	s_cbranch_execz .LBB2_2562
; %bb.2557:                             ;   in Loop: Header=BB2_2364 Depth=2
	v_cmp_ne_u16_sdwa s[18:19], v16, s68 src0_sel:BYTE_0 src1_sel:DWORD
	v_bfrev_b32_e32 v3, 1
	s_and_saveexec_b64 s[56:57], s[18:19]
	s_cbranch_execz .LBB2_2561
; %bb.2558:                             ;   in Loop: Header=BB2_2364 Depth=2
	v_and_b32_e32 v4, 0x7f, v16
	v_cmp_ne_u32_e64 s[18:19], s69, v4
	v_mov_b32_e32 v3, 0x7f800001
	s_and_saveexec_b64 s[58:59], s[18:19]
	s_cbranch_execz .LBB2_2560
; %bb.2559:                             ;   in Loop: Header=BB2_2364 Depth=2
	v_and_b32_e32 v3, 7, v16
	v_ffbh_u32_e32 v3, v3
	v_min_u32_e32 v3, 32, v3
	v_subrev_u32_e32 v6, 28, v3
	v_cmp_gt_u32_e64 s[18:19], 8, v4
	v_lshrrev_b32_e32 v5, 3, v4
	v_sub_u32_e32 v3, 29, v3
	v_cndmask_b32_e64 v4, 0, v6, s[18:19]
	v_cndmask_b32_e64 v3, v5, v3, s[18:19]
	v_lshlrev_b64 v[4:5], v4, v[16:17]
	v_lshlrev_b32_e32 v4, 20, v4
	v_lshlrev_b32_e32 v5, 24, v16
	v_and_b32_e32 v4, 0x700000, v4
	v_and_b32_e32 v5, 0x80000000, v5
	v_lshl_add_u32 v3, v3, 23, v27
	v_or3_b32 v3, v5, v3, v4
.LBB2_2560:                             ;   in Loop: Header=BB2_2364 Depth=2
	s_or_b64 exec, exec, s[58:59]
.LBB2_2561:                             ;   in Loop: Header=BB2_2364 Depth=2
	s_or_b64 exec, exec, s[56:57]
.LBB2_2562:                             ;   in Loop: Header=BB2_2364 Depth=2
	s_or_b64 exec, exec, s[20:21]
	v_cmp_ne_u16_sdwa s[18:19], v12, v53 src0_sel:BYTE_0 src1_sel:DWORD
	s_and_saveexec_b64 s[20:21], s[18:19]
	s_cbranch_execz .LBB2_2568
; %bb.2563:                             ;   in Loop: Header=BB2_2364 Depth=2
	v_cmp_ne_u16_sdwa s[18:19], v12, s68 src0_sel:BYTE_0 src1_sel:DWORD
	v_bfrev_b32_e32 v2, 1
	s_and_saveexec_b64 s[56:57], s[18:19]
	s_cbranch_execz .LBB2_2567
; %bb.2564:                             ;   in Loop: Header=BB2_2364 Depth=2
	v_and_b32_e32 v4, 0x7f, v12
	v_cmp_ne_u32_e64 s[18:19], s69, v4
	v_mov_b32_e32 v2, 0x7f800001
	s_and_saveexec_b64 s[58:59], s[18:19]
	s_cbranch_execz .LBB2_2566
; %bb.2565:                             ;   in Loop: Header=BB2_2364 Depth=2
	v_and_b32_e32 v2, 7, v12
	v_ffbh_u32_e32 v2, v2
	v_min_u32_e32 v2, 32, v2
	v_subrev_u32_e32 v6, 28, v2
	v_cmp_gt_u32_e64 s[18:19], 8, v4
	v_lshrrev_b32_e32 v5, 3, v4
	v_sub_u32_e32 v2, 29, v2
	v_cndmask_b32_e64 v4, 0, v6, s[18:19]
	v_cndmask_b32_e64 v2, v5, v2, s[18:19]
	v_lshlrev_b64 v[4:5], v4, v[12:13]
	v_lshlrev_b32_e32 v4, 20, v4
	v_lshlrev_b32_e32 v5, 24, v12
	v_and_b32_e32 v4, 0x700000, v4
	v_and_b32_e32 v5, 0x80000000, v5
	v_lshl_add_u32 v2, v2, 23, v27
	v_or3_b32 v2, v5, v2, v4
.LBB2_2566:                             ;   in Loop: Header=BB2_2364 Depth=2
	s_or_b64 exec, exec, s[58:59]
.LBB2_2567:                             ;   in Loop: Header=BB2_2364 Depth=2
	s_or_b64 exec, exec, s[56:57]
.LBB2_2568:                             ;   in Loop: Header=BB2_2364 Depth=2
	s_or_b64 exec, exec, s[20:21]
	v_add_f32_e32 v2, v3, v2
	v_and_b32_sdwa v4, v2, s68 dst_sel:DWORD dst_unused:UNUSED_PAD src0_sel:BYTE_3 src1_sel:DWORD
	v_and_b32_e32 v6, 0x7f800000, v2
	v_mov_b32_e32 v7, v53
	v_and_b32_e32 v52, 0x7fffff, v2
	v_or_b32_e32 v14, 0x7e, v4
	v_cmp_ne_u64_e64 s[18:19], s[38:39], v[6:7]
	s_and_saveexec_b64 s[20:21], s[18:19]
	s_xor_b64 s[56:57], exec, s[20:21]
	s_cbranch_execz .LBB2_2578
; %bb.2569:                             ;   in Loop: Header=BB2_2364 Depth=2
	v_and_b32_e32 v6, 0x7fffffff, v2
	v_mov_b32_e32 v7, v53
	v_cmp_gt_u64_e64 s[18:19], s[40:41], v[6:7]
	s_and_saveexec_b64 s[58:59], s[18:19]
	s_cbranch_execz .LBB2_2577
; %bb.2570:                             ;   in Loop: Header=BB2_2364 Depth=2
	v_cmp_ne_u32_e64 s[18:19], 0, v2
	v_mov_b32_e32 v14, 0
	s_and_saveexec_b64 s[60:61], s[18:19]
	s_cbranch_execz .LBB2_2576
; %bb.2571:                             ;   in Loop: Header=BB2_2364 Depth=2
	v_bfe_u32 v2, v2, 23, 8
	v_sub_u32_e32 v5, 0x79, v2
	v_cmp_gt_u32_e64 s[18:19], s71, v2
	v_add_u32_e32 v3, 0xffffff81, v2
	v_cndmask_b32_e64 v5, 0, v5, s[18:19]
	v_cmp_eq_u32_e64 s[18:19], 0, v2
	v_mov_b32_e32 v2, 0xffffff82
	v_cndmask_b32_e64 v10, v3, v2, s[18:19]
	v_mov_b32_e32 v2, 0x78
	v_or_b32_e32 v6, 0x800000, v52
	v_cndmask_b32_e64 v5, v5, v2, s[18:19]
	v_cndmask_b32_e64 v52, v6, v52, s[18:19]
	v_add_u32_e32 v2, 20, v5
	v_lshlrev_b64 v[2:3], v2, -1
	v_lshrrev_b64 v[8:9], v5, v[52:53]
	v_not_b32_e32 v3, v3
	v_not_b32_e32 v2, v2
	v_add_u32_e32 v6, 19, v5
	v_lshrrev_b32_e32 v14, 23, v8
	v_and_b32_e32 v3, 0, v3
	v_and_b32_e32 v2, v52, v2
	v_lshlrev_b64 v[6:7], v6, 1
	v_add3_u32 v14, v5, v10, v14
	v_bfe_u32 v5, v8, 20, 1
	v_add_u32_e32 v5, -1, v5
	v_cmp_eq_u64_e64 s[18:19], v[2:3], v[6:7]
	v_cndmask_b32_e64 v2, 0, v5, s[18:19]
	v_add_u32_e32 v2, v2, v8
	v_and_b32_e32 v2, 0xfffff, v2
	v_add_co_u32_e64 v2, s[18:19], v2, v8
	v_add_u32_e32 v10, 6, v14
	v_addc_co_u32_e64 v3, s[18:19], 0, v9, s[18:19]
	v_cmp_ne_u32_e64 s[18:19], 0, v10
                                        ; implicit-def: $vgpr5
	s_and_saveexec_b64 s[20:21], s[18:19]
	s_xor_b64 s[20:21], exec, s[20:21]
; %bb.2572:                             ;   in Loop: Header=BB2_2364 Depth=2
	v_cmp_lt_u64_e64 s[18:19], s[44:45], v[2:3]
	v_add_u32_e32 v5, 7, v14
	v_cndmask_b32_e64 v6, 0, 1, s[18:19]
	v_cndmask_b32_e64 v5, v10, v5, s[18:19]
	v_lshrrev_b64 v[2:3], v6, v[2:3]
; %bb.2573:                             ;   in Loop: Header=BB2_2364 Depth=2
	s_andn2_saveexec_b64 s[18:19], s[20:21]
; %bb.2574:                             ;   in Loop: Header=BB2_2364 Depth=2
	v_bfe_u32 v5, v2, 23, 1
; %bb.2575:                             ;   in Loop: Header=BB2_2364 Depth=2
	s_or_b64 exec, exec, s[18:19]
	v_lshrrev_b64 v[2:3], 20, v[2:3]
	v_cmp_gt_i32_e64 s[18:19], 16, v5
	v_cndmask_b32_e64 v3, 0, v3, s[18:19]
	v_cndmask_b32_e64 v2, 7, v2, s[18:19]
	v_cmp_eq_u64_e64 s[20:21], 0, v[2:3]
	v_min_i32_e32 v3, 15, v5
	v_cmp_eq_u32_e64 s[18:19], 0, v5
	v_lshlrev_b32_e32 v3, 3, v3
	v_and_or_b32 v2, v2, 7, v3
	s_and_b64 s[18:19], s[18:19], s[20:21]
	v_cndmask_b32_e64 v2, v2, 0, s[18:19]
	v_or_b32_e32 v14, v2, v4
.LBB2_2576:                             ;   in Loop: Header=BB2_2364 Depth=2
	s_or_b64 exec, exec, s[60:61]
.LBB2_2577:                             ;   in Loop: Header=BB2_2364 Depth=2
	s_or_b64 exec, exec, s[58:59]
                                        ; implicit-def: $vgpr2
.LBB2_2578:                             ;   in Loop: Header=BB2_2364 Depth=2
	s_andn2_saveexec_b64 s[20:21], s[56:57]
; %bb.2579:                             ;   in Loop: Header=BB2_2364 Depth=2
	v_or_b32_sdwa v2, v2, s69 dst_sel:DWORD dst_unused:UNUSED_PAD src0_sel:BYTE_3 src1_sel:DWORD
	v_cmp_eq_u64_e64 s[18:19], 0, v[52:53]
	v_cndmask_b32_e64 v14, v2, v14, s[18:19]
; %bb.2580:                             ;   in Loop: Header=BB2_2364 Depth=2
	s_or_b64 exec, exec, s[20:21]
	v_lshrrev_b16_e32 v2, 8, v16
	v_cmp_ne_u16_e64 s[18:19], 0, v2
	v_mov_b32_e32 v3, 0
	v_mov_b32_e32 v4, 0
	s_and_saveexec_b64 s[20:21], s[18:19]
	s_cbranch_execz .LBB2_2586
; %bb.2581:                             ;   in Loop: Header=BB2_2364 Depth=2
	v_cmp_ne_u16_e64 s[18:19], s68, v2
	v_bfrev_b32_e32 v4, 1
	s_and_saveexec_b64 s[56:57], s[18:19]
	s_cbranch_execz .LBB2_2585
; %bb.2582:                             ;   in Loop: Header=BB2_2364 Depth=2
	v_and_b32_e32 v5, 0x7f, v2
	v_cmp_ne_u32_e64 s[18:19], s69, v5
	v_mov_b32_e32 v4, 0x7f800001
	s_and_saveexec_b64 s[58:59], s[18:19]
	s_cbranch_execz .LBB2_2584
; %bb.2583:                             ;   in Loop: Header=BB2_2364 Depth=2
	v_and_b32_e32 v4, 7, v2
	v_ffbh_u32_e32 v6, v4
	v_min_u32_e32 v9, 32, v6
	v_subrev_u32_e32 v6, 28, v9
	v_lshlrev_b64 v[6:7], v6, v[2:3]
	v_lshrrev_b32_e32 v8, 3, v5
	v_sub_u32_e32 v2, 29, v9
	v_and_b32_e32 v6, 7, v6
	v_cmp_gt_u32_e64 s[18:19], 8, v5
	v_cndmask_b32_e64 v2, v8, v2, s[18:19]
	v_cndmask_b32_e64 v4, v4, v6, s[18:19]
	v_lshlrev_b32_e32 v5, 16, v16
	v_lshlrev_b32_e32 v4, 20, v4
	v_and_b32_e32 v5, 0x80000000, v5
	v_lshl_add_u32 v2, v2, 23, v27
	v_or3_b32 v4, v5, v2, v4
.LBB2_2584:                             ;   in Loop: Header=BB2_2364 Depth=2
	s_or_b64 exec, exec, s[58:59]
.LBB2_2585:                             ;   in Loop: Header=BB2_2364 Depth=2
	s_or_b64 exec, exec, s[56:57]
.LBB2_2586:                             ;   in Loop: Header=BB2_2364 Depth=2
	s_or_b64 exec, exec, s[20:21]
	v_lshrrev_b16_e32 v2, 8, v12
	v_cmp_ne_u16_e64 s[18:19], 0, v2
	s_and_saveexec_b64 s[20:21], s[18:19]
	s_cbranch_execz .LBB2_2592
; %bb.2587:                             ;   in Loop: Header=BB2_2364 Depth=2
	v_cmp_ne_u16_e64 s[18:19], s68, v2
	v_bfrev_b32_e32 v3, 1
	s_and_saveexec_b64 s[56:57], s[18:19]
	s_cbranch_execz .LBB2_2591
; %bb.2588:                             ;   in Loop: Header=BB2_2364 Depth=2
	v_and_b32_e32 v5, 0x7f, v2
	v_cmp_ne_u32_e64 s[18:19], s69, v5
	v_mov_b32_e32 v3, 0x7f800001
	s_and_saveexec_b64 s[58:59], s[18:19]
	s_cbranch_execz .LBB2_2590
; %bb.2589:                             ;   in Loop: Header=BB2_2364 Depth=2
	v_and_b32_e32 v6, 7, v2
	v_ffbh_u32_e32 v3, v6
	v_min_u32_e32 v8, 32, v3
	v_subrev_u32_e32 v3, 28, v8
	v_lshlrev_b64 v[2:3], v3, v[2:3]
	v_lshrrev_b32_e32 v7, 3, v5
	v_sub_u32_e32 v3, 29, v8
	v_and_b32_e32 v2, 7, v2
	v_cmp_gt_u32_e64 s[18:19], 8, v5
	v_cndmask_b32_e64 v3, v7, v3, s[18:19]
	v_cndmask_b32_e64 v2, v6, v2, s[18:19]
	v_lshlrev_b32_e32 v5, 16, v12
	v_lshlrev_b32_e32 v2, 20, v2
	v_and_b32_e32 v5, 0x80000000, v5
	v_lshl_add_u32 v3, v3, 23, v27
	v_or3_b32 v3, v5, v3, v2
.LBB2_2590:                             ;   in Loop: Header=BB2_2364 Depth=2
	s_or_b64 exec, exec, s[58:59]
.LBB2_2591:                             ;   in Loop: Header=BB2_2364 Depth=2
	s_or_b64 exec, exec, s[56:57]
.LBB2_2592:                             ;   in Loop: Header=BB2_2364 Depth=2
	s_or_b64 exec, exec, s[20:21]
	v_add_f32_e32 v2, v4, v3
	v_and_b32_sdwa v4, v2, s68 dst_sel:DWORD dst_unused:UNUSED_PAD src0_sel:BYTE_3 src1_sel:DWORD
	v_and_b32_e32 v6, 0x7f800000, v2
	v_mov_b32_e32 v7, v53
	v_and_b32_e32 v52, 0x7fffff, v2
	v_or_b32_e32 v15, 0x7e, v4
	v_cmp_ne_u64_e64 s[18:19], s[38:39], v[6:7]
	s_and_saveexec_b64 s[20:21], s[18:19]
	s_xor_b64 s[56:57], exec, s[20:21]
	s_cbranch_execz .LBB2_2602
; %bb.2593:                             ;   in Loop: Header=BB2_2364 Depth=2
	v_and_b32_e32 v6, 0x7fffffff, v2
	v_mov_b32_e32 v7, v53
	v_cmp_gt_u64_e64 s[18:19], s[40:41], v[6:7]
	s_and_saveexec_b64 s[58:59], s[18:19]
	s_cbranch_execz .LBB2_2601
; %bb.2594:                             ;   in Loop: Header=BB2_2364 Depth=2
	v_cmp_ne_u32_e64 s[18:19], 0, v2
	v_mov_b32_e32 v15, 0
	s_and_saveexec_b64 s[60:61], s[18:19]
	s_cbranch_execz .LBB2_2600
; %bb.2595:                             ;   in Loop: Header=BB2_2364 Depth=2
	v_bfe_u32 v2, v2, 23, 8
	v_sub_u32_e32 v5, 0x79, v2
	v_cmp_gt_u32_e64 s[18:19], s71, v2
	v_add_u32_e32 v3, 0xffffff81, v2
	v_cndmask_b32_e64 v5, 0, v5, s[18:19]
	v_cmp_eq_u32_e64 s[18:19], 0, v2
	v_mov_b32_e32 v2, 0xffffff82
	v_cndmask_b32_e64 v10, v3, v2, s[18:19]
	v_mov_b32_e32 v2, 0x78
	v_or_b32_e32 v6, 0x800000, v52
	v_cndmask_b32_e64 v5, v5, v2, s[18:19]
	v_cndmask_b32_e64 v52, v6, v52, s[18:19]
	v_add_u32_e32 v2, 20, v5
	v_lshlrev_b64 v[2:3], v2, -1
	v_lshrrev_b64 v[8:9], v5, v[52:53]
	v_not_b32_e32 v3, v3
	v_not_b32_e32 v2, v2
	v_add_u32_e32 v6, 19, v5
	v_lshrrev_b32_e32 v15, 23, v8
	v_and_b32_e32 v3, 0, v3
	v_and_b32_e32 v2, v52, v2
	v_lshlrev_b64 v[6:7], v6, 1
	v_add3_u32 v15, v5, v10, v15
	v_bfe_u32 v5, v8, 20, 1
	v_add_u32_e32 v5, -1, v5
	v_cmp_eq_u64_e64 s[18:19], v[2:3], v[6:7]
	v_cndmask_b32_e64 v2, 0, v5, s[18:19]
	v_add_u32_e32 v2, v2, v8
	v_and_b32_e32 v2, 0xfffff, v2
	v_add_co_u32_e64 v2, s[18:19], v2, v8
	v_add_u32_e32 v10, 6, v15
	v_addc_co_u32_e64 v3, s[18:19], 0, v9, s[18:19]
	v_cmp_ne_u32_e64 s[18:19], 0, v10
                                        ; implicit-def: $vgpr5
	s_and_saveexec_b64 s[20:21], s[18:19]
	s_xor_b64 s[20:21], exec, s[20:21]
; %bb.2596:                             ;   in Loop: Header=BB2_2364 Depth=2
	v_cmp_lt_u64_e64 s[18:19], s[44:45], v[2:3]
	v_add_u32_e32 v5, 7, v15
	v_cndmask_b32_e64 v6, 0, 1, s[18:19]
	v_cndmask_b32_e64 v5, v10, v5, s[18:19]
	v_lshrrev_b64 v[2:3], v6, v[2:3]
; %bb.2597:                             ;   in Loop: Header=BB2_2364 Depth=2
	s_andn2_saveexec_b64 s[18:19], s[20:21]
; %bb.2598:                             ;   in Loop: Header=BB2_2364 Depth=2
	v_bfe_u32 v5, v2, 23, 1
; %bb.2599:                             ;   in Loop: Header=BB2_2364 Depth=2
	s_or_b64 exec, exec, s[18:19]
	v_lshrrev_b64 v[2:3], 20, v[2:3]
	v_cmp_gt_i32_e64 s[18:19], 16, v5
	v_cndmask_b32_e64 v3, 0, v3, s[18:19]
	v_cndmask_b32_e64 v2, 7, v2, s[18:19]
	v_cmp_eq_u64_e64 s[20:21], 0, v[2:3]
	v_min_i32_e32 v3, 15, v5
	v_cmp_eq_u32_e64 s[18:19], 0, v5
	v_lshlrev_b32_e32 v3, 3, v3
	v_and_or_b32 v2, v2, 7, v3
	s_and_b64 s[18:19], s[18:19], s[20:21]
	v_cndmask_b32_e64 v2, v2, 0, s[18:19]
	v_or_b32_e32 v15, v2, v4
.LBB2_2600:                             ;   in Loop: Header=BB2_2364 Depth=2
	s_or_b64 exec, exec, s[60:61]
.LBB2_2601:                             ;   in Loop: Header=BB2_2364 Depth=2
	s_or_b64 exec, exec, s[58:59]
                                        ; implicit-def: $vgpr2
.LBB2_2602:                             ;   in Loop: Header=BB2_2364 Depth=2
	s_andn2_saveexec_b64 s[20:21], s[56:57]
; %bb.2603:                             ;   in Loop: Header=BB2_2364 Depth=2
	v_or_b32_sdwa v2, v2, s69 dst_sel:DWORD dst_unused:UNUSED_PAD src0_sel:BYTE_3 src1_sel:DWORD
	v_cmp_eq_u64_e64 s[18:19], 0, v[52:53]
	v_cndmask_b32_e64 v15, v2, v15, s[18:19]
; %bb.2604:                             ;   in Loop: Header=BB2_2364 Depth=2
	s_or_b64 exec, exec, s[20:21]
	v_lshrrev_b32_e32 v2, 16, v16
	v_cmp_ne_u16_sdwa s[18:19], v2, v53 src0_sel:BYTE_0 src1_sel:DWORD
	v_mov_b32_e32 v3, 0
	v_mov_b32_e32 v4, 0
	s_and_saveexec_b64 s[20:21], s[18:19]
	s_cbranch_execz .LBB2_2610
; %bb.2605:                             ;   in Loop: Header=BB2_2364 Depth=2
	v_cmp_ne_u16_sdwa s[18:19], v2, s68 src0_sel:BYTE_0 src1_sel:DWORD
	v_bfrev_b32_e32 v4, 1
	s_and_saveexec_b64 s[56:57], s[18:19]
	s_cbranch_execz .LBB2_2609
; %bb.2606:                             ;   in Loop: Header=BB2_2364 Depth=2
	v_bfe_u32 v5, v16, 16, 7
	v_cmp_ne_u32_e64 s[18:19], s69, v5
	v_mov_b32_e32 v4, 0x7f800001
	s_and_saveexec_b64 s[58:59], s[18:19]
	s_cbranch_execz .LBB2_2608
; %bb.2607:                             ;   in Loop: Header=BB2_2364 Depth=2
	v_and_b32_e32 v4, 7, v2
	v_ffbh_u32_e32 v6, v4
	v_min_u32_e32 v9, 32, v6
	v_subrev_u32_e32 v6, 28, v9
	v_lshlrev_b64 v[6:7], v6, v[2:3]
	v_lshrrev_b32_e32 v8, 3, v5
	v_sub_u32_e32 v7, 29, v9
	v_and_b32_e32 v6, 7, v6
	v_cmp_gt_u32_e64 s[18:19], 8, v5
	v_cndmask_b32_e64 v5, v8, v7, s[18:19]
	v_cndmask_b32_e64 v4, v4, v6, s[18:19]
	v_lshlrev_b32_e32 v2, 24, v2
	v_lshlrev_b32_e32 v4, 20, v4
	v_and_b32_e32 v2, 0x80000000, v2
	v_lshl_add_u32 v5, v5, 23, v27
	v_or3_b32 v4, v2, v5, v4
.LBB2_2608:                             ;   in Loop: Header=BB2_2364 Depth=2
	s_or_b64 exec, exec, s[58:59]
.LBB2_2609:                             ;   in Loop: Header=BB2_2364 Depth=2
	s_or_b64 exec, exec, s[56:57]
.LBB2_2610:                             ;   in Loop: Header=BB2_2364 Depth=2
	s_or_b64 exec, exec, s[20:21]
	v_lshrrev_b32_e32 v2, 16, v12
	v_cmp_ne_u16_sdwa s[18:19], v2, v53 src0_sel:BYTE_0 src1_sel:DWORD
	s_and_saveexec_b64 s[20:21], s[18:19]
	s_cbranch_execz .LBB2_2616
; %bb.2611:                             ;   in Loop: Header=BB2_2364 Depth=2
	v_cmp_ne_u16_sdwa s[18:19], v2, s68 src0_sel:BYTE_0 src1_sel:DWORD
	v_bfrev_b32_e32 v3, 1
	s_and_saveexec_b64 s[56:57], s[18:19]
	s_cbranch_execz .LBB2_2615
; %bb.2612:                             ;   in Loop: Header=BB2_2364 Depth=2
	v_bfe_u32 v5, v12, 16, 7
	v_cmp_ne_u32_e64 s[18:19], s69, v5
	v_mov_b32_e32 v3, 0x7f800001
	s_and_saveexec_b64 s[58:59], s[18:19]
	s_cbranch_execz .LBB2_2614
; %bb.2613:                             ;   in Loop: Header=BB2_2364 Depth=2
	v_and_b32_e32 v6, 7, v2
	v_ffbh_u32_e32 v3, v6
	v_min_u32_e32 v8, 32, v3
	v_subrev_u32_e32 v3, 28, v8
	v_lshlrev_b64 v[2:3], v3, v[2:3]
	v_lshrrev_b32_e32 v7, 3, v5
	v_sub_u32_e32 v3, 29, v8
	v_and_b32_e32 v2, 7, v2
	v_cmp_gt_u32_e64 s[18:19], 8, v5
	v_cndmask_b32_e64 v3, v7, v3, s[18:19]
	v_cndmask_b32_e64 v2, v6, v2, s[18:19]
	v_lshlrev_b32_e32 v5, 8, v12
	v_lshlrev_b32_e32 v2, 20, v2
	v_and_b32_e32 v5, 0x80000000, v5
	v_lshl_add_u32 v3, v3, 23, v27
	v_or3_b32 v3, v5, v3, v2
.LBB2_2614:                             ;   in Loop: Header=BB2_2364 Depth=2
	s_or_b64 exec, exec, s[58:59]
.LBB2_2615:                             ;   in Loop: Header=BB2_2364 Depth=2
	s_or_b64 exec, exec, s[56:57]
.LBB2_2616:                             ;   in Loop: Header=BB2_2364 Depth=2
	s_or_b64 exec, exec, s[20:21]
	v_add_f32_e32 v2, v4, v3
	v_and_b32_sdwa v4, v2, s68 dst_sel:DWORD dst_unused:UNUSED_PAD src0_sel:BYTE_3 src1_sel:DWORD
	v_and_b32_e32 v6, 0x7f800000, v2
	v_mov_b32_e32 v7, v53
	v_and_b32_e32 v52, 0x7fffff, v2
	v_or_b32_e32 v29, 0x7e, v4
	v_cmp_ne_u64_e64 s[18:19], s[38:39], v[6:7]
	s_and_saveexec_b64 s[20:21], s[18:19]
	s_xor_b64 s[56:57], exec, s[20:21]
	s_cbranch_execz .LBB2_2626
; %bb.2617:                             ;   in Loop: Header=BB2_2364 Depth=2
	v_and_b32_e32 v6, 0x7fffffff, v2
	v_mov_b32_e32 v7, v53
	v_cmp_gt_u64_e64 s[18:19], s[40:41], v[6:7]
	s_and_saveexec_b64 s[58:59], s[18:19]
	s_cbranch_execz .LBB2_2625
; %bb.2618:                             ;   in Loop: Header=BB2_2364 Depth=2
	v_cmp_ne_u32_e64 s[18:19], 0, v2
	v_mov_b32_e32 v29, 0
	s_and_saveexec_b64 s[60:61], s[18:19]
	s_cbranch_execz .LBB2_2624
; %bb.2619:                             ;   in Loop: Header=BB2_2364 Depth=2
	v_bfe_u32 v2, v2, 23, 8
	v_sub_u32_e32 v5, 0x79, v2
	v_cmp_gt_u32_e64 s[18:19], s71, v2
	v_add_u32_e32 v3, 0xffffff81, v2
	v_cndmask_b32_e64 v5, 0, v5, s[18:19]
	v_cmp_eq_u32_e64 s[18:19], 0, v2
	v_mov_b32_e32 v2, 0xffffff82
	v_cndmask_b32_e64 v10, v3, v2, s[18:19]
	v_mov_b32_e32 v2, 0x78
	v_or_b32_e32 v6, 0x800000, v52
	v_cndmask_b32_e64 v5, v5, v2, s[18:19]
	v_cndmask_b32_e64 v52, v6, v52, s[18:19]
	v_add_u32_e32 v2, 20, v5
	v_lshlrev_b64 v[2:3], v2, -1
	v_lshrrev_b64 v[8:9], v5, v[52:53]
	v_not_b32_e32 v3, v3
	v_not_b32_e32 v2, v2
	v_add_u32_e32 v6, 19, v5
	v_lshrrev_b32_e32 v29, 23, v8
	v_and_b32_e32 v3, 0, v3
	v_and_b32_e32 v2, v52, v2
	v_lshlrev_b64 v[6:7], v6, 1
	v_add3_u32 v29, v5, v10, v29
	v_bfe_u32 v5, v8, 20, 1
	v_add_u32_e32 v5, -1, v5
	v_cmp_eq_u64_e64 s[18:19], v[2:3], v[6:7]
	v_cndmask_b32_e64 v2, 0, v5, s[18:19]
	v_add_u32_e32 v2, v2, v8
	v_and_b32_e32 v2, 0xfffff, v2
	v_add_co_u32_e64 v2, s[18:19], v2, v8
	v_add_u32_e32 v10, 6, v29
	v_addc_co_u32_e64 v3, s[18:19], 0, v9, s[18:19]
	v_cmp_ne_u32_e64 s[18:19], 0, v10
                                        ; implicit-def: $vgpr5
	s_and_saveexec_b64 s[20:21], s[18:19]
	s_xor_b64 s[20:21], exec, s[20:21]
; %bb.2620:                             ;   in Loop: Header=BB2_2364 Depth=2
	v_cmp_lt_u64_e64 s[18:19], s[44:45], v[2:3]
	v_add_u32_e32 v5, 7, v29
	v_cndmask_b32_e64 v6, 0, 1, s[18:19]
	v_cndmask_b32_e64 v5, v10, v5, s[18:19]
	v_lshrrev_b64 v[2:3], v6, v[2:3]
; %bb.2621:                             ;   in Loop: Header=BB2_2364 Depth=2
	s_andn2_saveexec_b64 s[18:19], s[20:21]
; %bb.2622:                             ;   in Loop: Header=BB2_2364 Depth=2
	v_bfe_u32 v5, v2, 23, 1
; %bb.2623:                             ;   in Loop: Header=BB2_2364 Depth=2
	s_or_b64 exec, exec, s[18:19]
	v_lshrrev_b64 v[2:3], 20, v[2:3]
	v_cmp_gt_i32_e64 s[18:19], 16, v5
	v_cndmask_b32_e64 v3, 0, v3, s[18:19]
	v_cndmask_b32_e64 v2, 7, v2, s[18:19]
	v_cmp_eq_u64_e64 s[20:21], 0, v[2:3]
	v_min_i32_e32 v3, 15, v5
	v_cmp_eq_u32_e64 s[18:19], 0, v5
	v_lshlrev_b32_e32 v3, 3, v3
	v_and_or_b32 v2, v2, 7, v3
	s_and_b64 s[18:19], s[18:19], s[20:21]
	v_cndmask_b32_e64 v2, v2, 0, s[18:19]
	v_or_b32_e32 v29, v2, v4
.LBB2_2624:                             ;   in Loop: Header=BB2_2364 Depth=2
	s_or_b64 exec, exec, s[60:61]
.LBB2_2625:                             ;   in Loop: Header=BB2_2364 Depth=2
	s_or_b64 exec, exec, s[58:59]
                                        ; implicit-def: $vgpr2
.LBB2_2626:                             ;   in Loop: Header=BB2_2364 Depth=2
	s_andn2_saveexec_b64 s[20:21], s[56:57]
; %bb.2627:                             ;   in Loop: Header=BB2_2364 Depth=2
	v_or_b32_sdwa v2, v2, s69 dst_sel:DWORD dst_unused:UNUSED_PAD src0_sel:BYTE_3 src1_sel:DWORD
	v_cmp_eq_u64_e64 s[18:19], 0, v[52:53]
	v_cndmask_b32_e64 v29, v2, v29, s[18:19]
; %bb.2628:                             ;   in Loop: Header=BB2_2364 Depth=2
	s_or_b64 exec, exec, s[20:21]
	v_cmp_lt_u32_e64 s[18:19], s43, v16
	v_mov_b32_e32 v3, 0
	v_mov_b32_e32 v4, 0
	s_and_saveexec_b64 s[20:21], s[18:19]
	s_cbranch_execz .LBB2_2634
; %bb.2629:                             ;   in Loop: Header=BB2_2364 Depth=2
	v_lshrrev_b32_e32 v2, 24, v16
	v_cmp_ne_u32_e64 s[18:19], s68, v2
	v_bfrev_b32_e32 v4, 1
	s_and_saveexec_b64 s[56:57], s[18:19]
	s_cbranch_execz .LBB2_2633
; %bb.2630:                             ;   in Loop: Header=BB2_2364 Depth=2
	v_bfe_u32 v5, v16, 24, 7
	v_cmp_ne_u32_e64 s[18:19], s69, v5
	v_mov_b32_e32 v4, 0x7f800001
	s_and_saveexec_b64 s[58:59], s[18:19]
	s_cbranch_execz .LBB2_2632
; %bb.2631:                             ;   in Loop: Header=BB2_2364 Depth=2
	v_and_b32_e32 v4, 7, v2
	v_ffbh_u32_e32 v6, v4
	v_min_u32_e32 v9, 32, v6
	v_subrev_u32_e32 v6, 28, v9
	v_lshlrev_b64 v[6:7], v6, v[2:3]
	v_lshrrev_b32_e32 v8, 3, v5
	v_sub_u32_e32 v7, 29, v9
	v_and_b32_e32 v6, 7, v6
	v_cmp_gt_u32_e64 s[18:19], 8, v5
	v_cndmask_b32_e64 v5, v8, v7, s[18:19]
	v_cndmask_b32_e64 v4, v4, v6, s[18:19]
	v_lshlrev_b32_e32 v2, 24, v2
	v_lshlrev_b32_e32 v4, 20, v4
	v_and_b32_e32 v2, 0x80000000, v2
	v_lshl_add_u32 v5, v5, 23, v27
	v_or3_b32 v4, v2, v5, v4
.LBB2_2632:                             ;   in Loop: Header=BB2_2364 Depth=2
	s_or_b64 exec, exec, s[58:59]
.LBB2_2633:                             ;   in Loop: Header=BB2_2364 Depth=2
	s_or_b64 exec, exec, s[56:57]
.LBB2_2634:                             ;   in Loop: Header=BB2_2364 Depth=2
	s_or_b64 exec, exec, s[20:21]
	v_cmp_lt_u32_e64 s[18:19], s43, v12
	s_and_saveexec_b64 s[20:21], s[18:19]
	s_cbranch_execz .LBB2_2640
; %bb.2635:                             ;   in Loop: Header=BB2_2364 Depth=2
	v_lshrrev_b32_e32 v2, 24, v12
	v_cmp_ne_u32_e64 s[18:19], s68, v2
	v_bfrev_b32_e32 v3, 1
	s_and_saveexec_b64 s[56:57], s[18:19]
	s_cbranch_execz .LBB2_2639
; %bb.2636:                             ;   in Loop: Header=BB2_2364 Depth=2
	v_bfe_u32 v5, v12, 24, 7
	v_cmp_ne_u32_e64 s[18:19], s69, v5
	v_mov_b32_e32 v3, 0x7f800001
	s_and_saveexec_b64 s[58:59], s[18:19]
	s_cbranch_execz .LBB2_2638
; %bb.2637:                             ;   in Loop: Header=BB2_2364 Depth=2
	v_and_b32_e32 v3, 7, v2
	v_ffbh_u32_e32 v6, v3
	v_min_u32_e32 v9, 32, v6
	v_subrev_u32_e32 v6, 28, v9
	v_lshlrev_b64 v[6:7], v6, v[2:3]
	v_lshrrev_b32_e32 v8, 3, v5
	v_sub_u32_e32 v7, 29, v9
	v_and_b32_e32 v6, 7, v6
	v_cmp_gt_u32_e64 s[18:19], 8, v5
	v_cndmask_b32_e64 v5, v8, v7, s[18:19]
	v_cndmask_b32_e64 v3, v3, v6, s[18:19]
	v_lshlrev_b32_e32 v2, 24, v2
	v_lshlrev_b32_e32 v3, 20, v3
	v_and_b32_e32 v2, 0x80000000, v2
	v_lshl_add_u32 v5, v5, 23, v27
	v_or3_b32 v3, v2, v5, v3
.LBB2_2638:                             ;   in Loop: Header=BB2_2364 Depth=2
	s_or_b64 exec, exec, s[58:59]
.LBB2_2639:                             ;   in Loop: Header=BB2_2364 Depth=2
	s_or_b64 exec, exec, s[56:57]
.LBB2_2640:                             ;   in Loop: Header=BB2_2364 Depth=2
	s_or_b64 exec, exec, s[20:21]
	v_add_f32_e32 v2, v4, v3
	v_and_b32_sdwa v5, v2, s68 dst_sel:DWORD dst_unused:UNUSED_PAD src0_sel:BYTE_3 src1_sel:DWORD
	v_and_b32_e32 v6, 0x7f800000, v2
	v_mov_b32_e32 v7, v53
	v_and_b32_e32 v52, 0x7fffff, v2
	v_or_b32_e32 v4, 0x7e, v5
	v_cmp_ne_u64_e64 s[18:19], s[38:39], v[6:7]
	s_and_saveexec_b64 s[20:21], s[18:19]
	s_xor_b64 s[56:57], exec, s[20:21]
	s_cbranch_execz .LBB2_2650
; %bb.2641:                             ;   in Loop: Header=BB2_2364 Depth=2
	v_and_b32_e32 v6, 0x7fffffff, v2
	v_mov_b32_e32 v7, v53
	v_cmp_gt_u64_e64 s[18:19], s[40:41], v[6:7]
	s_and_saveexec_b64 s[58:59], s[18:19]
	s_cbranch_execz .LBB2_2649
; %bb.2642:                             ;   in Loop: Header=BB2_2364 Depth=2
	v_cmp_ne_u32_e64 s[18:19], 0, v2
	v_mov_b32_e32 v4, 0
	s_and_saveexec_b64 s[60:61], s[18:19]
	s_cbranch_execz .LBB2_2648
; %bb.2643:                             ;   in Loop: Header=BB2_2364 Depth=2
	v_bfe_u32 v2, v2, 23, 8
	v_sub_u32_e32 v4, 0x79, v2
	v_cmp_gt_u32_e64 s[18:19], s71, v2
	v_add_u32_e32 v3, 0xffffff81, v2
	v_cndmask_b32_e64 v4, 0, v4, s[18:19]
	v_cmp_eq_u32_e64 s[18:19], 0, v2
	v_mov_b32_e32 v2, 0xffffff82
	v_cndmask_b32_e64 v10, v3, v2, s[18:19]
	v_mov_b32_e32 v2, 0x78
	v_or_b32_e32 v6, 0x800000, v52
	v_cndmask_b32_e64 v4, v4, v2, s[18:19]
	v_cndmask_b32_e64 v52, v6, v52, s[18:19]
	v_add_u32_e32 v2, 20, v4
	v_lshlrev_b64 v[2:3], v2, -1
	v_lshrrev_b64 v[8:9], v4, v[52:53]
	v_not_b32_e32 v3, v3
	v_not_b32_e32 v2, v2
	v_add_u32_e32 v6, 19, v4
	v_lshrrev_b32_e32 v48, 23, v8
	v_and_b32_e32 v3, 0, v3
	v_and_b32_e32 v2, v52, v2
	v_lshlrev_b64 v[6:7], v6, 1
	v_add3_u32 v48, v4, v10, v48
	v_bfe_u32 v4, v8, 20, 1
	v_add_u32_e32 v4, -1, v4
	v_cmp_eq_u64_e64 s[18:19], v[2:3], v[6:7]
	v_cndmask_b32_e64 v2, 0, v4, s[18:19]
	v_add_u32_e32 v2, v2, v8
	v_and_b32_e32 v2, 0xfffff, v2
	v_add_co_u32_e64 v2, s[18:19], v2, v8
	v_add_u32_e32 v10, 6, v48
	v_addc_co_u32_e64 v3, s[18:19], 0, v9, s[18:19]
	v_cmp_ne_u32_e64 s[18:19], 0, v10
                                        ; implicit-def: $vgpr4
	s_and_saveexec_b64 s[20:21], s[18:19]
	s_xor_b64 s[20:21], exec, s[20:21]
; %bb.2644:                             ;   in Loop: Header=BB2_2364 Depth=2
	v_cmp_lt_u64_e64 s[18:19], s[44:45], v[2:3]
	v_add_u32_e32 v4, 7, v48
	v_cndmask_b32_e64 v6, 0, 1, s[18:19]
	v_cndmask_b32_e64 v4, v10, v4, s[18:19]
	v_lshrrev_b64 v[2:3], v6, v[2:3]
; %bb.2645:                             ;   in Loop: Header=BB2_2364 Depth=2
	s_andn2_saveexec_b64 s[18:19], s[20:21]
; %bb.2646:                             ;   in Loop: Header=BB2_2364 Depth=2
	v_bfe_u32 v4, v2, 23, 1
; %bb.2647:                             ;   in Loop: Header=BB2_2364 Depth=2
	s_or_b64 exec, exec, s[18:19]
	v_lshrrev_b64 v[2:3], 20, v[2:3]
	v_cmp_gt_i32_e64 s[18:19], 16, v4
	v_cndmask_b32_e64 v3, 0, v3, s[18:19]
	v_cndmask_b32_e64 v2, 7, v2, s[18:19]
	v_cmp_eq_u64_e64 s[20:21], 0, v[2:3]
	v_min_i32_e32 v3, 15, v4
	v_cmp_eq_u32_e64 s[18:19], 0, v4
	v_lshlrev_b32_e32 v3, 3, v3
	v_and_or_b32 v2, v2, 7, v3
	s_and_b64 s[18:19], s[18:19], s[20:21]
	v_cndmask_b32_e64 v2, v2, 0, s[18:19]
	v_or_b32_e32 v4, v2, v5
.LBB2_2648:                             ;   in Loop: Header=BB2_2364 Depth=2
	s_or_b64 exec, exec, s[60:61]
.LBB2_2649:                             ;   in Loop: Header=BB2_2364 Depth=2
	s_or_b64 exec, exec, s[58:59]
                                        ; implicit-def: $vgpr2
.LBB2_2650:                             ;   in Loop: Header=BB2_2364 Depth=2
	s_andn2_saveexec_b64 s[20:21], s[56:57]
; %bb.2651:                             ;   in Loop: Header=BB2_2364 Depth=2
	v_or_b32_sdwa v2, v2, s69 dst_sel:DWORD dst_unused:UNUSED_PAD src0_sel:BYTE_3 src1_sel:DWORD
	v_cmp_eq_u64_e64 s[18:19], 0, v[52:53]
	v_cndmask_b32_e64 v4, v2, v4, s[18:19]
; %bb.2652:                             ;   in Loop: Header=BB2_2364 Depth=2
	s_or_b64 exec, exec, s[20:21]
	v_mov_b32_e32 v52, v17
	v_cmp_ne_u16_sdwa s[18:19], v17, v53 src0_sel:BYTE_0 src1_sel:DWORD
	v_mov_b32_e32 v3, 0
	v_mov_b32_e32 v2, 0
	s_and_saveexec_b64 s[20:21], s[18:19]
	s_cbranch_execz .LBB2_2658
; %bb.2653:                             ;   in Loop: Header=BB2_2364 Depth=2
	v_cmp_ne_u16_sdwa s[18:19], v17, s68 src0_sel:BYTE_0 src1_sel:DWORD
	v_bfrev_b32_e32 v2, 1
	s_and_saveexec_b64 s[56:57], s[18:19]
	s_cbranch_execz .LBB2_2657
; %bb.2654:                             ;   in Loop: Header=BB2_2364 Depth=2
	v_and_b32_e32 v5, 0x7f, v17
	v_cmp_ne_u32_e64 s[18:19], s69, v5
	v_mov_b32_e32 v2, 0x7f800001
	s_and_saveexec_b64 s[58:59], s[18:19]
	s_cbranch_execz .LBB2_2656
; %bb.2655:                             ;   in Loop: Header=BB2_2364 Depth=2
	v_and_b32_e32 v2, 7, v17
	v_ffbh_u32_e32 v2, v2
	v_min_u32_e32 v2, 32, v2
	v_subrev_u32_e32 v7, 28, v2
	v_cmp_gt_u32_e64 s[18:19], 8, v5
	v_lshrrev_b32_e32 v6, 3, v5
	v_sub_u32_e32 v2, 29, v2
	v_cndmask_b32_e64 v5, 0, v7, s[18:19]
	v_cndmask_b32_e64 v2, v6, v2, s[18:19]
	v_lshlrev_b64 v[6:7], v5, v[52:53]
	v_lshlrev_b32_e32 v5, 20, v6
	v_lshlrev_b32_e32 v6, 24, v52
	v_and_b32_e32 v5, 0x700000, v5
	v_and_b32_e32 v6, 0x80000000, v6
	v_lshl_add_u32 v2, v2, 23, v27
	v_or3_b32 v2, v6, v2, v5
.LBB2_2656:                             ;   in Loop: Header=BB2_2364 Depth=2
	s_or_b64 exec, exec, s[58:59]
.LBB2_2657:                             ;   in Loop: Header=BB2_2364 Depth=2
	s_or_b64 exec, exec, s[56:57]
.LBB2_2658:                             ;   in Loop: Header=BB2_2364 Depth=2
	s_or_b64 exec, exec, s[20:21]
	v_cmp_ne_u16_sdwa s[18:19], v13, v53 src0_sel:BYTE_0 src1_sel:DWORD
	s_and_saveexec_b64 s[20:21], s[18:19]
	s_cbranch_execz .LBB2_2664
; %bb.2659:                             ;   in Loop: Header=BB2_2364 Depth=2
	v_cmp_ne_u16_sdwa s[18:19], v13, s68 src0_sel:BYTE_0 src1_sel:DWORD
	v_bfrev_b32_e32 v3, 1
	s_and_saveexec_b64 s[56:57], s[18:19]
	s_cbranch_execz .LBB2_2663
; %bb.2660:                             ;   in Loop: Header=BB2_2364 Depth=2
	v_and_b32_e32 v5, 0x7f, v13
	v_cmp_ne_u32_e64 s[18:19], s69, v5
	v_mov_b32_e32 v3, 0x7f800001
	s_and_saveexec_b64 s[58:59], s[18:19]
	s_cbranch_execz .LBB2_2662
; %bb.2661:                             ;   in Loop: Header=BB2_2364 Depth=2
	v_and_b32_e32 v3, 7, v13
	v_ffbh_u32_e32 v3, v3
	v_min_u32_e32 v3, 32, v3
	v_subrev_u32_e32 v9, 28, v3
	v_cmp_gt_u32_e64 s[18:19], 8, v5
	v_mov_b32_e32 v6, v13
	v_mov_b32_e32 v7, v53
	v_lshrrev_b32_e32 v8, 3, v5
	v_sub_u32_e32 v3, 29, v3
	v_cndmask_b32_e64 v5, 0, v9, s[18:19]
	v_cndmask_b32_e64 v3, v8, v3, s[18:19]
	v_lshlrev_b64 v[8:9], v5, v[6:7]
	v_lshlrev_b32_e32 v5, 20, v8
	v_lshlrev_b32_e32 v6, 24, v6
	v_and_b32_e32 v5, 0x700000, v5
	v_and_b32_e32 v6, 0x80000000, v6
	v_lshl_add_u32 v3, v3, 23, v27
	v_or3_b32 v3, v6, v3, v5
.LBB2_2662:                             ;   in Loop: Header=BB2_2364 Depth=2
	s_or_b64 exec, exec, s[58:59]
.LBB2_2663:                             ;   in Loop: Header=BB2_2364 Depth=2
	s_or_b64 exec, exec, s[56:57]
.LBB2_2664:                             ;   in Loop: Header=BB2_2364 Depth=2
	s_or_b64 exec, exec, s[20:21]
	v_add_f32_e32 v48, v2, v3
	v_and_b32_sdwa v10, v48, s68 dst_sel:DWORD dst_unused:UNUSED_PAD src0_sel:BYTE_3 src1_sel:DWORD
	v_and_b32_e32 v6, 0x7f800000, v48
	v_mov_b32_e32 v7, v53
	v_and_b32_e32 v2, 0x7fffff, v48
	v_mov_b32_e32 v3, v53
	v_or_b32_e32 v5, 0x7e, v10
	v_cmp_ne_u64_e64 s[18:19], s[38:39], v[6:7]
	s_and_saveexec_b64 s[20:21], s[18:19]
	s_xor_b64 s[56:57], exec, s[20:21]
	s_cbranch_execz .LBB2_2674
; %bb.2665:                             ;   in Loop: Header=BB2_2364 Depth=2
	v_and_b32_e32 v6, 0x7fffffff, v48
	v_mov_b32_e32 v7, v53
	v_cmp_gt_u64_e64 s[18:19], s[40:41], v[6:7]
	s_and_saveexec_b64 s[58:59], s[18:19]
	s_cbranch_execz .LBB2_2673
; %bb.2666:                             ;   in Loop: Header=BB2_2364 Depth=2
	v_cmp_ne_u32_e64 s[18:19], 0, v48
	v_mov_b32_e32 v5, 0
	s_and_saveexec_b64 s[60:61], s[18:19]
	s_cbranch_execz .LBB2_2672
; %bb.2667:                             ;   in Loop: Header=BB2_2364 Depth=2
	v_bfe_u32 v5, v48, 23, 8
	v_sub_u32_e32 v7, 0x79, v5
	v_cmp_gt_u32_e64 s[18:19], s71, v5
	v_add_u32_e32 v6, 0xffffff81, v5
	v_cndmask_b32_e64 v7, 0, v7, s[18:19]
	v_cmp_eq_u32_e64 s[18:19], 0, v5
	v_mov_b32_e32 v5, 0xffffff82
	v_cndmask_b32_e64 v5, v6, v5, s[18:19]
	v_mov_b32_e32 v6, 0x78
	v_cndmask_b32_e64 v48, v7, v6, s[18:19]
	v_add_u32_e32 v6, 20, v48
	v_or_b32_e32 v8, 0x800000, v2
	v_lshlrev_b64 v[6:7], v6, -1
	v_cndmask_b32_e64 v2, v8, v2, s[18:19]
	v_not_b32_e32 v6, v6
	v_and_b32_e32 v6, v2, v6
	v_lshrrev_b64 v[2:3], v48, v[2:3]
	v_not_b32_e32 v7, v7
	v_add_u32_e32 v8, 19, v48
	v_lshrrev_b32_e32 v49, 23, v2
	v_and_b32_e32 v7, 0, v7
	v_lshlrev_b64 v[8:9], v8, 1
	v_add3_u32 v49, v48, v5, v49
	v_bfe_u32 v5, v2, 20, 1
	v_add_u32_e32 v5, -1, v5
	v_cmp_eq_u64_e64 s[18:19], v[6:7], v[8:9]
	v_cndmask_b32_e64 v5, 0, v5, s[18:19]
	v_add_u32_e32 v5, v5, v2
	v_and_b32_e32 v5, 0xfffff, v5
	v_add_co_u32_e64 v2, s[18:19], v5, v2
	v_add_u32_e32 v48, 6, v49
	v_addc_co_u32_e64 v3, s[18:19], 0, v3, s[18:19]
	v_cmp_ne_u32_e64 s[18:19], 0, v48
                                        ; implicit-def: $vgpr5
	s_and_saveexec_b64 s[20:21], s[18:19]
	s_xor_b64 s[20:21], exec, s[20:21]
; %bb.2668:                             ;   in Loop: Header=BB2_2364 Depth=2
	v_cmp_lt_u64_e64 s[18:19], s[44:45], v[2:3]
	v_add_u32_e32 v5, 7, v49
	v_cndmask_b32_e64 v6, 0, 1, s[18:19]
	v_cndmask_b32_e64 v5, v48, v5, s[18:19]
	v_lshrrev_b64 v[2:3], v6, v[2:3]
; %bb.2669:                             ;   in Loop: Header=BB2_2364 Depth=2
	s_andn2_saveexec_b64 s[18:19], s[20:21]
; %bb.2670:                             ;   in Loop: Header=BB2_2364 Depth=2
	v_bfe_u32 v5, v2, 23, 1
; %bb.2671:                             ;   in Loop: Header=BB2_2364 Depth=2
	s_or_b64 exec, exec, s[18:19]
	v_lshrrev_b64 v[2:3], 20, v[2:3]
	v_cmp_gt_i32_e64 s[18:19], 16, v5
	v_cndmask_b32_e64 v3, 0, v3, s[18:19]
	v_cndmask_b32_e64 v2, 7, v2, s[18:19]
	v_cmp_eq_u64_e64 s[20:21], 0, v[2:3]
	v_min_i32_e32 v3, 15, v5
	v_cmp_eq_u32_e64 s[18:19], 0, v5
	v_lshlrev_b32_e32 v3, 3, v3
	v_and_or_b32 v2, v2, 7, v3
	s_and_b64 s[18:19], s[18:19], s[20:21]
	v_cndmask_b32_e64 v2, v2, 0, s[18:19]
	v_or_b32_e32 v5, v2, v10
.LBB2_2672:                             ;   in Loop: Header=BB2_2364 Depth=2
	s_or_b64 exec, exec, s[60:61]
.LBB2_2673:                             ;   in Loop: Header=BB2_2364 Depth=2
	s_or_b64 exec, exec, s[58:59]
                                        ; implicit-def: $vgpr48
                                        ; implicit-def: $vgpr2_vgpr3
.LBB2_2674:                             ;   in Loop: Header=BB2_2364 Depth=2
	s_andn2_saveexec_b64 s[20:21], s[56:57]
; %bb.2675:                             ;   in Loop: Header=BB2_2364 Depth=2
	v_or_b32_sdwa v6, v48, s69 dst_sel:DWORD dst_unused:UNUSED_PAD src0_sel:BYTE_3 src1_sel:DWORD
	v_cmp_eq_u64_e64 s[18:19], 0, v[2:3]
	v_cndmask_b32_e64 v5, v6, v5, s[18:19]
; %bb.2676:                             ;   in Loop: Header=BB2_2364 Depth=2
	s_or_b64 exec, exec, s[20:21]
	v_lshrrev_b16_e32 v2, 8, v52
	v_cmp_ne_u16_e64 s[18:19], 0, v2
	v_mov_b32_e32 v3, 0
	v_mov_b32_e32 v48, 0
	s_and_saveexec_b64 s[20:21], s[18:19]
	s_cbranch_execz .LBB2_2682
; %bb.2677:                             ;   in Loop: Header=BB2_2364 Depth=2
	v_cmp_ne_u16_e64 s[18:19], s68, v2
	v_bfrev_b32_e32 v48, 1
	s_and_saveexec_b64 s[56:57], s[18:19]
	s_cbranch_execz .LBB2_2681
; %bb.2678:                             ;   in Loop: Header=BB2_2364 Depth=2
	v_and_b32_e32 v10, 0x7f, v2
	v_cmp_ne_u32_e64 s[18:19], s69, v10
	v_mov_b32_e32 v48, 0x7f800001
	s_and_saveexec_b64 s[58:59], s[18:19]
	s_cbranch_execz .LBB2_2680
; %bb.2679:                             ;   in Loop: Header=BB2_2364 Depth=2
	v_and_b32_e32 v8, 7, v2
	v_ffbh_u32_e32 v6, v8
	v_min_u32_e32 v48, 32, v6
	v_subrev_u32_e32 v6, 28, v48
	v_lshlrev_b64 v[6:7], v6, v[2:3]
	v_lshrrev_b32_e32 v9, 3, v10
	v_sub_u32_e32 v2, 29, v48
	v_and_b32_e32 v6, 7, v6
	v_cmp_gt_u32_e64 s[18:19], 8, v10
	v_cndmask_b32_e64 v2, v9, v2, s[18:19]
	v_cndmask_b32_e64 v6, v8, v6, s[18:19]
	v_lshlrev_b32_e32 v7, 16, v52
	v_lshlrev_b32_e32 v6, 20, v6
	v_and_b32_e32 v7, 0x80000000, v7
	v_lshl_add_u32 v2, v2, 23, v27
	v_or3_b32 v48, v7, v2, v6
.LBB2_2680:                             ;   in Loop: Header=BB2_2364 Depth=2
	s_or_b64 exec, exec, s[58:59]
.LBB2_2681:                             ;   in Loop: Header=BB2_2364 Depth=2
	s_or_b64 exec, exec, s[56:57]
.LBB2_2682:                             ;   in Loop: Header=BB2_2364 Depth=2
	s_or_b64 exec, exec, s[20:21]
	v_mov_b32_e32 v2, v13
	v_lshrrev_b16_e32 v10, 8, v2
	v_cmp_ne_u16_e64 s[18:19], 0, v10
	s_and_saveexec_b64 s[20:21], s[18:19]
	s_cbranch_execz .LBB2_2688
; %bb.2683:                             ;   in Loop: Header=BB2_2364 Depth=2
	v_cmp_ne_u16_e64 s[18:19], s68, v10
	v_bfrev_b32_e32 v3, 1
	s_and_saveexec_b64 s[56:57], s[18:19]
	s_cbranch_execz .LBB2_2687
; %bb.2684:                             ;   in Loop: Header=BB2_2364 Depth=2
	v_and_b32_e32 v49, 0x7f, v10
	v_cmp_ne_u32_e64 s[18:19], s69, v49
	v_mov_b32_e32 v3, 0x7f800001
	s_and_saveexec_b64 s[58:59], s[18:19]
	s_cbranch_execz .LBB2_2686
; %bb.2685:                             ;   in Loop: Header=BB2_2364 Depth=2
	v_and_b32_e32 v3, 7, v10
	v_ffbh_u32_e32 v6, v3
	v_min_u32_e32 v9, 32, v6
	v_subrev_u32_e32 v6, 28, v9
	v_lshlrev_b64 v[6:7], v6, v[10:11]
	v_lshrrev_b32_e32 v8, 3, v49
	v_sub_u32_e32 v7, 29, v9
	v_and_b32_e32 v6, 7, v6
	v_cmp_gt_u32_e64 s[18:19], 8, v49
	v_cndmask_b32_e64 v7, v8, v7, s[18:19]
	v_cndmask_b32_e64 v3, v3, v6, s[18:19]
	v_lshlrev_b32_e32 v2, 16, v2
	v_lshlrev_b32_e32 v3, 20, v3
	v_and_b32_e32 v2, 0x80000000, v2
	v_lshl_add_u32 v6, v7, 23, v27
	v_or3_b32 v3, v2, v6, v3
.LBB2_2686:                             ;   in Loop: Header=BB2_2364 Depth=2
	s_or_b64 exec, exec, s[58:59]
.LBB2_2687:                             ;   in Loop: Header=BB2_2364 Depth=2
	s_or_b64 exec, exec, s[56:57]
.LBB2_2688:                             ;   in Loop: Header=BB2_2364 Depth=2
	s_or_b64 exec, exec, s[20:21]
	v_add_f32_e32 v2, v48, v3
	v_and_b32_sdwa v48, v2, s68 dst_sel:DWORD dst_unused:UNUSED_PAD src0_sel:BYTE_3 src1_sel:DWORD
	v_and_b32_e32 v6, 0x7f800000, v2
	v_mov_b32_e32 v7, v53
	v_and_b32_e32 v52, 0x7fffff, v2
	v_or_b32_e32 v10, 0x7e, v48
	v_cmp_ne_u64_e64 s[18:19], s[38:39], v[6:7]
	s_and_saveexec_b64 s[20:21], s[18:19]
	s_xor_b64 s[56:57], exec, s[20:21]
	s_cbranch_execz .LBB2_2698
; %bb.2689:                             ;   in Loop: Header=BB2_2364 Depth=2
	v_and_b32_e32 v6, 0x7fffffff, v2
	v_mov_b32_e32 v7, v53
	v_cmp_gt_u64_e64 s[18:19], s[40:41], v[6:7]
	s_and_saveexec_b64 s[58:59], s[18:19]
	s_cbranch_execz .LBB2_2697
; %bb.2690:                             ;   in Loop: Header=BB2_2364 Depth=2
	v_cmp_ne_u32_e64 s[18:19], 0, v2
	v_mov_b32_e32 v10, 0
	s_and_saveexec_b64 s[60:61], s[18:19]
	s_cbranch_execz .LBB2_2696
; %bb.2691:                             ;   in Loop: Header=BB2_2364 Depth=2
	v_bfe_u32 v2, v2, 23, 8
	v_sub_u32_e32 v6, 0x79, v2
	v_cmp_gt_u32_e64 s[18:19], s71, v2
	v_add_u32_e32 v3, 0xffffff81, v2
	v_cndmask_b32_e64 v6, 0, v6, s[18:19]
	v_cmp_eq_u32_e64 s[18:19], 0, v2
	v_mov_b32_e32 v2, 0xffffff82
	v_cndmask_b32_e64 v10, v3, v2, s[18:19]
	v_mov_b32_e32 v2, 0x78
	v_or_b32_e32 v7, 0x800000, v52
	v_cndmask_b32_e64 v49, v6, v2, s[18:19]
	v_cndmask_b32_e64 v52, v7, v52, s[18:19]
	v_add_u32_e32 v2, 20, v49
	v_lshlrev_b64 v[2:3], v2, -1
	v_lshrrev_b64 v[8:9], v49, v[52:53]
	v_not_b32_e32 v3, v3
	v_not_b32_e32 v2, v2
	v_add_u32_e32 v6, 19, v49
	v_lshrrev_b32_e32 v51, 23, v8
	v_and_b32_e32 v3, 0, v3
	v_and_b32_e32 v2, v52, v2
	v_lshlrev_b64 v[6:7], v6, 1
	v_add3_u32 v51, v49, v10, v51
	v_bfe_u32 v10, v8, 20, 1
	v_add_u32_e32 v10, -1, v10
	v_cmp_eq_u64_e64 s[18:19], v[2:3], v[6:7]
	v_cndmask_b32_e64 v2, 0, v10, s[18:19]
	v_add_u32_e32 v2, v2, v8
	v_and_b32_e32 v2, 0xfffff, v2
	v_add_co_u32_e64 v2, s[18:19], v2, v8
	v_add_u32_e32 v49, 6, v51
	v_addc_co_u32_e64 v3, s[18:19], 0, v9, s[18:19]
	v_cmp_ne_u32_e64 s[18:19], 0, v49
                                        ; implicit-def: $vgpr10
	s_and_saveexec_b64 s[20:21], s[18:19]
	s_xor_b64 s[20:21], exec, s[20:21]
; %bb.2692:                             ;   in Loop: Header=BB2_2364 Depth=2
	v_add_u32_e32 v6, 7, v51
	v_cmp_lt_u64_e64 s[18:19], s[44:45], v[2:3]
	v_cndmask_b32_e64 v10, v49, v6, s[18:19]
	v_cndmask_b32_e64 v6, 0, 1, s[18:19]
	v_lshrrev_b64 v[2:3], v6, v[2:3]
; %bb.2693:                             ;   in Loop: Header=BB2_2364 Depth=2
	s_andn2_saveexec_b64 s[18:19], s[20:21]
; %bb.2694:                             ;   in Loop: Header=BB2_2364 Depth=2
	v_bfe_u32 v10, v2, 23, 1
; %bb.2695:                             ;   in Loop: Header=BB2_2364 Depth=2
	s_or_b64 exec, exec, s[18:19]
	v_lshrrev_b64 v[2:3], 20, v[2:3]
	v_cmp_gt_i32_e64 s[18:19], 16, v10
	v_cndmask_b32_e64 v3, 0, v3, s[18:19]
	v_cndmask_b32_e64 v2, 7, v2, s[18:19]
	v_cmp_eq_u64_e64 s[20:21], 0, v[2:3]
	v_min_i32_e32 v3, 15, v10
	v_cmp_eq_u32_e64 s[18:19], 0, v10
	v_lshlrev_b32_e32 v3, 3, v3
	v_and_or_b32 v2, v2, 7, v3
	s_and_b64 s[18:19], s[18:19], s[20:21]
	v_cndmask_b32_e64 v2, v2, 0, s[18:19]
	v_or_b32_e32 v10, v2, v48
.LBB2_2696:                             ;   in Loop: Header=BB2_2364 Depth=2
	s_or_b64 exec, exec, s[60:61]
.LBB2_2697:                             ;   in Loop: Header=BB2_2364 Depth=2
	s_or_b64 exec, exec, s[58:59]
                                        ; implicit-def: $vgpr2
.LBB2_2698:                             ;   in Loop: Header=BB2_2364 Depth=2
	s_andn2_saveexec_b64 s[20:21], s[56:57]
; %bb.2699:                             ;   in Loop: Header=BB2_2364 Depth=2
	v_or_b32_sdwa v2, v2, s69 dst_sel:DWORD dst_unused:UNUSED_PAD src0_sel:BYTE_3 src1_sel:DWORD
	v_cmp_eq_u64_e64 s[18:19], 0, v[52:53]
	v_cndmask_b32_e64 v10, v2, v10, s[18:19]
; %bb.2700:                             ;   in Loop: Header=BB2_2364 Depth=2
	s_or_b64 exec, exec, s[20:21]
	v_lshrrev_b32_e32 v2, 16, v17
	v_cmp_ne_u16_sdwa s[18:19], v2, v53 src0_sel:BYTE_0 src1_sel:DWORD
	v_mov_b32_e32 v3, 0
	v_mov_b32_e32 v48, 0
	s_and_saveexec_b64 s[20:21], s[18:19]
	s_cbranch_execz .LBB2_2706
; %bb.2701:                             ;   in Loop: Header=BB2_2364 Depth=2
	v_cmp_ne_u16_sdwa s[18:19], v2, s68 src0_sel:BYTE_0 src1_sel:DWORD
	v_bfrev_b32_e32 v48, 1
	s_and_saveexec_b64 s[56:57], s[18:19]
	s_cbranch_execz .LBB2_2705
; %bb.2702:                             ;   in Loop: Header=BB2_2364 Depth=2
	v_bfe_u32 v49, v17, 16, 7
	v_cmp_ne_u32_e64 s[18:19], s69, v49
	v_mov_b32_e32 v48, 0x7f800001
	s_and_saveexec_b64 s[58:59], s[18:19]
	s_cbranch_execz .LBB2_2704
; %bb.2703:                             ;   in Loop: Header=BB2_2364 Depth=2
	v_and_b32_e32 v8, 7, v2
	v_ffbh_u32_e32 v6, v8
	v_min_u32_e32 v48, 32, v6
	v_subrev_u32_e32 v6, 28, v48
	v_lshlrev_b64 v[6:7], v6, v[2:3]
	v_lshrrev_b32_e32 v9, 3, v49
	v_sub_u32_e32 v7, 29, v48
	v_and_b32_e32 v6, 7, v6
	v_cmp_gt_u32_e64 s[18:19], 8, v49
	v_cndmask_b32_e64 v7, v9, v7, s[18:19]
	v_cndmask_b32_e64 v6, v8, v6, s[18:19]
	v_lshlrev_b32_e32 v2, 24, v2
	v_lshlrev_b32_e32 v6, 20, v6
	v_and_b32_e32 v2, 0x80000000, v2
	v_lshl_add_u32 v7, v7, 23, v27
	v_or3_b32 v48, v2, v7, v6
.LBB2_2704:                             ;   in Loop: Header=BB2_2364 Depth=2
	s_or_b64 exec, exec, s[58:59]
.LBB2_2705:                             ;   in Loop: Header=BB2_2364 Depth=2
	s_or_b64 exec, exec, s[56:57]
.LBB2_2706:                             ;   in Loop: Header=BB2_2364 Depth=2
	s_or_b64 exec, exec, s[20:21]
	v_lshrrev_b32_e32 v2, 16, v13
	v_cmp_ne_u16_sdwa s[18:19], v2, v53 src0_sel:BYTE_0 src1_sel:DWORD
	s_and_saveexec_b64 s[20:21], s[18:19]
	s_cbranch_execz .LBB2_2712
; %bb.2707:                             ;   in Loop: Header=BB2_2364 Depth=2
	v_cmp_ne_u16_sdwa s[18:19], v2, s68 src0_sel:BYTE_0 src1_sel:DWORD
	v_bfrev_b32_e32 v3, 1
	s_and_saveexec_b64 s[56:57], s[18:19]
	s_cbranch_execz .LBB2_2711
; %bb.2708:                             ;   in Loop: Header=BB2_2364 Depth=2
	v_bfe_u32 v49, v13, 16, 7
	v_cmp_ne_u32_e64 s[18:19], s69, v49
	v_mov_b32_e32 v3, 0x7f800001
	s_and_saveexec_b64 s[58:59], s[18:19]
	s_cbranch_execz .LBB2_2710
; %bb.2709:                             ;   in Loop: Header=BB2_2364 Depth=2
	v_and_b32_e32 v6, 7, v2
	v_ffbh_u32_e32 v3, v6
	v_min_u32_e32 v8, 32, v3
	v_subrev_u32_e32 v3, 28, v8
	v_lshlrev_b64 v[2:3], v3, v[2:3]
	v_lshrrev_b32_e32 v7, 3, v49
	v_sub_u32_e32 v3, 29, v8
	v_and_b32_e32 v2, 7, v2
	v_cmp_gt_u32_e64 s[18:19], 8, v49
	v_cndmask_b32_e64 v3, v7, v3, s[18:19]
	v_cndmask_b32_e64 v2, v6, v2, s[18:19]
	v_lshlrev_b32_e32 v6, 8, v13
	v_lshlrev_b32_e32 v2, 20, v2
	v_and_b32_e32 v6, 0x80000000, v6
	v_lshl_add_u32 v3, v3, 23, v27
	v_or3_b32 v3, v6, v3, v2
.LBB2_2710:                             ;   in Loop: Header=BB2_2364 Depth=2
	s_or_b64 exec, exec, s[58:59]
.LBB2_2711:                             ;   in Loop: Header=BB2_2364 Depth=2
	s_or_b64 exec, exec, s[56:57]
.LBB2_2712:                             ;   in Loop: Header=BB2_2364 Depth=2
	s_or_b64 exec, exec, s[20:21]
	v_add_f32_e32 v2, v48, v3
	v_and_b32_sdwa v49, v2, s68 dst_sel:DWORD dst_unused:UNUSED_PAD src0_sel:BYTE_3 src1_sel:DWORD
	v_and_b32_e32 v6, 0x7f800000, v2
	v_mov_b32_e32 v7, v53
	v_and_b32_e32 v52, 0x7fffff, v2
	v_or_b32_e32 v48, 0x7e, v49
	v_cmp_ne_u64_e64 s[18:19], s[38:39], v[6:7]
	s_and_saveexec_b64 s[20:21], s[18:19]
	s_xor_b64 s[56:57], exec, s[20:21]
	s_cbranch_execz .LBB2_2722
; %bb.2713:                             ;   in Loop: Header=BB2_2364 Depth=2
	v_and_b32_e32 v6, 0x7fffffff, v2
	v_mov_b32_e32 v7, v53
	v_cmp_gt_u64_e64 s[18:19], s[40:41], v[6:7]
	s_and_saveexec_b64 s[58:59], s[18:19]
	s_cbranch_execz .LBB2_2721
; %bb.2714:                             ;   in Loop: Header=BB2_2364 Depth=2
	v_cmp_ne_u32_e64 s[18:19], 0, v2
	v_mov_b32_e32 v48, 0
	s_and_saveexec_b64 s[60:61], s[18:19]
	s_cbranch_execz .LBB2_2720
; %bb.2715:                             ;   in Loop: Header=BB2_2364 Depth=2
	v_bfe_u32 v2, v2, 23, 8
	v_sub_u32_e32 v6, 0x79, v2
	v_cmp_gt_u32_e64 s[18:19], s71, v2
	v_add_u32_e32 v3, 0xffffff81, v2
	v_cndmask_b32_e64 v6, 0, v6, s[18:19]
	v_cmp_eq_u32_e64 s[18:19], 0, v2
	v_mov_b32_e32 v2, 0xffffff82
	v_cndmask_b32_e64 v48, v3, v2, s[18:19]
	v_mov_b32_e32 v2, 0x78
	v_cndmask_b32_e64 v51, v6, v2, s[18:19]
	v_or_b32_e32 v7, 0x800000, v52
	v_add_u32_e32 v2, 20, v51
	v_cndmask_b32_e64 v52, v7, v52, s[18:19]
	v_lshlrev_b64 v[2:3], v2, -1
	v_not_b32_e32 v2, v2
	v_lshrrev_b64 v[8:9], v51, v[52:53]
	v_not_b32_e32 v3, v3
	v_and_b32_e32 v2, v52, v2
	v_add_u32_e32 v6, 19, v51
	v_lshrrev_b32_e32 v52, 23, v8
	v_and_b32_e32 v3, 0, v3
	v_lshlrev_b64 v[6:7], v6, 1
	v_add3_u32 v52, v51, v48, v52
	v_bfe_u32 v48, v8, 20, 1
	v_add_u32_e32 v48, -1, v48
	v_cmp_eq_u64_e64 s[18:19], v[2:3], v[6:7]
	v_cndmask_b32_e64 v2, 0, v48, s[18:19]
	v_add_u32_e32 v2, v2, v8
	v_and_b32_e32 v2, 0xfffff, v2
	v_add_co_u32_e64 v2, s[18:19], v2, v8
	v_add_u32_e32 v51, 6, v52
	v_addc_co_u32_e64 v3, s[18:19], 0, v9, s[18:19]
	v_cmp_ne_u32_e64 s[18:19], 0, v51
                                        ; implicit-def: $vgpr48
	s_and_saveexec_b64 s[20:21], s[18:19]
	s_xor_b64 s[20:21], exec, s[20:21]
; %bb.2716:                             ;   in Loop: Header=BB2_2364 Depth=2
	v_add_u32_e32 v6, 7, v52
	v_cmp_lt_u64_e64 s[18:19], s[44:45], v[2:3]
	v_cndmask_b32_e64 v48, v51, v6, s[18:19]
	v_cndmask_b32_e64 v6, 0, 1, s[18:19]
	v_lshrrev_b64 v[2:3], v6, v[2:3]
; %bb.2717:                             ;   in Loop: Header=BB2_2364 Depth=2
	s_andn2_saveexec_b64 s[18:19], s[20:21]
; %bb.2718:                             ;   in Loop: Header=BB2_2364 Depth=2
	v_bfe_u32 v48, v2, 23, 1
; %bb.2719:                             ;   in Loop: Header=BB2_2364 Depth=2
	s_or_b64 exec, exec, s[18:19]
	v_lshrrev_b64 v[2:3], 20, v[2:3]
	v_cmp_gt_i32_e64 s[18:19], 16, v48
	v_cndmask_b32_e64 v3, 0, v3, s[18:19]
	v_cndmask_b32_e64 v2, 7, v2, s[18:19]
	v_cmp_eq_u64_e64 s[20:21], 0, v[2:3]
	v_min_i32_e32 v3, 15, v48
	v_lshlrev_b32_e32 v3, 3, v3
	v_cmp_eq_u32_e64 s[18:19], 0, v48
	v_and_b32_e32 v3, 0xf8, v3
	v_and_or_b32 v2, v2, 7, v3
	s_and_b64 s[18:19], s[18:19], s[20:21]
	v_cndmask_b32_e64 v2, v2, 0, s[18:19]
	v_or_b32_e32 v48, v2, v49
.LBB2_2720:                             ;   in Loop: Header=BB2_2364 Depth=2
	s_or_b64 exec, exec, s[60:61]
.LBB2_2721:                             ;   in Loop: Header=BB2_2364 Depth=2
	s_or_b64 exec, exec, s[58:59]
                                        ; implicit-def: $vgpr2
.LBB2_2722:                             ;   in Loop: Header=BB2_2364 Depth=2
	s_andn2_saveexec_b64 s[20:21], s[56:57]
; %bb.2723:                             ;   in Loop: Header=BB2_2364 Depth=2
	v_or_b32_sdwa v2, v2, s69 dst_sel:DWORD dst_unused:UNUSED_PAD src0_sel:BYTE_3 src1_sel:DWORD
	v_cmp_eq_u64_e64 s[18:19], 0, v[52:53]
	v_cndmask_b32_e64 v48, v2, v48, s[18:19]
; %bb.2724:                             ;   in Loop: Header=BB2_2364 Depth=2
	s_or_b64 exec, exec, s[20:21]
	v_cmp_lt_u64_e64 s[18:19], s[42:43], v[16:17]
	v_mov_b32_e32 v3, 0
	v_mov_b32_e32 v16, 0
	s_and_saveexec_b64 s[20:21], s[18:19]
	s_cbranch_execz .LBB2_2730
; %bb.2725:                             ;   in Loop: Header=BB2_2364 Depth=2
	v_lshrrev_b32_e32 v2, 24, v17
	v_cmp_ne_u32_e64 s[18:19], s68, v2
	v_bfrev_b32_e32 v16, 1
	s_and_saveexec_b64 s[56:57], s[18:19]
	s_cbranch_execz .LBB2_2729
; %bb.2726:                             ;   in Loop: Header=BB2_2364 Depth=2
	v_bfe_u32 v17, v17, 24, 7
	v_cmp_ne_u32_e64 s[18:19], s69, v17
	v_mov_b32_e32 v16, 0x7f800001
	s_and_saveexec_b64 s[58:59], s[18:19]
	s_cbranch_execz .LBB2_2728
; %bb.2727:                             ;   in Loop: Header=BB2_2364 Depth=2
	v_and_b32_e32 v8, 7, v2
	v_ffbh_u32_e32 v6, v8
	v_min_u32_e32 v16, 32, v6
	v_subrev_u32_e32 v6, 28, v16
	v_lshlrev_b64 v[6:7], v6, v[2:3]
	v_lshrrev_b32_e32 v9, 3, v17
	v_sub_u32_e32 v7, 29, v16
	v_and_b32_e32 v6, 7, v6
	v_cmp_gt_u32_e64 s[18:19], 8, v17
	v_cndmask_b32_e64 v7, v9, v7, s[18:19]
	v_cndmask_b32_e64 v6, v8, v6, s[18:19]
	v_lshlrev_b32_e32 v2, 24, v2
	v_lshlrev_b32_e32 v6, 20, v6
	v_and_b32_e32 v2, 0x80000000, v2
	v_lshl_add_u32 v7, v7, 23, v27
	v_or3_b32 v16, v2, v7, v6
.LBB2_2728:                             ;   in Loop: Header=BB2_2364 Depth=2
	s_or_b64 exec, exec, s[58:59]
.LBB2_2729:                             ;   in Loop: Header=BB2_2364 Depth=2
	s_or_b64 exec, exec, s[56:57]
.LBB2_2730:                             ;   in Loop: Header=BB2_2364 Depth=2
	s_or_b64 exec, exec, s[20:21]
	v_cmp_lt_u64_e64 s[18:19], s[42:43], v[12:13]
	s_and_saveexec_b64 s[20:21], s[18:19]
	s_cbranch_execz .LBB2_2736
; %bb.2731:                             ;   in Loop: Header=BB2_2364 Depth=2
	v_lshrrev_b32_e32 v2, 24, v13
	v_cmp_ne_u32_e64 s[18:19], s68, v2
	v_bfrev_b32_e32 v3, 1
	s_and_saveexec_b64 s[56:57], s[18:19]
	s_cbranch_execz .LBB2_2735
; %bb.2732:                             ;   in Loop: Header=BB2_2364 Depth=2
	v_bfe_u32 v12, v13, 24, 7
	v_cmp_ne_u32_e64 s[18:19], s69, v12
	v_mov_b32_e32 v3, 0x7f800001
	s_and_saveexec_b64 s[58:59], s[18:19]
	s_cbranch_execz .LBB2_2734
; %bb.2733:                             ;   in Loop: Header=BB2_2364 Depth=2
	v_and_b32_e32 v3, 7, v2
	v_ffbh_u32_e32 v6, v3
	v_min_u32_e32 v9, 32, v6
	v_subrev_u32_e32 v6, 28, v9
	v_lshlrev_b64 v[6:7], v6, v[2:3]
	v_lshrrev_b32_e32 v8, 3, v12
	v_sub_u32_e32 v7, 29, v9
	v_and_b32_e32 v6, 7, v6
	v_cmp_gt_u32_e64 s[18:19], 8, v12
	v_cndmask_b32_e64 v7, v8, v7, s[18:19]
	v_cndmask_b32_e64 v3, v3, v6, s[18:19]
	v_lshlrev_b32_e32 v2, 24, v2
	v_lshlrev_b32_e32 v3, 20, v3
	v_and_b32_e32 v2, 0x80000000, v2
	v_lshl_add_u32 v6, v7, 23, v27
	v_or3_b32 v3, v2, v6, v3
.LBB2_2734:                             ;   in Loop: Header=BB2_2364 Depth=2
	s_or_b64 exec, exec, s[58:59]
.LBB2_2735:                             ;   in Loop: Header=BB2_2364 Depth=2
	s_or_b64 exec, exec, s[56:57]
.LBB2_2736:                             ;   in Loop: Header=BB2_2364 Depth=2
	s_or_b64 exec, exec, s[20:21]
	v_add_f32_e32 v3, v16, v3
	v_and_b32_sdwa v12, v3, s68 dst_sel:DWORD dst_unused:UNUSED_PAD src0_sel:BYTE_3 src1_sel:DWORD
	v_and_b32_e32 v6, 0x7f800000, v3
	v_mov_b32_e32 v7, v53
	v_and_b32_e32 v52, 0x7fffff, v3
	v_or_b32_e32 v2, 0x7e, v12
	v_cmp_ne_u64_e64 s[18:19], s[38:39], v[6:7]
	s_and_saveexec_b64 s[20:21], s[18:19]
	s_xor_b64 s[56:57], exec, s[20:21]
	s_cbranch_execz .LBB2_2746
; %bb.2737:                             ;   in Loop: Header=BB2_2364 Depth=2
	v_and_b32_e32 v6, 0x7fffffff, v3
	v_mov_b32_e32 v7, v53
	v_cmp_gt_u64_e64 s[18:19], s[40:41], v[6:7]
	s_and_saveexec_b64 s[58:59], s[18:19]
	s_cbranch_execz .LBB2_2745
; %bb.2738:                             ;   in Loop: Header=BB2_2364 Depth=2
	v_cmp_ne_u32_e64 s[18:19], 0, v3
	v_mov_b32_e32 v2, 0
	s_and_saveexec_b64 s[60:61], s[18:19]
	s_cbranch_execz .LBB2_2744
; %bb.2739:                             ;   in Loop: Header=BB2_2364 Depth=2
	v_bfe_u32 v2, v3, 23, 8
	v_sub_u32_e32 v6, 0x79, v2
	v_cmp_gt_u32_e64 s[18:19], s71, v2
	v_add_u32_e32 v3, 0xffffff81, v2
	v_cndmask_b32_e64 v6, 0, v6, s[18:19]
	v_cmp_eq_u32_e64 s[18:19], 0, v2
	v_mov_b32_e32 v2, 0xffffff82
	v_cndmask_b32_e64 v13, v3, v2, s[18:19]
	v_mov_b32_e32 v2, 0x78
	v_or_b32_e32 v7, 0x800000, v52
	v_cndmask_b32_e64 v16, v6, v2, s[18:19]
	v_cndmask_b32_e64 v52, v7, v52, s[18:19]
	v_add_u32_e32 v2, 20, v16
	v_lshlrev_b64 v[2:3], v2, -1
	v_lshrrev_b64 v[8:9], v16, v[52:53]
	v_not_b32_e32 v3, v3
	v_not_b32_e32 v2, v2
	v_add_u32_e32 v6, 19, v16
	v_lshrrev_b32_e32 v17, 23, v8
	v_and_b32_e32 v3, 0, v3
	v_and_b32_e32 v2, v52, v2
	v_lshlrev_b64 v[6:7], v6, 1
	v_add3_u32 v17, v16, v13, v17
	v_bfe_u32 v13, v8, 20, 1
	v_add_u32_e32 v13, -1, v13
	v_cmp_eq_u64_e64 s[18:19], v[2:3], v[6:7]
	v_cndmask_b32_e64 v2, 0, v13, s[18:19]
	v_add_u32_e32 v2, v2, v8
	v_and_b32_e32 v2, 0xfffff, v2
	v_add_co_u32_e64 v2, s[18:19], v2, v8
	v_add_u32_e32 v16, 6, v17
	v_addc_co_u32_e64 v3, s[18:19], 0, v9, s[18:19]
	v_cmp_ne_u32_e64 s[18:19], 0, v16
                                        ; implicit-def: $vgpr13
	s_and_saveexec_b64 s[20:21], s[18:19]
	s_xor_b64 s[20:21], exec, s[20:21]
; %bb.2740:                             ;   in Loop: Header=BB2_2364 Depth=2
	v_add_u32_e32 v6, 7, v17
	v_cmp_lt_u64_e64 s[18:19], s[44:45], v[2:3]
	v_cndmask_b32_e64 v13, v16, v6, s[18:19]
	v_cndmask_b32_e64 v6, 0, 1, s[18:19]
	v_lshrrev_b64 v[2:3], v6, v[2:3]
; %bb.2741:                             ;   in Loop: Header=BB2_2364 Depth=2
	s_andn2_saveexec_b64 s[18:19], s[20:21]
; %bb.2742:                             ;   in Loop: Header=BB2_2364 Depth=2
	v_bfe_u32 v13, v2, 23, 1
; %bb.2743:                             ;   in Loop: Header=BB2_2364 Depth=2
	s_or_b64 exec, exec, s[18:19]
	v_lshrrev_b64 v[2:3], 20, v[2:3]
	v_cmp_gt_i32_e64 s[18:19], 16, v13
	v_cndmask_b32_e64 v3, 0, v3, s[18:19]
	v_cndmask_b32_e64 v2, 7, v2, s[18:19]
	v_cmp_eq_u64_e64 s[20:21], 0, v[2:3]
	v_min_i32_e32 v3, 15, v13
	v_lshlrev_b32_e32 v3, 3, v3
	v_cmp_eq_u32_e64 s[18:19], 0, v13
	v_and_b32_e32 v3, 0xf8, v3
	v_and_or_b32 v2, v2, 7, v3
	s_and_b64 s[18:19], s[18:19], s[20:21]
	v_cndmask_b32_e64 v2, v2, 0, s[18:19]
	v_or_b32_e32 v2, v2, v12
.LBB2_2744:                             ;   in Loop: Header=BB2_2364 Depth=2
	s_or_b64 exec, exec, s[60:61]
.LBB2_2745:                             ;   in Loop: Header=BB2_2364 Depth=2
	s_or_b64 exec, exec, s[58:59]
                                        ; implicit-def: $vgpr3
.LBB2_2746:                             ;   in Loop: Header=BB2_2364 Depth=2
	s_andn2_saveexec_b64 s[20:21], s[56:57]
	s_cbranch_execz .LBB2_2363
; %bb.2747:                             ;   in Loop: Header=BB2_2364 Depth=2
	v_or_b32_sdwa v3, v3, s69 dst_sel:DWORD dst_unused:UNUSED_PAD src0_sel:BYTE_3 src1_sel:DWORD
	v_cmp_eq_u64_e64 s[18:19], 0, v[52:53]
	v_cndmask_b32_e64 v2, v3, v2, s[18:19]
	s_branch .LBB2_2363
.LBB2_2748:                             ;   in Loop: Header=BB2_1518 Depth=1
	s_or_b64 exec, exec, s[54:55]
.LBB2_2749:                             ;   in Loop: Header=BB2_1518 Depth=1
	s_or_b64 exec, exec, s[52:53]
	v_accvgpr_read_b32 v2, a36
	v_and_b32_e32 v3, 15, v2
	v_cndmask_b32_e32 v17, v25, v3, vcc
	s_mov_b64 s[20:21], 0
	v_mov_b32_e32 v16, 0
	v_cmp_ne_u32_e64 s[18:19], 0, v17
                                        ; implicit-def: $vgpr18
                                        ; implicit-def: $vgpr2
	s_mov_b64 s[52:53], exec
	s_and_b64 s[18:19], s[52:53], s[18:19]
	v_accvgpr_read_b32 v6, a34
	s_mov_b64 exec, s[18:19]
	s_cbranch_execz .LBB2_2751
; %bb.2750:                             ;   in Loop: Header=BB2_1518 Depth=1
	v_accvgpr_read_b32 v2, a36
	v_sub_u32_e32 v3, v25, v3
	v_and_b32_e32 v2, 0x3ffffc00, v2
	v_cndmask_b32_e32 v3, 0, v3, vcc
	v_add_u32_e32 v16, v3, v2
	v_cmp_lt_i32_e32 vcc, 0, v1
	v_accvgpr_read_b32 v2, a22
	v_cndmask_b32_e32 v2, 0, v2, vcc
	v_sub_u32_e32 v1, v2, v1
	v_lshl_add_u32 v18, v1, 6, v0
	v_ashrrev_i32_e32 v0, 31, v18
	v_lshrrev_b32_e32 v0, 26, v0
	v_add_u32_e32 v0, v18, v0
	s_mov_b64 s[20:21], exec
	v_ashrrev_i32_e32 v2, 6, v0
.LBB2_2751:                             ;   in Loop: Header=BB2_1518 Depth=1
	s_or_b64 exec, exec, s[52:53]
	s_and_b64 s[18:19], s[20:21], exec
.LBB2_2752:                             ;   in Loop: Header=BB2_1518 Depth=1
	s_or_b64 exec, exec, s[50:51]
	v_accvgpr_read_b32 v29, a31
	v_accvgpr_read_b32 v30, a35
	s_and_saveexec_b64 s[20:21], s[18:19]
	s_cbranch_execz .LBB2_2901
.LBB2_2753:                             ;   in Loop: Header=BB2_1518 Depth=1
	v_ashrrev_i32_e32 v0, 31, v17
	v_add_u32_sdwa v0, v17, v0 dst_sel:DWORD dst_unused:UNUSED_PAD src0_sel:DWORD src1_sel:BYTE_3
	v_ashrrev_i32_e32 v19, 8, v0
	v_sub_u32_e32 v0, v19, v2
	v_ashrrev_i32_e32 v1, 31, v18
	v_cmp_lt_i32_e32 vcc, 0, v0
	v_lshrrev_b32_e32 v1, 26, v1
	s_and_saveexec_b64 s[50:51], vcc
	s_cbranch_execz .LBB2_2869
; %bb.2754:                             ;   in Loop: Header=BB2_1518 Depth=1
	v_add_u32_e32 v3, v18, v1
	v_and_b32_e32 v3, 0xffffffc0, v3
	s_trap 2
	v_sub_u32_e32 v6, v18, v3
	v_lshlrev_b32_e32 v7, 8, v2
	ds_read_b128 v[2:5], v0
	v_add3_u32 v8, v16, v6, v7
	ds_read_b64 v[6:7], v0
	v_ashrrev_i32_e32 v9, 31, v8
	s_mov_b64 s[52:53], 0
	s_waitcnt lgkmcnt(0)
	v_add_co_u32_e32 v10, vcc, v2, v8
	v_addc_co_u32_e32 v11, vcc, v3, v9, vcc
	v_add_co_u32_e32 v12, vcc, v4, v8
	v_addc_co_u32_e32 v13, vcc, v5, v9, vcc
	s_waitcnt lgkmcnt(0)
	v_add_co_u32_e32 v14, vcc, v6, v8
	v_addc_co_u32_e32 v15, vcc, v7, v9, vcc
	s_branch .LBB2_2756
.LBB2_2755:                             ;   in Loop: Header=BB2_2756 Depth=2
	s_or_b64 exec, exec, s[18:19]
	v_add_co_u32_e32 v10, vcc, v10, v29
	v_addc_co_u32_e32 v11, vcc, v11, v61, vcc
	v_add_co_u32_e32 v12, vcc, v12, v29
	v_accvgpr_read_b32 v2, a22
	v_addc_co_u32_e32 v13, vcc, v13, v61, vcc
	v_sub_u32_e32 v0, v0, v2
	v_cmp_gt_i32_e32 vcc, 1, v0
	flat_store_byte v[14:15], v4 glc slc
	flat_store_byte v[14:15], v21 offset:64 glc slc
	flat_store_byte v[14:15], v22 offset:128 glc slc
	;; [unrolled: 1-line block ×3, first 2 shown]
	s_or_b64 s[52:53], vcc, s[52:53]
	v_add_co_u32_e32 v14, vcc, v14, v29
	v_addc_co_u32_e32 v15, vcc, v15, v61, vcc
	s_andn2_b64 exec, exec, s[52:53]
	s_cbranch_execz .LBB2_2868
.LBB2_2756:                             ;   Parent Loop BB2_1518 Depth=1
                                        ; =>  This Inner Loop Header: Depth=2
	flat_load_ubyte v26, v[10:11] glc slc
	flat_load_ubyte v24, v[10:11] offset:64 glc slc
	flat_load_ubyte v23, v[10:11] offset:128 glc slc
	;; [unrolled: 1-line block ×3, first 2 shown]
	flat_load_ubyte v3, v[12:13] glc slc
	flat_load_ubyte v21, v[12:13] offset:64 glc slc
	flat_load_ubyte v22, v[12:13] offset:128 glc slc
	;; [unrolled: 1-line block ×3, first 2 shown]
	v_mov_b32_e32 v4, 0
	v_mov_b32_e32 v25, 0
	s_waitcnt vmcnt(0) lgkmcnt(0)
	v_cmp_ne_u16_e32 vcc, 0, v26
	s_and_saveexec_b64 s[18:19], vcc
	s_cbranch_execz .LBB2_2762
; %bb.2757:                             ;   in Loop: Header=BB2_2756 Depth=2
	v_cmp_ne_u16_e32 vcc, s68, v26
	v_bfrev_b32_e32 v25, 1
	s_and_saveexec_b64 s[54:55], vcc
	s_cbranch_execz .LBB2_2761
; %bb.2758:                             ;   in Loop: Header=BB2_2756 Depth=2
	v_and_b32_e32 v2, 0xffff, v26
	v_and_b32_e32 v28, 0x7f, v2
	v_cmp_ne_u32_e32 vcc, s69, v28
	v_mov_b32_e32 v25, 0x7f800001
	s_and_saveexec_b64 s[56:57], vcc
	s_cbranch_execz .LBB2_2760
; %bb.2759:                             ;   in Loop: Header=BB2_2756 Depth=2
	v_and_b32_e32 v8, 7, v2
	v_ffbh_u32_e32 v6, v8
	v_min_u32_e32 v25, 32, v6
	v_subrev_u32_e32 v6, 28, v25
	v_lshlrev_b64 v[6:7], v6, v[2:3]
	v_lshrrev_b32_e32 v9, 3, v28
	v_sub_u32_e32 v2, 29, v25
	v_and_b32_e32 v6, 7, v6
	v_cmp_gt_u32_e32 vcc, 8, v28
	v_cndmask_b32_e32 v2, v9, v2, vcc
	v_cndmask_b32_e32 v6, v8, v6, vcc
	v_lshlrev_b32_e32 v7, 24, v26
	v_lshlrev_b32_e32 v6, 20, v6
	v_and_b32_e32 v7, 0x80000000, v7
	v_lshl_add_u32 v2, v2, 23, v27
	v_or3_b32 v25, v7, v2, v6
.LBB2_2760:                             ;   in Loop: Header=BB2_2756 Depth=2
	s_or_b64 exec, exec, s[56:57]
.LBB2_2761:                             ;   in Loop: Header=BB2_2756 Depth=2
	s_or_b64 exec, exec, s[54:55]
.LBB2_2762:                             ;   in Loop: Header=BB2_2756 Depth=2
	s_or_b64 exec, exec, s[18:19]
	v_and_b32_e32 v2, 0xff, v3
	v_cmp_ne_u16_e32 vcc, 0, v2
	s_and_saveexec_b64 s[18:19], vcc
	s_cbranch_execz .LBB2_2768
; %bb.2763:                             ;   in Loop: Header=BB2_2756 Depth=2
	v_cmp_ne_u16_e32 vcc, s68, v2
	v_bfrev_b32_e32 v4, 1
	s_and_saveexec_b64 s[54:55], vcc
	s_cbranch_execz .LBB2_2767
; %bb.2764:                             ;   in Loop: Header=BB2_2756 Depth=2
	v_and_b32_e32 v26, 0x7f, v3
	v_cmp_ne_u32_e32 vcc, s69, v26
	v_mov_b32_e32 v4, 0x7f800001
	s_and_saveexec_b64 s[56:57], vcc
	s_cbranch_execz .LBB2_2766
; %bb.2765:                             ;   in Loop: Header=BB2_2756 Depth=2
	v_and_b32_e32 v4, 7, v2
	v_ffbh_u32_e32 v6, v4
	v_min_u32_e32 v9, 32, v6
	v_subrev_u32_e32 v6, 28, v9
	v_lshlrev_b64 v[6:7], v6, v[2:3]
	v_lshrrev_b32_e32 v8, 3, v26
	v_sub_u32_e32 v2, 29, v9
	v_and_b32_e32 v6, 7, v6
	v_cmp_gt_u32_e32 vcc, 8, v26
	v_cndmask_b32_e32 v2, v8, v2, vcc
	v_cndmask_b32_e32 v4, v4, v6, vcc
	v_lshlrev_b32_e32 v3, 24, v3
	v_lshlrev_b32_e32 v4, 20, v4
	v_and_b32_e32 v3, 0x80000000, v3
	v_lshl_add_u32 v2, v2, 23, v27
	v_or3_b32 v4, v3, v2, v4
.LBB2_2766:                             ;   in Loop: Header=BB2_2756 Depth=2
	s_or_b64 exec, exec, s[56:57]
.LBB2_2767:                             ;   in Loop: Header=BB2_2756 Depth=2
	s_or_b64 exec, exec, s[54:55]
.LBB2_2768:                             ;   in Loop: Header=BB2_2756 Depth=2
	s_or_b64 exec, exec, s[18:19]
	v_add_f32_e32 v2, v25, v4
	v_and_b32_sdwa v25, v2, s68 dst_sel:DWORD dst_unused:UNUSED_PAD src0_sel:BYTE_3 src1_sel:DWORD
	v_and_b32_e32 v6, 0x7f800000, v2
	v_mov_b32_e32 v7, v53
	v_and_b32_e32 v52, 0x7fffff, v2
	v_or_b32_e32 v4, 0x7e, v25
	v_cmp_ne_u64_e32 vcc, s[38:39], v[6:7]
	s_and_saveexec_b64 s[18:19], vcc
	s_xor_b64 s[54:55], exec, s[18:19]
	s_cbranch_execz .LBB2_2782
; %bb.2769:                             ;   in Loop: Header=BB2_2756 Depth=2
	v_and_b32_e32 v6, 0x7fffffff, v2
	v_mov_b32_e32 v7, v53
	v_cmp_gt_u64_e32 vcc, s[40:41], v[6:7]
	s_and_saveexec_b64 s[18:19], vcc
	s_xor_b64 s[56:57], exec, s[18:19]
	s_cbranch_execz .LBB2_2781
; %bb.2770:                             ;   in Loop: Header=BB2_2756 Depth=2
	v_cmp_ne_u32_e32 vcc, 0, v2
	v_mov_b32_e32 v4, 0
	s_and_saveexec_b64 s[58:59], vcc
	s_cbranch_execz .LBB2_2780
; %bb.2771:                             ;   in Loop: Header=BB2_2756 Depth=2
	v_bfe_u32 v2, v2, 23, 8
	v_sub_u32_e32 v4, 0x79, v2
	v_cmp_gt_u32_e32 vcc, s71, v2
	v_add_u32_e32 v3, 0xffffff81, v2
	v_cndmask_b32_e32 v4, 0, v4, vcc
	v_cmp_eq_u32_e32 vcc, 0, v2
	v_mov_b32_e32 v2, 0xffffff82
	v_cndmask_b32_e32 v26, v3, v2, vcc
	v_mov_b32_e32 v2, 0x78
	v_or_b32_e32 v6, 0x800000, v52
	v_cndmask_b32_e32 v4, v4, v2, vcc
	v_cndmask_b32_e32 v52, v6, v52, vcc
	v_add_u32_e32 v2, 20, v4
	v_lshlrev_b64 v[2:3], v2, -1
	v_lshrrev_b64 v[8:9], v4, v[52:53]
	v_not_b32_e32 v3, v3
	v_not_b32_e32 v2, v2
	v_add_u32_e32 v6, 19, v4
	v_lshrrev_b32_e32 v28, 23, v8
	v_and_b32_e32 v3, 0, v3
	v_and_b32_e32 v2, v52, v2
	v_lshlrev_b64 v[6:7], v6, 1
	v_add3_u32 v28, v4, v26, v28
	v_bfe_u32 v26, v8, 20, 1
	v_add_u32_e32 v26, -1, v26
	v_cmp_eq_u64_e32 vcc, v[2:3], v[6:7]
	v_cndmask_b32_e32 v2, 0, v26, vcc
	v_add_u32_e32 v2, v2, v8
	v_and_b32_e32 v2, 0xfffff, v2
	v_add_co_u32_e32 v2, vcc, v2, v8
	v_add_u32_e32 v4, 6, v28
	v_addc_co_u32_e32 v3, vcc, 0, v9, vcc
	v_cmp_ne_u32_e32 vcc, 0, v4
                                        ; implicit-def: $vgpr26
	s_and_saveexec_b64 s[18:19], vcc
	s_xor_b64 s[18:19], exec, s[18:19]
; %bb.2772:                             ;   in Loop: Header=BB2_2756 Depth=2
	v_add_u32_e32 v6, 7, v28
	v_cmp_lt_u64_e32 vcc, s[44:45], v[2:3]
	v_cndmask_b32_e32 v26, v4, v6, vcc
	v_cndmask_b32_e64 v4, 0, 1, vcc
	v_lshrrev_b64 v[2:3], v4, v[2:3]
; %bb.2773:                             ;   in Loop: Header=BB2_2756 Depth=2
	s_andn2_saveexec_b64 s[18:19], s[18:19]
; %bb.2774:                             ;   in Loop: Header=BB2_2756 Depth=2
	v_bfe_u32 v26, v2, 23, 1
; %bb.2775:                             ;   in Loop: Header=BB2_2756 Depth=2
	s_or_b64 exec, exec, s[18:19]
	v_lshrrev_b64 v[2:3], 20, v[2:3]
	v_cmp_gt_i32_e32 vcc, 16, v26
	v_cndmask_b32_e32 v3, 0, v3, vcc
	v_cndmask_b32_e32 v2, 7, v2, vcc
	v_cmp_ne_u32_e32 vcc, 0, v26
	v_cmp_ne_u64_e64 s[18:19], 0, v[2:3]
	s_or_b64 s[18:19], vcc, s[18:19]
                                        ; implicit-def: $vgpr4
	s_and_saveexec_b64 vcc, s[18:19]
	s_xor_b64 s[18:19], exec, vcc
; %bb.2776:                             ;   in Loop: Header=BB2_2756 Depth=2
	v_min_i32_e32 v3, 15, v26
	v_lshl_or_b32 v3, v3, 3, v25
	v_and_or_b32 v4, v2, 7, v3
                                        ; implicit-def: $vgpr25
; %bb.2777:                             ;   in Loop: Header=BB2_2756 Depth=2
	s_andn2_saveexec_b64 s[18:19], s[18:19]
; %bb.2778:                             ;   in Loop: Header=BB2_2756 Depth=2
	v_mov_b32_e32 v4, v25
; %bb.2779:                             ;   in Loop: Header=BB2_2756 Depth=2
	s_or_b64 exec, exec, s[18:19]
.LBB2_2780:                             ;   in Loop: Header=BB2_2756 Depth=2
	s_or_b64 exec, exec, s[58:59]
.LBB2_2781:                             ;   in Loop: Header=BB2_2756 Depth=2
	s_andn2_saveexec_b64 s[18:19], s[56:57]
	s_or_b64 exec, exec, s[18:19]
                                        ; implicit-def: $vgpr2
.LBB2_2782:                             ;   in Loop: Header=BB2_2756 Depth=2
	s_andn2_saveexec_b64 s[18:19], s[54:55]
; %bb.2783:                             ;   in Loop: Header=BB2_2756 Depth=2
	v_or_b32_sdwa v2, v2, s69 dst_sel:DWORD dst_unused:UNUSED_PAD src0_sel:BYTE_3 src1_sel:DWORD
	v_cmp_eq_u64_e32 vcc, 0, v[52:53]
	v_cndmask_b32_e32 v4, v2, v4, vcc
; %bb.2784:                             ;   in Loop: Header=BB2_2756 Depth=2
	s_or_b64 exec, exec, s[18:19]
	v_and_b32_e32 v2, 0xff, v24
	v_cmp_ne_u16_e32 vcc, 0, v2
	v_mov_b32_e32 v3, 0
	v_mov_b32_e32 v25, 0
	s_and_saveexec_b64 s[18:19], vcc
	s_cbranch_execz .LBB2_2790
; %bb.2785:                             ;   in Loop: Header=BB2_2756 Depth=2
	v_cmp_ne_u16_e32 vcc, s68, v2
	v_bfrev_b32_e32 v25, 1
	s_and_saveexec_b64 s[54:55], vcc
	s_cbranch_execz .LBB2_2789
; %bb.2786:                             ;   in Loop: Header=BB2_2756 Depth=2
	v_and_b32_e32 v26, 0x7f, v24
	v_cmp_ne_u32_e32 vcc, s69, v26
	v_mov_b32_e32 v25, 0x7f800001
	s_and_saveexec_b64 s[56:57], vcc
	s_cbranch_execz .LBB2_2788
; %bb.2787:                             ;   in Loop: Header=BB2_2756 Depth=2
	v_and_b32_e32 v8, 7, v2
	v_ffbh_u32_e32 v6, v8
	v_min_u32_e32 v25, 32, v6
	v_subrev_u32_e32 v6, 28, v25
	v_lshlrev_b64 v[6:7], v6, v[2:3]
	v_lshrrev_b32_e32 v9, 3, v26
	v_sub_u32_e32 v2, 29, v25
	v_and_b32_e32 v6, 7, v6
	v_cmp_gt_u32_e32 vcc, 8, v26
	v_cndmask_b32_e32 v2, v9, v2, vcc
	v_cndmask_b32_e32 v6, v8, v6, vcc
	v_lshlrev_b32_e32 v7, 24, v24
	v_lshlrev_b32_e32 v6, 20, v6
	v_and_b32_e32 v7, 0x80000000, v7
	v_lshl_add_u32 v2, v2, 23, v27
	v_or3_b32 v25, v7, v2, v6
.LBB2_2788:                             ;   in Loop: Header=BB2_2756 Depth=2
	s_or_b64 exec, exec, s[56:57]
.LBB2_2789:                             ;   in Loop: Header=BB2_2756 Depth=2
	s_or_b64 exec, exec, s[54:55]
.LBB2_2790:                             ;   in Loop: Header=BB2_2756 Depth=2
	s_or_b64 exec, exec, s[18:19]
	v_and_b32_e32 v2, 0xff, v21
	v_cmp_ne_u16_e32 vcc, 0, v2
	s_and_saveexec_b64 s[18:19], vcc
	s_cbranch_execz .LBB2_2796
; %bb.2791:                             ;   in Loop: Header=BB2_2756 Depth=2
	v_cmp_ne_u16_e32 vcc, s68, v2
	v_bfrev_b32_e32 v3, 1
	s_and_saveexec_b64 s[54:55], vcc
	s_cbranch_execz .LBB2_2795
; %bb.2792:                             ;   in Loop: Header=BB2_2756 Depth=2
	v_and_b32_e32 v24, 0x7f, v21
	v_cmp_ne_u32_e32 vcc, s69, v24
	v_mov_b32_e32 v3, 0x7f800001
	s_and_saveexec_b64 s[56:57], vcc
	s_cbranch_execz .LBB2_2794
; %bb.2793:                             ;   in Loop: Header=BB2_2756 Depth=2
	v_and_b32_e32 v6, 7, v2
	v_ffbh_u32_e32 v3, v6
	v_min_u32_e32 v8, 32, v3
	v_subrev_u32_e32 v3, 28, v8
	v_lshlrev_b64 v[2:3], v3, v[2:3]
	v_lshrrev_b32_e32 v7, 3, v24
	v_sub_u32_e32 v3, 29, v8
	v_and_b32_e32 v2, 7, v2
	v_cmp_gt_u32_e32 vcc, 8, v24
	v_cndmask_b32_e32 v3, v7, v3, vcc
	v_cndmask_b32_e32 v2, v6, v2, vcc
	v_lshlrev_b32_e32 v6, 24, v21
	v_lshlrev_b32_e32 v2, 20, v2
	v_and_b32_e32 v6, 0x80000000, v6
	v_lshl_add_u32 v3, v3, 23, v27
	v_or3_b32 v3, v6, v3, v2
.LBB2_2794:                             ;   in Loop: Header=BB2_2756 Depth=2
	s_or_b64 exec, exec, s[56:57]
.LBB2_2795:                             ;   in Loop: Header=BB2_2756 Depth=2
	s_or_b64 exec, exec, s[54:55]
.LBB2_2796:                             ;   in Loop: Header=BB2_2756 Depth=2
	s_or_b64 exec, exec, s[18:19]
	v_add_f32_e32 v2, v25, v3
	v_and_b32_sdwa v24, v2, s68 dst_sel:DWORD dst_unused:UNUSED_PAD src0_sel:BYTE_3 src1_sel:DWORD
	v_and_b32_e32 v6, 0x7f800000, v2
	v_mov_b32_e32 v7, v53
	v_and_b32_e32 v52, 0x7fffff, v2
	v_or_b32_e32 v21, 0x7e, v24
	v_cmp_ne_u64_e32 vcc, s[38:39], v[6:7]
	s_and_saveexec_b64 s[18:19], vcc
	s_xor_b64 s[54:55], exec, s[18:19]
	s_cbranch_execz .LBB2_2810
; %bb.2797:                             ;   in Loop: Header=BB2_2756 Depth=2
	v_and_b32_e32 v6, 0x7fffffff, v2
	v_mov_b32_e32 v7, v53
	v_cmp_gt_u64_e32 vcc, s[40:41], v[6:7]
	s_and_saveexec_b64 s[18:19], vcc
	s_xor_b64 s[56:57], exec, s[18:19]
	s_cbranch_execz .LBB2_2809
; %bb.2798:                             ;   in Loop: Header=BB2_2756 Depth=2
	v_cmp_ne_u32_e32 vcc, 0, v2
	v_mov_b32_e32 v21, 0
	s_and_saveexec_b64 s[58:59], vcc
	s_cbranch_execz .LBB2_2808
; %bb.2799:                             ;   in Loop: Header=BB2_2756 Depth=2
	v_bfe_u32 v2, v2, 23, 8
	v_sub_u32_e32 v6, 0x79, v2
	v_cmp_gt_u32_e32 vcc, s71, v2
	v_add_u32_e32 v3, 0xffffff81, v2
	v_cndmask_b32_e32 v6, 0, v6, vcc
	v_cmp_eq_u32_e32 vcc, 0, v2
	v_mov_b32_e32 v2, 0xffffff82
	v_cndmask_b32_e32 v21, v3, v2, vcc
	v_mov_b32_e32 v2, 0x78
	v_or_b32_e32 v7, 0x800000, v52
	v_cndmask_b32_e32 v25, v6, v2, vcc
	v_cndmask_b32_e32 v52, v7, v52, vcc
	v_add_u32_e32 v2, 20, v25
	v_lshlrev_b64 v[2:3], v2, -1
	v_lshrrev_b64 v[8:9], v25, v[52:53]
	v_not_b32_e32 v3, v3
	v_not_b32_e32 v2, v2
	v_add_u32_e32 v6, 19, v25
	v_lshrrev_b32_e32 v26, 23, v8
	v_and_b32_e32 v3, 0, v3
	v_and_b32_e32 v2, v52, v2
	v_lshlrev_b64 v[6:7], v6, 1
	v_add3_u32 v26, v25, v21, v26
	v_bfe_u32 v25, v8, 20, 1
	v_add_u32_e32 v25, -1, v25
	v_cmp_eq_u64_e32 vcc, v[2:3], v[6:7]
	v_cndmask_b32_e32 v2, 0, v25, vcc
	v_add_u32_e32 v2, v2, v8
	v_and_b32_e32 v2, 0xfffff, v2
	v_add_co_u32_e32 v2, vcc, v2, v8
	v_add_u32_e32 v21, 6, v26
	v_addc_co_u32_e32 v3, vcc, 0, v9, vcc
	v_cmp_ne_u32_e32 vcc, 0, v21
                                        ; implicit-def: $vgpr25
	s_and_saveexec_b64 s[18:19], vcc
	s_xor_b64 s[18:19], exec, s[18:19]
; %bb.2800:                             ;   in Loop: Header=BB2_2756 Depth=2
	v_add_u32_e32 v6, 7, v26
	v_cmp_lt_u64_e32 vcc, s[44:45], v[2:3]
	v_cndmask_b32_e32 v25, v21, v6, vcc
	v_cndmask_b32_e64 v6, 0, 1, vcc
	v_lshrrev_b64 v[2:3], v6, v[2:3]
; %bb.2801:                             ;   in Loop: Header=BB2_2756 Depth=2
	s_andn2_saveexec_b64 s[18:19], s[18:19]
; %bb.2802:                             ;   in Loop: Header=BB2_2756 Depth=2
	v_bfe_u32 v25, v2, 23, 1
; %bb.2803:                             ;   in Loop: Header=BB2_2756 Depth=2
	s_or_b64 exec, exec, s[18:19]
	v_lshrrev_b64 v[2:3], 20, v[2:3]
	v_cmp_gt_i32_e32 vcc, 16, v25
	v_cndmask_b32_e32 v3, 0, v3, vcc
	v_cndmask_b32_e32 v2, 7, v2, vcc
	v_cmp_ne_u32_e32 vcc, 0, v25
	v_cmp_ne_u64_e64 s[18:19], 0, v[2:3]
	s_or_b64 s[18:19], vcc, s[18:19]
                                        ; implicit-def: $vgpr21
	s_and_saveexec_b64 vcc, s[18:19]
	s_xor_b64 s[18:19], exec, vcc
; %bb.2804:                             ;   in Loop: Header=BB2_2756 Depth=2
	v_min_i32_e32 v3, 15, v25
	v_lshl_or_b32 v3, v3, 3, v24
	v_and_or_b32 v21, v2, 7, v3
                                        ; implicit-def: $vgpr24
; %bb.2805:                             ;   in Loop: Header=BB2_2756 Depth=2
	s_andn2_saveexec_b64 s[18:19], s[18:19]
; %bb.2806:                             ;   in Loop: Header=BB2_2756 Depth=2
	v_mov_b32_e32 v21, v24
; %bb.2807:                             ;   in Loop: Header=BB2_2756 Depth=2
	s_or_b64 exec, exec, s[18:19]
.LBB2_2808:                             ;   in Loop: Header=BB2_2756 Depth=2
	s_or_b64 exec, exec, s[58:59]
.LBB2_2809:                             ;   in Loop: Header=BB2_2756 Depth=2
	s_andn2_saveexec_b64 s[18:19], s[56:57]
	s_or_b64 exec, exec, s[18:19]
                                        ; implicit-def: $vgpr2
.LBB2_2810:                             ;   in Loop: Header=BB2_2756 Depth=2
	s_andn2_saveexec_b64 s[18:19], s[54:55]
; %bb.2811:                             ;   in Loop: Header=BB2_2756 Depth=2
	v_or_b32_sdwa v2, v2, s69 dst_sel:DWORD dst_unused:UNUSED_PAD src0_sel:BYTE_3 src1_sel:DWORD
	v_cmp_eq_u64_e32 vcc, 0, v[52:53]
	v_cndmask_b32_e32 v21, v2, v21, vcc
; %bb.2812:                             ;   in Loop: Header=BB2_2756 Depth=2
	s_or_b64 exec, exec, s[18:19]
	v_and_b32_e32 v2, 0xff, v23
	v_cmp_ne_u16_e32 vcc, 0, v2
	v_mov_b32_e32 v3, 0
	v_mov_b32_e32 v24, 0
	s_and_saveexec_b64 s[18:19], vcc
	s_cbranch_execz .LBB2_2818
; %bb.2813:                             ;   in Loop: Header=BB2_2756 Depth=2
	v_cmp_ne_u16_e32 vcc, s68, v2
	v_bfrev_b32_e32 v24, 1
	s_and_saveexec_b64 s[54:55], vcc
	s_cbranch_execz .LBB2_2817
; %bb.2814:                             ;   in Loop: Header=BB2_2756 Depth=2
	v_and_b32_e32 v25, 0x7f, v23
	v_cmp_ne_u32_e32 vcc, s69, v25
	v_mov_b32_e32 v24, 0x7f800001
	s_and_saveexec_b64 s[56:57], vcc
	s_cbranch_execz .LBB2_2816
; %bb.2815:                             ;   in Loop: Header=BB2_2756 Depth=2
	v_and_b32_e32 v8, 7, v2
	v_ffbh_u32_e32 v6, v8
	v_min_u32_e32 v24, 32, v6
	v_subrev_u32_e32 v6, 28, v24
	v_lshlrev_b64 v[6:7], v6, v[2:3]
	v_lshrrev_b32_e32 v9, 3, v25
	v_sub_u32_e32 v2, 29, v24
	v_and_b32_e32 v6, 7, v6
	v_cmp_gt_u32_e32 vcc, 8, v25
	v_cndmask_b32_e32 v2, v9, v2, vcc
	v_cndmask_b32_e32 v6, v8, v6, vcc
	v_lshlrev_b32_e32 v7, 24, v23
	v_lshlrev_b32_e32 v6, 20, v6
	v_and_b32_e32 v7, 0x80000000, v7
	v_lshl_add_u32 v2, v2, 23, v27
	v_or3_b32 v24, v7, v2, v6
.LBB2_2816:                             ;   in Loop: Header=BB2_2756 Depth=2
	s_or_b64 exec, exec, s[56:57]
.LBB2_2817:                             ;   in Loop: Header=BB2_2756 Depth=2
	s_or_b64 exec, exec, s[54:55]
.LBB2_2818:                             ;   in Loop: Header=BB2_2756 Depth=2
	s_or_b64 exec, exec, s[18:19]
	v_and_b32_e32 v2, 0xff, v22
	v_cmp_ne_u16_e32 vcc, 0, v2
	s_and_saveexec_b64 s[18:19], vcc
	s_cbranch_execz .LBB2_2824
; %bb.2819:                             ;   in Loop: Header=BB2_2756 Depth=2
	v_cmp_ne_u16_e32 vcc, s68, v2
	v_bfrev_b32_e32 v3, 1
	s_and_saveexec_b64 s[54:55], vcc
	s_cbranch_execz .LBB2_2823
; %bb.2820:                             ;   in Loop: Header=BB2_2756 Depth=2
	v_and_b32_e32 v23, 0x7f, v22
	v_cmp_ne_u32_e32 vcc, s69, v23
	v_mov_b32_e32 v3, 0x7f800001
	s_and_saveexec_b64 s[56:57], vcc
	s_cbranch_execz .LBB2_2822
; %bb.2821:                             ;   in Loop: Header=BB2_2756 Depth=2
	v_and_b32_e32 v6, 7, v2
	v_ffbh_u32_e32 v3, v6
	v_min_u32_e32 v8, 32, v3
	v_subrev_u32_e32 v3, 28, v8
	v_lshlrev_b64 v[2:3], v3, v[2:3]
	v_lshrrev_b32_e32 v7, 3, v23
	v_sub_u32_e32 v3, 29, v8
	v_and_b32_e32 v2, 7, v2
	v_cmp_gt_u32_e32 vcc, 8, v23
	v_cndmask_b32_e32 v3, v7, v3, vcc
	v_cndmask_b32_e32 v2, v6, v2, vcc
	v_lshlrev_b32_e32 v6, 24, v22
	v_lshlrev_b32_e32 v2, 20, v2
	v_and_b32_e32 v6, 0x80000000, v6
	v_lshl_add_u32 v3, v3, 23, v27
	v_or3_b32 v3, v6, v3, v2
.LBB2_2822:                             ;   in Loop: Header=BB2_2756 Depth=2
	s_or_b64 exec, exec, s[56:57]
.LBB2_2823:                             ;   in Loop: Header=BB2_2756 Depth=2
	s_or_b64 exec, exec, s[54:55]
.LBB2_2824:                             ;   in Loop: Header=BB2_2756 Depth=2
	s_or_b64 exec, exec, s[18:19]
	v_add_f32_e32 v2, v24, v3
	v_and_b32_sdwa v23, v2, s68 dst_sel:DWORD dst_unused:UNUSED_PAD src0_sel:BYTE_3 src1_sel:DWORD
	v_and_b32_e32 v6, 0x7f800000, v2
	v_mov_b32_e32 v7, v53
	v_and_b32_e32 v52, 0x7fffff, v2
	v_or_b32_e32 v22, 0x7e, v23
	v_cmp_ne_u64_e32 vcc, s[38:39], v[6:7]
	s_and_saveexec_b64 s[18:19], vcc
	s_xor_b64 s[54:55], exec, s[18:19]
	s_cbranch_execz .LBB2_2838
; %bb.2825:                             ;   in Loop: Header=BB2_2756 Depth=2
	v_and_b32_e32 v6, 0x7fffffff, v2
	v_mov_b32_e32 v7, v53
	v_cmp_gt_u64_e32 vcc, s[40:41], v[6:7]
	s_and_saveexec_b64 s[18:19], vcc
	s_xor_b64 s[56:57], exec, s[18:19]
	s_cbranch_execz .LBB2_2837
; %bb.2826:                             ;   in Loop: Header=BB2_2756 Depth=2
	v_cmp_ne_u32_e32 vcc, 0, v2
	v_mov_b32_e32 v22, 0
	s_and_saveexec_b64 s[58:59], vcc
	s_cbranch_execz .LBB2_2836
; %bb.2827:                             ;   in Loop: Header=BB2_2756 Depth=2
	v_bfe_u32 v2, v2, 23, 8
	v_sub_u32_e32 v6, 0x79, v2
	v_cmp_gt_u32_e32 vcc, s71, v2
	v_add_u32_e32 v3, 0xffffff81, v2
	v_cndmask_b32_e32 v6, 0, v6, vcc
	v_cmp_eq_u32_e32 vcc, 0, v2
	v_mov_b32_e32 v2, 0xffffff82
	v_cndmask_b32_e32 v22, v3, v2, vcc
	v_mov_b32_e32 v2, 0x78
	v_or_b32_e32 v7, 0x800000, v52
	v_cndmask_b32_e32 v24, v6, v2, vcc
	v_cndmask_b32_e32 v52, v7, v52, vcc
	v_add_u32_e32 v2, 20, v24
	v_lshlrev_b64 v[2:3], v2, -1
	v_lshrrev_b64 v[8:9], v24, v[52:53]
	v_not_b32_e32 v3, v3
	v_not_b32_e32 v2, v2
	v_add_u32_e32 v6, 19, v24
	v_lshrrev_b32_e32 v25, 23, v8
	v_and_b32_e32 v3, 0, v3
	v_and_b32_e32 v2, v52, v2
	v_lshlrev_b64 v[6:7], v6, 1
	v_add3_u32 v25, v24, v22, v25
	v_bfe_u32 v24, v8, 20, 1
	v_add_u32_e32 v24, -1, v24
	v_cmp_eq_u64_e32 vcc, v[2:3], v[6:7]
	v_cndmask_b32_e32 v2, 0, v24, vcc
	v_add_u32_e32 v2, v2, v8
	v_and_b32_e32 v2, 0xfffff, v2
	v_add_co_u32_e32 v2, vcc, v2, v8
	v_add_u32_e32 v22, 6, v25
	v_addc_co_u32_e32 v3, vcc, 0, v9, vcc
	v_cmp_ne_u32_e32 vcc, 0, v22
                                        ; implicit-def: $vgpr24
	s_and_saveexec_b64 s[18:19], vcc
	s_xor_b64 s[18:19], exec, s[18:19]
; %bb.2828:                             ;   in Loop: Header=BB2_2756 Depth=2
	v_add_u32_e32 v6, 7, v25
	v_cmp_lt_u64_e32 vcc, s[44:45], v[2:3]
	v_cndmask_b32_e32 v24, v22, v6, vcc
	v_cndmask_b32_e64 v6, 0, 1, vcc
	v_lshrrev_b64 v[2:3], v6, v[2:3]
; %bb.2829:                             ;   in Loop: Header=BB2_2756 Depth=2
	s_andn2_saveexec_b64 s[18:19], s[18:19]
; %bb.2830:                             ;   in Loop: Header=BB2_2756 Depth=2
	v_bfe_u32 v24, v2, 23, 1
; %bb.2831:                             ;   in Loop: Header=BB2_2756 Depth=2
	s_or_b64 exec, exec, s[18:19]
	v_lshrrev_b64 v[2:3], 20, v[2:3]
	v_cmp_gt_i32_e32 vcc, 16, v24
	v_cndmask_b32_e32 v3, 0, v3, vcc
	v_cndmask_b32_e32 v2, 7, v2, vcc
	v_cmp_ne_u32_e32 vcc, 0, v24
	v_cmp_ne_u64_e64 s[18:19], 0, v[2:3]
	s_or_b64 s[18:19], vcc, s[18:19]
                                        ; implicit-def: $vgpr22
	s_and_saveexec_b64 vcc, s[18:19]
	s_xor_b64 s[18:19], exec, vcc
; %bb.2832:                             ;   in Loop: Header=BB2_2756 Depth=2
	v_min_i32_e32 v3, 15, v24
	v_lshl_or_b32 v3, v3, 3, v23
	v_and_or_b32 v22, v2, 7, v3
                                        ; implicit-def: $vgpr23
; %bb.2833:                             ;   in Loop: Header=BB2_2756 Depth=2
	s_andn2_saveexec_b64 s[18:19], s[18:19]
; %bb.2834:                             ;   in Loop: Header=BB2_2756 Depth=2
	v_mov_b32_e32 v22, v23
; %bb.2835:                             ;   in Loop: Header=BB2_2756 Depth=2
	s_or_b64 exec, exec, s[18:19]
.LBB2_2836:                             ;   in Loop: Header=BB2_2756 Depth=2
	s_or_b64 exec, exec, s[58:59]
.LBB2_2837:                             ;   in Loop: Header=BB2_2756 Depth=2
	s_andn2_saveexec_b64 s[18:19], s[56:57]
	s_or_b64 exec, exec, s[18:19]
                                        ; implicit-def: $vgpr2
.LBB2_2838:                             ;   in Loop: Header=BB2_2756 Depth=2
	s_andn2_saveexec_b64 s[18:19], s[54:55]
; %bb.2839:                             ;   in Loop: Header=BB2_2756 Depth=2
	v_or_b32_sdwa v2, v2, s69 dst_sel:DWORD dst_unused:UNUSED_PAD src0_sel:BYTE_3 src1_sel:DWORD
	v_cmp_eq_u64_e32 vcc, 0, v[52:53]
	v_cndmask_b32_e32 v22, v2, v22, vcc
; %bb.2840:                             ;   in Loop: Header=BB2_2756 Depth=2
	s_or_b64 exec, exec, s[18:19]
	v_and_b32_e32 v2, 0xff, v20
	v_cmp_ne_u16_e32 vcc, 0, v2
	v_mov_b32_e32 v3, 0
	v_mov_b32_e32 v23, 0
	s_and_saveexec_b64 s[18:19], vcc
	s_cbranch_execz .LBB2_2846
; %bb.2841:                             ;   in Loop: Header=BB2_2756 Depth=2
	v_cmp_ne_u16_e32 vcc, s68, v2
	v_bfrev_b32_e32 v23, 1
	s_and_saveexec_b64 s[54:55], vcc
	s_cbranch_execz .LBB2_2845
; %bb.2842:                             ;   in Loop: Header=BB2_2756 Depth=2
	v_and_b32_e32 v24, 0x7f, v20
	v_cmp_ne_u32_e32 vcc, s69, v24
	v_mov_b32_e32 v23, 0x7f800001
	s_and_saveexec_b64 s[56:57], vcc
	s_cbranch_execz .LBB2_2844
; %bb.2843:                             ;   in Loop: Header=BB2_2756 Depth=2
	v_and_b32_e32 v8, 7, v2
	v_ffbh_u32_e32 v6, v8
	v_min_u32_e32 v23, 32, v6
	v_subrev_u32_e32 v6, 28, v23
	v_lshlrev_b64 v[6:7], v6, v[2:3]
	v_lshrrev_b32_e32 v9, 3, v24
	v_sub_u32_e32 v2, 29, v23
	v_and_b32_e32 v6, 7, v6
	v_cmp_gt_u32_e32 vcc, 8, v24
	v_cndmask_b32_e32 v2, v9, v2, vcc
	v_cndmask_b32_e32 v6, v8, v6, vcc
	v_lshlrev_b32_e32 v7, 24, v20
	v_lshlrev_b32_e32 v6, 20, v6
	v_and_b32_e32 v7, 0x80000000, v7
	v_lshl_add_u32 v2, v2, 23, v27
	v_or3_b32 v23, v7, v2, v6
.LBB2_2844:                             ;   in Loop: Header=BB2_2756 Depth=2
	s_or_b64 exec, exec, s[56:57]
.LBB2_2845:                             ;   in Loop: Header=BB2_2756 Depth=2
	s_or_b64 exec, exec, s[54:55]
.LBB2_2846:                             ;   in Loop: Header=BB2_2756 Depth=2
	s_or_b64 exec, exec, s[18:19]
	v_and_b32_e32 v2, 0xff, v5
	v_cmp_ne_u16_e32 vcc, 0, v2
	s_and_saveexec_b64 s[18:19], vcc
	s_cbranch_execz .LBB2_2852
; %bb.2847:                             ;   in Loop: Header=BB2_2756 Depth=2
	v_cmp_ne_u16_e32 vcc, s68, v2
	v_bfrev_b32_e32 v3, 1
	s_and_saveexec_b64 s[54:55], vcc
	s_cbranch_execz .LBB2_2851
; %bb.2848:                             ;   in Loop: Header=BB2_2756 Depth=2
	v_and_b32_e32 v20, 0x7f, v5
	v_cmp_ne_u32_e32 vcc, s69, v20
	v_mov_b32_e32 v3, 0x7f800001
	s_and_saveexec_b64 s[56:57], vcc
	s_cbranch_execz .LBB2_2850
; %bb.2849:                             ;   in Loop: Header=BB2_2756 Depth=2
	v_and_b32_e32 v6, 7, v2
	v_ffbh_u32_e32 v3, v6
	v_min_u32_e32 v8, 32, v3
	v_subrev_u32_e32 v3, 28, v8
	v_lshlrev_b64 v[2:3], v3, v[2:3]
	v_lshrrev_b32_e32 v7, 3, v20
	v_sub_u32_e32 v3, 29, v8
	v_and_b32_e32 v2, 7, v2
	v_cmp_gt_u32_e32 vcc, 8, v20
	v_cndmask_b32_e32 v3, v7, v3, vcc
	v_cndmask_b32_e32 v2, v6, v2, vcc
	v_lshlrev_b32_e32 v5, 24, v5
	v_lshlrev_b32_e32 v2, 20, v2
	v_and_b32_e32 v5, 0x80000000, v5
	v_lshl_add_u32 v3, v3, 23, v27
	v_or3_b32 v3, v5, v3, v2
.LBB2_2850:                             ;   in Loop: Header=BB2_2756 Depth=2
	s_or_b64 exec, exec, s[56:57]
.LBB2_2851:                             ;   in Loop: Header=BB2_2756 Depth=2
	s_or_b64 exec, exec, s[54:55]
.LBB2_2852:                             ;   in Loop: Header=BB2_2756 Depth=2
	s_or_b64 exec, exec, s[18:19]
	v_add_f32_e32 v2, v23, v3
	v_and_b32_sdwa v5, v2, s68 dst_sel:DWORD dst_unused:UNUSED_PAD src0_sel:BYTE_3 src1_sel:DWORD
	v_and_b32_e32 v6, 0x7f800000, v2
	v_mov_b32_e32 v7, v53
	v_and_b32_e32 v52, 0x7fffff, v2
	v_or_b32_e32 v3, 0x7e, v5
	v_cmp_ne_u64_e32 vcc, s[38:39], v[6:7]
	s_and_saveexec_b64 s[18:19], vcc
	s_xor_b64 s[54:55], exec, s[18:19]
	s_cbranch_execz .LBB2_2866
; %bb.2853:                             ;   in Loop: Header=BB2_2756 Depth=2
	v_and_b32_e32 v6, 0x7fffffff, v2
	v_mov_b32_e32 v7, v53
	v_cmp_gt_u64_e32 vcc, s[40:41], v[6:7]
	s_and_saveexec_b64 s[18:19], vcc
	s_xor_b64 s[56:57], exec, s[18:19]
	s_cbranch_execz .LBB2_2865
; %bb.2854:                             ;   in Loop: Header=BB2_2756 Depth=2
	v_cmp_ne_u32_e32 vcc, 0, v2
	v_mov_b32_e32 v3, 0
	s_and_saveexec_b64 s[58:59], vcc
	s_cbranch_execz .LBB2_2864
; %bb.2855:                             ;   in Loop: Header=BB2_2756 Depth=2
	v_bfe_u32 v2, v2, 23, 8
	v_sub_u32_e32 v6, 0x79, v2
	v_cmp_gt_u32_e32 vcc, s71, v2
	v_add_u32_e32 v3, 0xffffff81, v2
	v_cndmask_b32_e32 v6, 0, v6, vcc
	v_cmp_eq_u32_e32 vcc, 0, v2
	v_mov_b32_e32 v2, 0xffffff82
	v_cndmask_b32_e32 v20, v3, v2, vcc
	v_mov_b32_e32 v2, 0x78
	v_or_b32_e32 v7, 0x800000, v52
	v_cndmask_b32_e32 v23, v6, v2, vcc
	v_cndmask_b32_e32 v52, v7, v52, vcc
	v_add_u32_e32 v2, 20, v23
	v_lshlrev_b64 v[2:3], v2, -1
	v_lshrrev_b64 v[8:9], v23, v[52:53]
	v_not_b32_e32 v3, v3
	v_not_b32_e32 v2, v2
	v_add_u32_e32 v6, 19, v23
	v_lshrrev_b32_e32 v24, 23, v8
	v_and_b32_e32 v3, 0, v3
	v_and_b32_e32 v2, v52, v2
	v_lshlrev_b64 v[6:7], v6, 1
	v_add3_u32 v24, v23, v20, v24
	v_bfe_u32 v20, v8, 20, 1
	v_add_u32_e32 v20, -1, v20
	v_cmp_eq_u64_e32 vcc, v[2:3], v[6:7]
	v_cndmask_b32_e32 v2, 0, v20, vcc
	v_add_u32_e32 v2, v2, v8
	v_and_b32_e32 v2, 0xfffff, v2
	v_add_co_u32_e32 v2, vcc, v2, v8
	v_add_u32_e32 v23, 6, v24
	v_addc_co_u32_e32 v3, vcc, 0, v9, vcc
	v_cmp_ne_u32_e32 vcc, 0, v23
                                        ; implicit-def: $vgpr20
	s_and_saveexec_b64 s[18:19], vcc
	s_xor_b64 s[18:19], exec, s[18:19]
; %bb.2856:                             ;   in Loop: Header=BB2_2756 Depth=2
	v_add_u32_e32 v6, 7, v24
	v_cmp_lt_u64_e32 vcc, s[44:45], v[2:3]
	v_cndmask_b32_e32 v20, v23, v6, vcc
	v_cndmask_b32_e64 v6, 0, 1, vcc
	v_lshrrev_b64 v[2:3], v6, v[2:3]
; %bb.2857:                             ;   in Loop: Header=BB2_2756 Depth=2
	s_andn2_saveexec_b64 s[18:19], s[18:19]
; %bb.2858:                             ;   in Loop: Header=BB2_2756 Depth=2
	v_bfe_u32 v20, v2, 23, 1
; %bb.2859:                             ;   in Loop: Header=BB2_2756 Depth=2
	s_or_b64 exec, exec, s[18:19]
	v_lshrrev_b64 v[2:3], 20, v[2:3]
	v_cmp_gt_i32_e32 vcc, 16, v20
	v_cndmask_b32_e32 v3, 0, v3, vcc
	v_cndmask_b32_e32 v2, 7, v2, vcc
	v_cmp_ne_u32_e32 vcc, 0, v20
	v_cmp_ne_u64_e64 s[18:19], 0, v[2:3]
	s_or_b64 s[18:19], vcc, s[18:19]
                                        ; implicit-def: $vgpr3
	s_and_saveexec_b64 vcc, s[18:19]
	s_xor_b64 s[18:19], exec, vcc
; %bb.2860:                             ;   in Loop: Header=BB2_2756 Depth=2
	v_min_i32_e32 v3, 15, v20
	v_lshl_or_b32 v3, v3, 3, v5
	v_and_or_b32 v3, v2, 7, v3
                                        ; implicit-def: $vgpr5
; %bb.2861:                             ;   in Loop: Header=BB2_2756 Depth=2
	s_andn2_saveexec_b64 s[18:19], s[18:19]
; %bb.2862:                             ;   in Loop: Header=BB2_2756 Depth=2
	v_mov_b32_e32 v3, v5
; %bb.2863:                             ;   in Loop: Header=BB2_2756 Depth=2
	s_or_b64 exec, exec, s[18:19]
.LBB2_2864:                             ;   in Loop: Header=BB2_2756 Depth=2
	s_or_b64 exec, exec, s[58:59]
.LBB2_2865:                             ;   in Loop: Header=BB2_2756 Depth=2
	s_andn2_saveexec_b64 s[18:19], s[56:57]
	s_or_b64 exec, exec, s[18:19]
                                        ; implicit-def: $vgpr2
.LBB2_2866:                             ;   in Loop: Header=BB2_2756 Depth=2
	s_andn2_saveexec_b64 s[18:19], s[54:55]
	s_cbranch_execz .LBB2_2755
; %bb.2867:                             ;   in Loop: Header=BB2_2756 Depth=2
	v_or_b32_sdwa v2, v2, s69 dst_sel:DWORD dst_unused:UNUSED_PAD src0_sel:BYTE_3 src1_sel:DWORD
	v_cmp_eq_u64_e32 vcc, 0, v[52:53]
	v_cndmask_b32_e32 v3, v2, v3, vcc
	s_branch .LBB2_2755
.LBB2_2868:                             ;   in Loop: Header=BB2_1518 Depth=1
	s_or_b64 exec, exec, s[52:53]
	v_accvgpr_read_b32 v6, a34
.LBB2_2869:                             ;   in Loop: Header=BB2_1518 Depth=1
	s_or_b64 exec, exec, s[50:51]
	v_lshlrev_b32_e32 v2, 8, v19
	v_cmp_ne_u32_e32 vcc, v17, v2
	s_and_b64 exec, exec, vcc
	s_cbranch_execz .LBB2_2901
; %bb.2870:                             ;   in Loop: Header=BB2_1518 Depth=1
	v_add_u32_e32 v1, v18, v1
	v_and_b32_e32 v1, 0xffffffc0, v1
	v_sub_u32_e32 v1, v18, v1
	v_lshlrev_b32_e32 v0, 6, v0
	v_sub_u32_e32 v0, v1, v0
	v_add_u32_e32 v1, v2, v0
	v_sub_u32_e32 v0, v17, v1
	v_cmp_lt_i32_e32 vcc, 0, v0
	s_and_b64 exec, exec, vcc
	s_cbranch_execz .LBB2_2901
; %bb.2871:                             ;   in Loop: Header=BB2_1518 Depth=1
	s_trap 2
	ds_read_b128 v[2:5], v0
	ds_read_b64 v[6:7], v0
	v_add_u32_e32 v1, v1, v16
	v_ashrrev_i32_e32 v8, 31, v1
	s_mov_b64 s[50:51], 0
	s_waitcnt lgkmcnt(0)
	v_add_co_u32_e32 v10, vcc, v2, v1
	v_addc_co_u32_e32 v11, vcc, v3, v8, vcc
	v_add_co_u32_e32 v12, vcc, v4, v1
	v_addc_co_u32_e32 v13, vcc, v5, v8, vcc
	v_add_co_u32_e32 v14, vcc, v6, v1
	v_addc_co_u32_e32 v15, vcc, v7, v8, vcc
	v_accvgpr_read_b32 v6, a34
	s_branch .LBB2_2873
.LBB2_2872:                             ;   in Loop: Header=BB2_2873 Depth=2
	s_or_b64 exec, exec, s[18:19]
	v_accvgpr_read_b32 v2, a32
	v_add_co_u32_e32 v10, vcc, v10, v2
	v_accvgpr_read_b32 v1, a33
	v_addc_co_u32_e32 v11, vcc, v11, v1, vcc
	v_add_co_u32_e32 v12, vcc, v12, v2
	v_addc_co_u32_e32 v13, vcc, v13, v1, vcc
	v_sub_u32_e32 v0, v0, v2
	v_cmp_gt_i32_e32 vcc, 1, v0
	flat_store_byte v[14:15], v3 glc slc
	s_or_b64 s[50:51], vcc, s[50:51]
	v_add_co_u32_e32 v14, vcc, v14, v2
	v_addc_co_u32_e32 v15, vcc, v15, v1, vcc
	s_andn2_b64 exec, exec, s[50:51]
	s_cbranch_execz .LBB2_2901
.LBB2_2873:                             ;   Parent Loop BB2_1518 Depth=1
                                        ; =>  This Inner Loop Header: Depth=2
	flat_load_ubyte v5, v[10:11] glc slc
	flat_load_ubyte v3, v[12:13] glc slc
	v_mov_b32_e32 v1, 0
	v_mov_b32_e32 v4, 0
	s_waitcnt vmcnt(0) lgkmcnt(0)
	v_cmp_ne_u16_e32 vcc, 0, v5
	s_and_saveexec_b64 s[18:19], vcc
	s_cbranch_execz .LBB2_2879
; %bb.2874:                             ;   in Loop: Header=BB2_2873 Depth=2
	v_cmp_ne_u16_e32 vcc, s68, v5
	v_bfrev_b32_e32 v4, 1
	s_and_saveexec_b64 s[52:53], vcc
	s_cbranch_execz .LBB2_2878
; %bb.2875:                             ;   in Loop: Header=BB2_2873 Depth=2
	v_and_b32_e32 v2, 0xffff, v5
	v_and_b32_e32 v16, 0x7f, v2
	v_cmp_ne_u32_e32 vcc, s69, v16
	v_mov_b32_e32 v4, 0x7f800001
	s_and_saveexec_b64 s[54:55], vcc
	s_cbranch_execz .LBB2_2877
; %bb.2876:                             ;   in Loop: Header=BB2_2873 Depth=2
	v_and_b32_e32 v4, 7, v2
	v_ffbh_u32_e32 v6, v4
	v_min_u32_e32 v9, 32, v6
	v_subrev_u32_e32 v6, 28, v9
	v_lshlrev_b64 v[6:7], v6, v[2:3]
	v_lshrrev_b32_e32 v8, 3, v16
	v_sub_u32_e32 v2, 29, v9
	v_and_b32_e32 v6, 7, v6
	v_cmp_gt_u32_e32 vcc, 8, v16
	v_cndmask_b32_e32 v2, v8, v2, vcc
	v_cndmask_b32_e32 v4, v4, v6, vcc
	v_lshlrev_b32_e32 v5, 24, v5
	v_lshlrev_b32_e32 v4, 20, v4
	v_and_b32_e32 v5, 0x80000000, v5
	v_lshl_add_u32 v2, v2, 23, v27
	v_accvgpr_read_b32 v6, a34
	v_or3_b32 v4, v5, v2, v4
.LBB2_2877:                             ;   in Loop: Header=BB2_2873 Depth=2
	s_or_b64 exec, exec, s[54:55]
.LBB2_2878:                             ;   in Loop: Header=BB2_2873 Depth=2
	s_or_b64 exec, exec, s[52:53]
.LBB2_2879:                             ;   in Loop: Header=BB2_2873 Depth=2
	s_or_b64 exec, exec, s[18:19]
	v_and_b32_e32 v2, 0xff, v3
	v_cmp_ne_u16_e32 vcc, 0, v2
	s_and_saveexec_b64 s[18:19], vcc
	s_cbranch_execz .LBB2_2885
; %bb.2880:                             ;   in Loop: Header=BB2_2873 Depth=2
	v_cmp_ne_u16_e32 vcc, s68, v2
	v_bfrev_b32_e32 v1, 1
	s_and_saveexec_b64 s[52:53], vcc
	s_cbranch_execz .LBB2_2884
; %bb.2881:                             ;   in Loop: Header=BB2_2873 Depth=2
	v_and_b32_e32 v5, 0x7f, v3
	v_cmp_ne_u32_e32 vcc, s69, v5
	v_mov_b32_e32 v1, 0x7f800001
	s_and_saveexec_b64 s[54:55], vcc
	s_cbranch_execz .LBB2_2883
; %bb.2882:                             ;   in Loop: Header=BB2_2873 Depth=2
	v_and_b32_e32 v1, 7, v2
	v_lshlrev_b32_e32 v3, 24, v3
	v_and_b32_e32 v7, 0x80000000, v3
	v_ffbh_u32_e32 v3, v1
	v_min_u32_e32 v8, 32, v3
	v_subrev_u32_e32 v3, 28, v8
	v_lshlrev_b64 v[2:3], v3, v[2:3]
	v_lshrrev_b32_e32 v6, 3, v5
	v_sub_u32_e32 v3, 29, v8
	v_and_b32_e32 v2, 7, v2
	v_cmp_gt_u32_e32 vcc, 8, v5
	v_cndmask_b32_e32 v3, v6, v3, vcc
	v_cndmask_b32_e32 v1, v1, v2, vcc
	v_lshlrev_b32_e32 v1, 20, v1
	v_lshl_add_u32 v2, v3, 23, v27
	v_or3_b32 v1, v7, v2, v1
	v_accvgpr_read_b32 v6, a34
.LBB2_2883:                             ;   in Loop: Header=BB2_2873 Depth=2
	s_or_b64 exec, exec, s[54:55]
.LBB2_2884:                             ;   in Loop: Header=BB2_2873 Depth=2
	s_or_b64 exec, exec, s[52:53]
.LBB2_2885:                             ;   in Loop: Header=BB2_2873 Depth=2
	s_or_b64 exec, exec, s[18:19]
	v_add_f32_e32 v2, v4, v1
	v_and_b32_sdwa v1, v2, s68 dst_sel:DWORD dst_unused:UNUSED_PAD src0_sel:BYTE_3 src1_sel:DWORD
	v_and_b32_e32 v4, 0x7f800000, v2
	v_mov_b32_e32 v5, v53
	v_and_b32_e32 v52, 0x7fffff, v2
	v_or_b32_e32 v3, 0x7e, v1
	v_cmp_ne_u64_e32 vcc, s[38:39], v[4:5]
	s_and_saveexec_b64 s[18:19], vcc
	s_xor_b64 s[52:53], exec, s[18:19]
	s_cbranch_execz .LBB2_2899
; %bb.2886:                             ;   in Loop: Header=BB2_2873 Depth=2
	v_and_b32_e32 v4, 0x7fffffff, v2
	v_mov_b32_e32 v5, v53
	v_cmp_gt_u64_e32 vcc, s[40:41], v[4:5]
	s_and_saveexec_b64 s[18:19], vcc
	s_xor_b64 s[54:55], exec, s[18:19]
	s_cbranch_execz .LBB2_2898
; %bb.2887:                             ;   in Loop: Header=BB2_2873 Depth=2
	v_cmp_ne_u32_e32 vcc, 0, v2
	v_mov_b32_e32 v3, 0
	s_and_saveexec_b64 s[56:57], vcc
	s_cbranch_execz .LBB2_2897
; %bb.2888:                             ;   in Loop: Header=BB2_2873 Depth=2
	v_bfe_u32 v2, v2, 23, 8
	v_sub_u32_e32 v4, 0x79, v2
	v_cmp_gt_u32_e32 vcc, s71, v2
	v_add_u32_e32 v3, 0xffffff81, v2
	v_cndmask_b32_e32 v4, 0, v4, vcc
	v_cmp_eq_u32_e32 vcc, 0, v2
	v_mov_b32_e32 v2, 0xffffff82
	v_cndmask_b32_e32 v16, v3, v2, vcc
	v_mov_b32_e32 v2, 0x78
	v_or_b32_e32 v5, 0x800000, v52
	v_cndmask_b32_e32 v4, v4, v2, vcc
	v_cndmask_b32_e32 v52, v5, v52, vcc
	v_add_u32_e32 v2, 20, v4
	v_lshlrev_b64 v[2:3], v2, -1
	v_add_u32_e32 v5, 19, v4
	v_lshrrev_b64 v[8:9], v4, v[52:53]
	v_not_b32_e32 v3, v3
	v_not_b32_e32 v2, v2
	v_lshlrev_b64 v[6:7], v5, 1
	v_lshrrev_b32_e32 v5, 23, v8
	v_and_b32_e32 v3, 0, v3
	v_and_b32_e32 v2, v52, v2
	v_add3_u32 v16, v4, v16, v5
	v_bfe_u32 v4, v8, 20, 1
	v_add_u32_e32 v4, -1, v4
	v_cmp_eq_u64_e32 vcc, v[2:3], v[6:7]
	v_cndmask_b32_e32 v2, 0, v4, vcc
	v_add_u32_e32 v2, v2, v8
	v_and_b32_e32 v2, 0xfffff, v2
	v_add_co_u32_e32 v2, vcc, v2, v8
	v_add_u32_e32 v5, 6, v16
	v_addc_co_u32_e32 v3, vcc, 0, v9, vcc
	v_cmp_ne_u32_e32 vcc, 0, v5
                                        ; implicit-def: $vgpr4
	s_and_saveexec_b64 s[18:19], vcc
	s_xor_b64 s[18:19], exec, s[18:19]
; %bb.2889:                             ;   in Loop: Header=BB2_2873 Depth=2
	v_add_u32_e32 v4, 7, v16
	v_cmp_lt_u64_e32 vcc, s[44:45], v[2:3]
	v_cndmask_b32_e32 v4, v5, v4, vcc
	v_cndmask_b32_e64 v5, 0, 1, vcc
	v_lshrrev_b64 v[2:3], v5, v[2:3]
; %bb.2890:                             ;   in Loop: Header=BB2_2873 Depth=2
	s_andn2_saveexec_b64 s[18:19], s[18:19]
; %bb.2891:                             ;   in Loop: Header=BB2_2873 Depth=2
	v_bfe_u32 v4, v2, 23, 1
; %bb.2892:                             ;   in Loop: Header=BB2_2873 Depth=2
	s_or_b64 exec, exec, s[18:19]
	v_lshrrev_b64 v[2:3], 20, v[2:3]
	v_cmp_gt_i32_e32 vcc, 16, v4
	v_cndmask_b32_e32 v3, 0, v3, vcc
	v_cndmask_b32_e32 v2, 7, v2, vcc
	v_cmp_ne_u32_e32 vcc, 0, v4
	v_cmp_ne_u64_e64 s[18:19], 0, v[2:3]
	s_or_b64 s[18:19], vcc, s[18:19]
                                        ; implicit-def: $vgpr3
	s_mov_b64 vcc, exec
	s_and_b64 s[58:59], vcc, s[18:19]
	s_xor_b64 s[18:19], s[58:59], vcc
	v_accvgpr_read_b32 v6, a34
	s_mov_b64 exec, s[58:59]
; %bb.2893:                             ;   in Loop: Header=BB2_2873 Depth=2
	v_min_i32_e32 v3, 15, v4
	v_lshl_or_b32 v1, v3, 3, v1
	v_and_or_b32 v3, v2, 7, v1
                                        ; implicit-def: $vgpr1
; %bb.2894:                             ;   in Loop: Header=BB2_2873 Depth=2
	s_andn2_saveexec_b64 s[18:19], s[18:19]
; %bb.2895:                             ;   in Loop: Header=BB2_2873 Depth=2
	v_mov_b32_e32 v3, v1
; %bb.2896:                             ;   in Loop: Header=BB2_2873 Depth=2
	s_or_b64 exec, exec, s[18:19]
.LBB2_2897:                             ;   in Loop: Header=BB2_2873 Depth=2
	s_or_b64 exec, exec, s[56:57]
.LBB2_2898:                             ;   in Loop: Header=BB2_2873 Depth=2
	s_andn2_saveexec_b64 s[18:19], s[54:55]
	s_or_b64 exec, exec, s[18:19]
                                        ; implicit-def: $vgpr2
.LBB2_2899:                             ;   in Loop: Header=BB2_2873 Depth=2
	s_andn2_saveexec_b64 s[18:19], s[52:53]
	s_cbranch_execz .LBB2_2872
; %bb.2900:                             ;   in Loop: Header=BB2_2873 Depth=2
	v_or_b32_sdwa v1, v2, s69 dst_sel:DWORD dst_unused:UNUSED_PAD src0_sel:BYTE_3 src1_sel:DWORD
	v_cmp_eq_u64_e32 vcc, 0, v[52:53]
	v_cndmask_b32_e32 v3, v1, v3, vcc
	s_branch .LBB2_2872
.LBB2_2901:                             ;   in Loop: Header=BB2_1518 Depth=1
	s_or_b64 exec, exec, s[20:21]
	v_accvgpr_read_b32 v0, a36
	v_cmp_ne_u32_e64 s[18:19], 0, v0
.LBB2_2902:                             ;   in Loop: Header=BB2_1518 Depth=1
	s_and_saveexec_b64 s[20:21], s[10:11]
	s_cbranch_execz .LBB2_2921
; %bb.2903:                             ;   in Loop: Header=BB2_1518 Depth=1
	s_and_saveexec_b64 vcc, s[30:31]
	s_xor_b64 s[50:51], exec, vcc
	s_cbranch_execz .LBB2_2918
; %bb.2904:                             ;   in Loop: Header=BB2_1518 Depth=1
	s_and_saveexec_b64 s[52:53], s[12:13]
	s_cbranch_execz .LBB2_2917
; %bb.2905:                             ;   in Loop: Header=BB2_1518 Depth=1
	s_mov_b64 s[56:57], exec
	v_mbcnt_lo_u32_b32 v0, s56, 0
	v_mbcnt_hi_u32_b32 v0, s57, v0
	v_cmp_eq_u32_e32 vcc, 0, v0
	s_waitcnt vmcnt(0) lgkmcnt(0)
	buffer_wbinvl1_vol
	s_and_saveexec_b64 s[54:55], vcc
	s_cbranch_execz .LBB2_2907
; %bb.2906:                             ;   in Loop: Header=BB2_1518 Depth=1
	s_bcnt1_i32_b64 vcc_lo, s[56:57]
	v_mov_b32_e32 v52, vcc_lo
	ds_add_u64 v0, v[52:53]
	s_trap 2
.LBB2_2907:                             ;   in Loop: Header=BB2_1518 Depth=1
	s_or_b64 exec, exec, s[54:55]
	s_trap 2
	ds_read_b64 v[0:1], v0
	v_accvgpr_read_b32 v2, a22
	v_add_co_u32_e32 v38, vcc, v38, v2
	v_addc_co_u32_e32 v39, vcc, 0, v39, vcc
	s_waitcnt lgkmcnt(0)
	v_cmp_lt_u64_e32 vcc, v[0:1], v[38:39]
	s_and_saveexec_b64 s[54:55], vcc
	s_cbranch_execz .LBB2_2916
; %bb.2908:                             ;   in Loop: Header=BB2_1518 Depth=1
	s_mov_b32 s73, 0
	s_mov_b64 s[56:57], 0
                                        ; implicit-def: $sgpr58_sgpr59
                                        ; implicit-def: $sgpr60_sgpr61
	s_branch .LBB2_2910
.LBB2_2909:                             ;   in Loop: Header=BB2_2910 Depth=2
	s_or_b64 exec, exec, s[64:65]
	s_and_b64 vcc, exec, vcc
	s_or_b64 s[56:57], vcc, s[56:57]
	s_andn2_b64 vcc, s[58:59], exec
	s_and_b64 s[58:59], s[60:61], exec
	s_or_b64 s[58:59], vcc, s[58:59]
	s_andn2_b64 exec, exec, s[56:57]
	s_cbranch_execz .LBB2_2914
.LBB2_2910:                             ;   Parent Loop BB2_1518 Depth=1
                                        ; =>  This Inner Loop Header: Depth=2
	s_add_i32 s73, s73, 1
	s_cmpk_lg_i32 s73, 0x2710
	s_cselect_b64 s[62:63], -1, 0
	s_and_b64 vcc, exec, s[62:63]
                                        ; implicit-def: $sgpr64_sgpr65
	s_cbranch_vccnz .LBB2_2912
; %bb.2911:                             ;   in Loop: Header=BB2_2910 Depth=2
	s_trap 2
	ds_read_b64 v[0:1], v0
	s_andn2_b64 s[62:63], s[62:63], exec
	s_mov_b32 s73, 0
	s_mov_b64 s[64:65], -1
	s_waitcnt lgkmcnt(0)
	flat_load_dword v0, v[0:1] glc
	s_waitcnt vmcnt(0) lgkmcnt(0)
	buffer_invl2
	buffer_wbinvl1_vol
	v_cmp_eq_u32_e32 vcc, 0, v0
	s_and_b64 vcc, vcc, exec
	s_or_b64 s[62:63], s[62:63], vcc
.LBB2_2912:                             ;   in Loop: Header=BB2_2910 Depth=2
	s_andn2_b64 s[60:61], s[60:61], exec
	s_and_b64 s[64:65], s[64:65], exec
	s_mov_b64 vcc, -1
	s_or_b64 s[60:61], s[60:61], s[64:65]
	s_and_saveexec_b64 s[64:65], s[62:63]
	s_cbranch_execz .LBB2_2909
; %bb.2913:                             ;   in Loop: Header=BB2_2910 Depth=2
	s_sleep 1
	s_trap 2
	ds_read_b64 v[0:1], v0
	s_andn2_b64 s[60:61], s[60:61], exec
	s_waitcnt lgkmcnt(0)
	v_cmp_ge_u64_e32 vcc, v[0:1], v[38:39]
	s_orn2_b64 vcc, vcc, exec
	s_branch .LBB2_2909
.LBB2_2914:                             ;   in Loop: Header=BB2_1518 Depth=1
	s_or_b64 exec, exec, s[56:57]
	s_and_saveexec_b64 vcc, s[58:59]
	s_xor_b64 vcc, exec, vcc
	s_cbranch_execz .LBB2_2916
; %bb.2915:                             ;   in Loop: Header=BB2_1518 Depth=1
	v_mov_b32_e32 v0, 1
	ds_write_b32 v0, v0
	s_trap 2
.LBB2_2916:                             ;   in Loop: Header=BB2_1518 Depth=1
	s_or_b64 exec, exec, s[54:55]
	;;#ASMSTART
	s_wakeup
	;;#ASMEND
.LBB2_2917:                             ;   in Loop: Header=BB2_1518 Depth=1
	s_or_b64 exec, exec, s[52:53]
.LBB2_2918:                             ;   in Loop: Header=BB2_1518 Depth=1
	s_andn2_saveexec_b64 vcc, s[50:51]
	s_cbranch_execz .LBB2_2920
; %bb.2919:                             ;   in Loop: Header=BB2_1518 Depth=1
	s_waitcnt vmcnt(0) lgkmcnt(0)
	buffer_wbinvl1_vol
	s_barrier
.LBB2_2920:                             ;   in Loop: Header=BB2_1518 Depth=1
	s_or_b64 exec, exec, vcc
.LBB2_2921:                             ;   in Loop: Header=BB2_1518 Depth=1
	s_or_b64 exec, exec, s[20:21]
	v_and_b32_e32 v0, 16, v62
	v_cmp_ne_u32_e32 vcc, 0, v0
	s_and_b64 s[20:21], vcc, s[18:19]
	s_and_saveexec_b64 s[18:19], s[20:21]
	s_cbranch_execz .LBB2_2923
; %bb.2922:                             ;   in Loop: Header=BB2_1518 Depth=1
	s_waitcnt vmcnt(0) lgkmcnt(0)
	buffer_wbinvl1_vol
.LBB2_2923:                             ;   in Loop: Header=BB2_1518 Depth=1
	s_or_b64 exec, exec, s[18:19]
	v_and_b32_e32 v0, 32, v62
	v_cmp_ne_u32_e32 vcc, 0, v0
	s_and_saveexec_b64 s[18:19], vcc
	s_cbranch_execz .LBB2_2925
; %bb.2924:                             ;   in Loop: Header=BB2_1518 Depth=1
	v_accvgpr_read_b32 v0, a12
	v_accvgpr_read_b32 v2, a14
	v_accvgpr_read_b32 v3, a15
	v_add_co_u32_e32 v2, vcc, 1, v2
	v_addc_co_u32_e32 v3, vcc, 0, v3, vcc
	v_accvgpr_read_b32 v1, a13
	v_accvgpr_write_b32 a15, v3
	v_accvgpr_write_b32 a14, v2
	;; [unrolled: 1-line block ×4, first 2 shown]
	flat_store_dwordx2 v[32:33], v[2:3]
.LBB2_2925:                             ;   in Loop: Header=BB2_1518 Depth=1
	s_or_b64 exec, exec, s[18:19]
	v_mov_b32_e32 v0, v30
.LBB2_2926:                             ;   in Loop: Header=BB2_1518 Depth=1
	s_or_b64 exec, exec, s[48:49]
	s_and_saveexec_b64 s[20:21], s[46:47]
	s_cbranch_execz .LBB2_1517
; %bb.2927:                             ;   in Loop: Header=BB2_1518 Depth=1
	v_and_b32_e32 v1, 4, v62
	v_cmp_ne_u32_e32 vcc, 0, v1
	s_mov_b64 s[46:47], -1
	s_and_saveexec_b64 s[18:19], vcc
	s_cbranch_execnz .LBB2_2930
; %bb.2928:                             ;   in Loop: Header=BB2_1518 Depth=1
	s_or_b64 exec, exec, s[18:19]
	s_xor_b64 s[18:19], s[46:47], -1
	s_and_saveexec_b64 s[46:47], s[18:19]
	s_cbranch_execnz .LBB2_2941
.LBB2_2929:                             ;   in Loop: Header=BB2_1518 Depth=1
	s_or_b64 exec, exec, s[46:47]
	s_and_saveexec_b64 s[18:19], s[10:11]
	s_cbranch_execnz .LBB2_2950
	s_branch .LBB2_2968
.LBB2_2930:                             ;   in Loop: Header=BB2_1518 Depth=1
	v_accvgpr_read_b32 v2, a12
	v_accvgpr_read_b32 v4, a14
	;; [unrolled: 1-line block ×3, first 2 shown]
	v_add_co_u32_e32 v10, vcc, 1, v4
	v_addc_co_u32_e32 v11, vcc, 0, v5, vcc
	v_cmp_lt_u64_e32 vcc, v[36:37], v[10:11]
	v_mov_b32_e32 v1, 1
	v_accvgpr_read_b32 v3, a13
	s_and_saveexec_b64 s[46:47], vcc
	s_cbranch_execz .LBB2_2940
; %bb.2931:                             ;   in Loop: Header=BB2_1518 Depth=1
	s_mov_b64 s[48:49], 0
	v_mov_b32_e32 v1, 0
                                        ; implicit-def: $sgpr50_sgpr51
	s_branch .LBB2_2935
.LBB2_2932:                             ;   in Loop: Header=BB2_2935 Depth=2
	s_or_b64 exec, exec, s[58:59]
	v_mov_b32_e32 v2, 0
	s_orn2_b64 s[56:57], s[56:57], exec
.LBB2_2933:                             ;   in Loop: Header=BB2_2935 Depth=2
	s_or_b64 exec, exec, s[54:55]
	s_andn2_b64 vcc, s[50:51], exec
	s_and_b64 s[50:51], s[56:57], exec
	s_or_b64 s[50:51], vcc, s[50:51]
	v_mov_b32_e32 v1, v2
.LBB2_2934:                             ;   in Loop: Header=BB2_2935 Depth=2
	s_or_b64 exec, exec, s[52:53]
	s_waitcnt vmcnt(0) lgkmcnt(0)
	v_cmp_ge_u64_e32 vcc, v[36:37], v[10:11]
	s_xor_b64 s[52:53], s[50:51], -1
	s_or_b64 vcc, s[52:53], vcc
	s_and_b64 vcc, exec, vcc
	s_or_b64 s[48:49], vcc, s[48:49]
	s_andn2_b64 exec, exec, s[48:49]
	s_cbranch_execz .LBB2_2939
.LBB2_2935:                             ;   Parent Loop BB2_1518 Depth=1
                                        ; =>  This Inner Loop Header: Depth=2
	s_sleep 1
	flat_load_dwordx2 v[36:37], v[32:33] glc
	v_and_b32_e32 v2, 64, v62
	v_cmp_eq_u32_e32 vcc, 0, v2
	s_andn2_b64 s[50:51], s[50:51], exec
	s_and_saveexec_b64 s[52:53], vcc
	s_cbranch_execz .LBB2_2934
; %bb.2936:                             ;   in Loop: Header=BB2_2935 Depth=2
	v_add_u32_e32 v2, 1, v1
	v_cmp_lt_i32_e32 vcc, s67, v1
	s_mov_b64 s[56:57], -1
	s_and_saveexec_b64 s[54:55], vcc
	s_cbranch_execz .LBB2_2933
; %bb.2937:                             ;   in Loop: Header=BB2_2935 Depth=2
	s_trap 2
	ds_read_b64 v[2:3], v0
	s_waitcnt vmcnt(0) lgkmcnt(0)
	flat_load_dword v1, v[2:3] glc
	s_waitcnt vmcnt(0) lgkmcnt(0)
	buffer_invl2
	buffer_wbinvl1_vol
	v_cmp_ne_u32_e32 vcc, 0, v1
	s_and_saveexec_b64 s[58:59], vcc
	s_cbranch_execz .LBB2_2932
; %bb.2938:                             ;   in Loop: Header=BB2_2935 Depth=2
	v_or_b32_e32 v62, 64, v62
	s_xor_b64 s[56:57], exec, -1
	ds_write_b32 v0, v1
	s_trap 2
	s_branch .LBB2_2932
.LBB2_2939:                             ;   in Loop: Header=BB2_1518 Depth=1
	s_or_b64 exec, exec, s[48:49]
	v_and_b32_e32 v1, 4, v62
.LBB2_2940:                             ;   in Loop: Header=BB2_1518 Depth=1
	s_or_b64 exec, exec, s[46:47]
	v_cmp_eq_u32_e32 vcc, 0, v1
	s_orn2_b64 s[46:47], vcc, exec
	;;#ASMSTART
	s_wakeup
	;;#ASMEND
	s_or_b64 exec, exec, s[18:19]
	s_xor_b64 s[18:19], s[46:47], -1
	s_and_saveexec_b64 s[46:47], s[18:19]
	s_cbranch_execz .LBB2_2929
.LBB2_2941:                             ;   in Loop: Header=BB2_1518 Depth=1
	v_accvgpr_read_b32 v2, a12
	v_and_b32_e32 v1, 0x100, v62
	v_accvgpr_read_b32 v4, a14
	v_cmp_ne_u32_e32 vcc, 0, v1
	v_accvgpr_read_b32 v3, a13
	v_and_b32_e32 v1, 7, v4
	s_mov_b64 s[18:19], -1
	v_accvgpr_read_b32 v5, a15
                                        ; implicit-def: $vgpr2_vgpr3
	s_and_saveexec_b64 s[48:49], vcc
	s_cbranch_execz .LBB2_2945
; %bb.2942:                             ;   in Loop: Header=BB2_1518 Depth=1
	v_accvgpr_read_b32 v2, a12
	v_accvgpr_read_b32 v3, a13
	v_mad_u64_u32 v[10:11], s[18:19], v1, 24, v[2:3]
	flat_load_dword v2, v[10:11]
	v_accvgpr_read_b32 v4, a14
	v_accvgpr_read_b32 v5, a15
	s_waitcnt vmcnt(0) lgkmcnt(0)
	v_cmp_ne_u32_e32 vcc, 1, v2
	v_cmp_eq_u32_e64 s[18:19], 1, v2
                                        ; implicit-def: $vgpr2_vgpr3
	s_and_saveexec_b64 s[50:51], s[18:19]
	s_cbranch_execz .LBB2_2944
; %bb.2943:                             ;   in Loop: Header=BB2_1518 Depth=1
	flat_load_dword v2, v[10:11] offset:4 glc
	s_waitcnt vmcnt(0) lgkmcnt(0)
	v_ashrrev_i32_e32 v3, 31, v2
.LBB2_2944:                             ;   in Loop: Header=BB2_1518 Depth=1
	s_or_b64 exec, exec, s[50:51]
	s_orn2_b64 s[18:19], vcc, exec
.LBB2_2945:                             ;   in Loop: Header=BB2_1518 Depth=1
	s_or_b64 exec, exec, s[48:49]
	s_and_saveexec_b64 vcc, s[18:19]
; %bb.2946:                             ;   in Loop: Header=BB2_1518 Depth=1
	v_mad_i64_i32 v[2:3], s[18:19], v1, v56, 0
; %bb.2947:                             ;   in Loop: Header=BB2_1518 Depth=1
	s_or_b64 exec, exec, vcc
	v_accvgpr_read_b32 v4, a18
	v_accvgpr_read_b32 v5, a19
	v_add_co_u32_e32 v2, vcc, v4, v2
	v_addc_co_u32_e32 v3, vcc, v5, v3, vcc
	v_and_b32_e32 v1, 0x2000, v62
	v_cmp_ne_u32_e32 vcc, 0, v1
	ds_write_b64 v0, v[2:3] offset:728
	s_and_saveexec_b64 s[18:19], vcc
	s_cbranch_execz .LBB2_2949
; %bb.2948:                             ;   in Loop: Header=BB2_1518 Depth=1
	ds_read_b64 v[2:3], v0 offset:584
	s_waitcnt lgkmcnt(0)
	v_add_co_u32_e32 v2, vcc, 1, v2
	v_addc_co_u32_e32 v3, vcc, 0, v3, vcc
	ds_write_b64 v0, v[2:3] offset:584
.LBB2_2949:                             ;   in Loop: Header=BB2_1518 Depth=1
	s_or_b64 exec, exec, s[18:19]
	v_accvgpr_read_b32 v2, a12
	v_accvgpr_read_b32 v4, a14
	;; [unrolled: 1-line block ×3, first 2 shown]
	v_add_co_u32_e32 v4, vcc, 1, v4
	v_addc_co_u32_e32 v5, vcc, 0, v5, vcc
	v_accvgpr_read_b32 v3, a13
	v_accvgpr_write_b32 a15, v5
	v_accvgpr_write_b32 a14, v4
	;; [unrolled: 1-line block ×4, first 2 shown]
	s_or_b64 exec, exec, s[46:47]
	s_and_saveexec_b64 s[18:19], s[10:11]
	s_cbranch_execz .LBB2_2968
.LBB2_2950:                             ;   in Loop: Header=BB2_1518 Depth=1
	s_and_saveexec_b64 vcc, s[30:31]
	s_xor_b64 s[46:47], exec, vcc
	s_cbranch_execz .LBB2_2965
; %bb.2951:                             ;   in Loop: Header=BB2_1518 Depth=1
	s_and_saveexec_b64 s[48:49], s[12:13]
	s_cbranch_execz .LBB2_2964
; %bb.2952:                             ;   in Loop: Header=BB2_1518 Depth=1
	s_mov_b64 s[52:53], exec
	v_mbcnt_lo_u32_b32 v1, s52, 0
	v_mbcnt_hi_u32_b32 v1, s53, v1
	v_cmp_eq_u32_e32 vcc, 0, v1
	s_waitcnt vmcnt(0) lgkmcnt(0)
	buffer_wbinvl1_vol
	s_and_saveexec_b64 s[50:51], vcc
	s_cbranch_execz .LBB2_2954
; %bb.2953:                             ;   in Loop: Header=BB2_1518 Depth=1
	s_bcnt1_i32_b64 vcc_lo, s[52:53]
	v_mov_b32_e32 v52, vcc_lo
	ds_add_u64 v0, v[52:53]
	s_trap 2
.LBB2_2954:                             ;   in Loop: Header=BB2_1518 Depth=1
	s_or_b64 exec, exec, s[50:51]
	s_trap 2
	ds_read_b64 v[2:3], v0
	v_accvgpr_read_b32 v4, a22
	v_add_co_u32_e32 v38, vcc, v38, v4
	v_addc_co_u32_e32 v39, vcc, 0, v39, vcc
	s_waitcnt lgkmcnt(0)
	v_cmp_lt_u64_e32 vcc, v[2:3], v[38:39]
	s_and_saveexec_b64 s[50:51], vcc
	s_cbranch_execz .LBB2_2963
; %bb.2955:                             ;   in Loop: Header=BB2_1518 Depth=1
	s_mov_b32 s62, 0
	s_mov_b64 s[52:53], 0
                                        ; implicit-def: $sgpr54_sgpr55
                                        ; implicit-def: $sgpr56_sgpr57
	s_branch .LBB2_2957
.LBB2_2956:                             ;   in Loop: Header=BB2_2957 Depth=2
	s_or_b64 exec, exec, s[60:61]
	s_and_b64 vcc, exec, vcc
	s_or_b64 s[52:53], vcc, s[52:53]
	s_andn2_b64 vcc, s[54:55], exec
	s_and_b64 s[54:55], s[56:57], exec
	s_or_b64 s[54:55], vcc, s[54:55]
	s_andn2_b64 exec, exec, s[52:53]
	s_cbranch_execz .LBB2_2961
.LBB2_2957:                             ;   Parent Loop BB2_1518 Depth=1
                                        ; =>  This Inner Loop Header: Depth=2
	s_add_i32 s62, s62, 1
	s_cmpk_lg_i32 s62, 0x2710
	s_cselect_b64 s[58:59], -1, 0
	s_and_b64 vcc, exec, s[58:59]
                                        ; implicit-def: $sgpr60_sgpr61
	s_cbranch_vccnz .LBB2_2959
; %bb.2958:                             ;   in Loop: Header=BB2_2957 Depth=2
	s_trap 2
	ds_read_b64 v[2:3], v0
	s_andn2_b64 s[58:59], s[58:59], exec
	s_mov_b32 s62, 0
	s_mov_b64 s[60:61], -1
	s_waitcnt lgkmcnt(0)
	flat_load_dword v1, v[2:3] glc
	s_waitcnt vmcnt(0) lgkmcnt(0)
	buffer_invl2
	buffer_wbinvl1_vol
	v_cmp_eq_u32_e32 vcc, 0, v1
	s_and_b64 vcc, vcc, exec
	s_or_b64 s[58:59], s[58:59], vcc
.LBB2_2959:                             ;   in Loop: Header=BB2_2957 Depth=2
	s_andn2_b64 s[56:57], s[56:57], exec
	s_and_b64 s[60:61], s[60:61], exec
	s_mov_b64 vcc, -1
	s_or_b64 s[56:57], s[56:57], s[60:61]
	s_and_saveexec_b64 s[60:61], s[58:59]
	s_cbranch_execz .LBB2_2956
; %bb.2960:                             ;   in Loop: Header=BB2_2957 Depth=2
	s_sleep 1
	s_trap 2
	ds_read_b64 v[2:3], v0
	s_andn2_b64 s[56:57], s[56:57], exec
	s_waitcnt lgkmcnt(0)
	v_cmp_ge_u64_e32 vcc, v[2:3], v[38:39]
	s_orn2_b64 vcc, vcc, exec
	s_branch .LBB2_2956
.LBB2_2961:                             ;   in Loop: Header=BB2_1518 Depth=1
	s_or_b64 exec, exec, s[52:53]
	s_and_saveexec_b64 vcc, s[54:55]
	s_xor_b64 vcc, exec, vcc
	s_cbranch_execz .LBB2_2963
; %bb.2962:                             ;   in Loop: Header=BB2_1518 Depth=1
	v_mov_b32_e32 v1, 1
	ds_write_b32 v0, v1
	s_trap 2
.LBB2_2963:                             ;   in Loop: Header=BB2_1518 Depth=1
	s_or_b64 exec, exec, s[50:51]
	;;#ASMSTART
	s_wakeup
	;;#ASMEND
.LBB2_2964:                             ;   in Loop: Header=BB2_1518 Depth=1
	s_or_b64 exec, exec, s[48:49]
.LBB2_2965:                             ;   in Loop: Header=BB2_1518 Depth=1
	s_andn2_saveexec_b64 vcc, s[46:47]
	s_cbranch_execz .LBB2_2967
; %bb.2966:                             ;   in Loop: Header=BB2_1518 Depth=1
	s_waitcnt vmcnt(0) lgkmcnt(0)
	buffer_wbinvl1_vol
	s_barrier
.LBB2_2967:                             ;   in Loop: Header=BB2_1518 Depth=1
	s_or_b64 exec, exec, vcc
.LBB2_2968:                             ;   in Loop: Header=BB2_1518 Depth=1
	s_or_b64 exec, exec, s[18:19]
	s_trap 2
	ds_read_b32 v1, v0
	v_sub_u32_e32 v0, v6, v0
	v_min_i32_e32 v0, v30, v0
	v_cmp_lt_i32_e32 vcc, 0, v0
	v_and_b32_e32 v0, 16, v62
	s_waitcnt lgkmcnt(0)
	v_readfirstlane_b32 s18, v1
	s_cmp_eq_u32 s18, 0
	s_cselect_b64 s[18:19], -1, 0
	s_and_b64 s[18:19], vcc, s[18:19]
	v_cmp_ne_u32_e32 vcc, 0, v0
	s_and_b64 vcc, vcc, s[18:19]
	s_and_saveexec_b64 s[18:19], vcc
	s_cbranch_execz .LBB2_2970
; %bb.2969:                             ;   in Loop: Header=BB2_1518 Depth=1
	s_waitcnt vmcnt(0)
	buffer_wbinvl1_vol
.LBB2_2970:                             ;   in Loop: Header=BB2_1518 Depth=1
	s_or_b64 exec, exec, s[18:19]
	v_and_b32_e32 v0, 32, v62
	v_cmp_ne_u32_e32 vcc, 0, v0
	s_and_saveexec_b64 s[18:19], vcc
	s_cbranch_execz .LBB2_1516
; %bb.2971:                             ;   in Loop: Header=BB2_1518 Depth=1
	v_accvgpr_read_b32 v0, a12
	v_accvgpr_read_b32 v2, a14
	;; [unrolled: 1-line block ×3, first 2 shown]
	v_add_co_u32_e32 v2, vcc, 1, v2
	v_addc_co_u32_e32 v3, vcc, 0, v3, vcc
	v_accvgpr_read_b32 v1, a13
	v_accvgpr_write_b32 a15, v3
	v_accvgpr_write_b32 a14, v2
	;; [unrolled: 1-line block ×4, first 2 shown]
	flat_store_dwordx2 v[32:33], v[2:3]
	s_branch .LBB2_1516
.LBB2_2972:
	s_or_b64 exec, exec, s[34:35]
	v_accvgpr_read_b32 v51, a15
	v_accvgpr_read_b32 v50, a14
	;; [unrolled: 1-line block ×4, first 2 shown]
.LBB2_2973:
	s_or_b64 exec, exec, s[24:25]
.LBB2_2974:
	s_or_b64 exec, exec, s[22:23]
                                        ; implicit-def: $vgpr58_vgpr59
                                        ; implicit-def: $vgpr44_vgpr45
                                        ; implicit-def: $agpr22_agpr23
                                        ; implicit-def: $vgpr56
                                        ; implicit-def: $vgpr36_vgpr37
                                        ; implicit-def: $vgpr42_vgpr43
                                        ; implicit-def: $vgpr32_vgpr33
                                        ; implicit-def: $vgpr41
                                        ; implicit-def: $vgpr1
                                        ; implicit-def: $vgpr60_vgpr61
.LBB2_2975:
	s_andn2_saveexec_b64 s[22:23], s[28:29]
	s_cbranch_execz .LBB2_3146
; %bb.2976:
	s_mov_b64 s[28:29], 0
	v_cmp_ne_u64_e32 vcc, 0, v[44:45]
	v_pk_mov_b32 v[38:39], 0, 0
	s_and_saveexec_b64 s[24:25], vcc
	s_cbranch_execz .LBB2_3145
; %bb.2977:
	v_and_b32_e32 v0, 63, v31
	v_cmp_eq_u32_e64 s[12:13], 0, v0
	v_ashrrev_i32_e32 v0, 31, v41
	v_lshrrev_b32_e32 v0, 26, v0
	v_add_u32_e32 v2, v41, v0
	s_waitcnt vmcnt(0)
	v_lshrrev_b32_e32 v10, 6, v54
	v_and_b32_e32 v0, 0xffffffc0, v2
	v_sub_u32_e32 v0, v41, v0
	v_lshlrev_b32_e32 v26, 10, v10
	v_cmp_lt_i32_e64 s[16:17], v0, v1
	v_ashrrev_i32_e32 v1, 6, v2
	v_add_u32_e32 v2, 0xfffffc00, v26
	s_movk_i32 s18, 0x400
	v_ashrrev_i32_e32 v3, 31, v2
	v_add_co_u32_e64 v27, s[18:19], s18, v2
	v_addc_co_u32_e64 v28, s[18:19], 0, v3, s[18:19]
	v_mov_b32_e32 v2, 0xfffffe00
	v_lshl_add_u32 v2, v10, 9, v2
	s_movk_i32 s18, 0x200
	s_ashr_i32 s6, s70, 31
	v_ashrrev_i32_e32 v3, 31, v2
	v_add_co_u32_e64 v29, s[18:19], s18, v2
	s_lshr_b32 s6, s6, 24
	v_addc_co_u32_e64 v30, s[18:19], 0, v3, s[18:19]
	s_waitcnt lgkmcnt(0)
	v_accvgpr_read_b32 v2, a22
	s_add_i32 s70, s70, s6
	v_cmp_eq_u32_e32 vcc, 64, v54
	v_lshlrev_b32_e32 v14, 4, v41
	v_and_b32_e32 v16, 0xffffffc0, v54
	v_accvgpr_read_b32 v3, a23
	v_pk_mov_b32 v[18:19], 0, 0
	s_ashr_i32 s58, s70, 8
	v_cmp_ge_i32_e64 s[6:7], v41, v54
	v_cmp_ne_u32_e64 s[10:11], 64, v54
	v_cmp_ne_u32_sdwa s[30:31], v40, v54 src0_sel:WORD_0 src1_sel:DWORD
	v_mov_b32_e32 v13, 0
	v_cmp_gt_i32_e64 s[14:15], 1, v0
	v_sub_u32_e32 v1, 0, v1
	v_ashrrev_i32_e32 v15, 31, v14
	v_ashrrev_i32_e32 v11, 31, v16
	v_cmp_ne_u64_e64 s[18:19], 0, v[2:3]
	s_movk_i32 s59, 0x270e
	v_mov_b32_e32 v55, 1
	s_xor_b64 s[34:35], vcc, -1
	v_pk_mov_b32 v[38:39], v[18:19], v[18:19] op_sel:[0,1]
	s_trap 2
	s_branch .LBB2_2981
.LBB2_2978:                             ;   in Loop: Header=BB2_2981 Depth=1
	s_or_b64 exec, exec, vcc
	v_add_co_u32_e32 v50, vcc, 1, v50
	v_addc_co_u32_e32 v51, vcc, 0, v51, vcc
	flat_store_dwordx2 v[32:33], v[50:51]
.LBB2_2979:                             ;   in Loop: Header=BB2_2981 Depth=1
	s_or_b64 exec, exec, s[20:21]
.LBB2_2980:                             ;   in Loop: Header=BB2_2981 Depth=1
	s_or_b64 exec, exec, s[38:39]
	v_add_co_u32_e32 v18, vcc, v18, v60
	v_addc_co_u32_e32 v19, vcc, 0, v19, vcc
	v_cmp_ge_u64_e32 vcc, v[18:19], v[44:45]
	s_or_b64 s[28:29], vcc, s[28:29]
	s_andn2_b64 exec, exec, s[28:29]
	s_cbranch_execz .LBB2_3144
.LBB2_2981:                             ; =>This Loop Header: Depth=1
                                        ;     Child Loop BB2_2990 Depth 2
                                        ;     Child Loop BB2_3014 Depth 2
	;; [unrolled: 1-line block ×10, first 2 shown]
	v_sub_co_u32_e32 v2, vcc, v44, v18
	v_subb_co_u32_e32 v3, vcc, v45, v19, vcc
	v_cmp_lt_u64_e32 vcc, v[60:61], v[2:3]
	v_cndmask_b32_e64 v21, v3, 0, vcc
	v_cndmask_b32_e32 v20, v2, v60, vcc
	v_add_u32_e32 v2, 15, v20
	v_cmp_eq_u64_e32 vcc, 0, v[20:21]
	v_and_b32_e32 v2, 0x7ffffff0, v2
	s_or_b64 s[36:37], s[6:7], vcc
	v_max_i32_e32 v12, s58, v2
	s_xor_b64 s[20:21], s[36:37], -1
	v_mov_b32_e32 v2, 0
	s_and_saveexec_b64 s[38:39], s[20:21]
	s_cbranch_execz .LBB2_3097
; %bb.2982:                             ;   in Loop: Header=BB2_2981 Depth=1
	s_and_saveexec_b64 s[20:21], s[4:5]
	s_cbranch_execz .LBB2_2984
; %bb.2983:                             ;   in Loop: Header=BB2_2981 Depth=1
	s_trap 2
	ds_read_b64 v[2:3], v0
	s_waitcnt lgkmcnt(0)
	v_add_co_u32_e32 v2, vcc, v2, v58
	v_addc_co_u32_e32 v3, vcc, v3, v59, vcc
	v_add_co_u32_e32 v2, vcc, v2, v18
	v_addc_co_u32_e32 v3, vcc, v3, v19, vcc
	ds_write_b64 v0, v[2:3]
	v_mov_b32_e32 v2, v13
	v_mov_b32_e32 v3, v13
	ds_write_b64 v0, v[2:3]
.LBB2_2984:                             ;   in Loop: Header=BB2_2981 Depth=1
	s_or_b64 exec, exec, s[20:21]
	v_and_b32_e32 v2, 8, v62
	v_cmp_ne_u32_e32 vcc, 0, v2
	s_mov_b64 s[40:41], -1
	s_and_saveexec_b64 s[20:21], vcc
	s_cbranch_execz .LBB2_2996
; %bb.2985:                             ;   in Loop: Header=BB2_2981 Depth=1
	v_add_co_u32_e32 v2, vcc, 8, v36
	v_addc_co_u32_e32 v3, vcc, 0, v37, vcc
	v_add_co_u32_e32 v22, vcc, 1, v50
	v_addc_co_u32_e32 v23, vcc, 0, v51, vcc
	v_cmp_lt_u64_e32 vcc, v[2:3], v[22:23]
	v_mov_b32_e32 v2, 1
	s_and_saveexec_b64 s[40:41], vcc
	s_cbranch_execz .LBB2_2995
; %bb.2986:                             ;   in Loop: Header=BB2_2981 Depth=1
	s_mov_b64 s[42:43], 0
	v_mov_b32_e32 v2, 0
                                        ; implicit-def: $sgpr44_sgpr45
	s_branch .LBB2_2990
.LBB2_2987:                             ;   in Loop: Header=BB2_2990 Depth=2
	s_or_b64 exec, exec, s[52:53]
	v_mov_b32_e32 v3, 0
	s_orn2_b64 s[50:51], s[50:51], exec
.LBB2_2988:                             ;   in Loop: Header=BB2_2990 Depth=2
	s_or_b64 exec, exec, s[48:49]
	s_andn2_b64 vcc, s[44:45], exec
	s_and_b64 s[44:45], s[50:51], exec
	s_or_b64 s[44:45], vcc, s[44:45]
	v_mov_b32_e32 v2, v3
.LBB2_2989:                             ;   in Loop: Header=BB2_2990 Depth=2
	s_or_b64 exec, exec, s[46:47]
	s_waitcnt vmcnt(0) lgkmcnt(0)
	v_add_co_u32_e32 v4, vcc, 8, v36
	v_addc_co_u32_e32 v5, vcc, 0, v37, vcc
	v_cmp_ge_u64_e32 vcc, v[4:5], v[22:23]
	s_xor_b64 s[46:47], s[44:45], -1
	s_or_b64 vcc, s[46:47], vcc
	s_and_b64 vcc, exec, vcc
	s_or_b64 s[42:43], vcc, s[42:43]
	s_andn2_b64 exec, exec, s[42:43]
	s_cbranch_execz .LBB2_2994
.LBB2_2990:                             ;   Parent Loop BB2_2981 Depth=1
                                        ; =>  This Inner Loop Header: Depth=2
	s_sleep 1
	flat_load_dwordx2 v[36:37], v[32:33] glc
	v_and_b32_e32 v3, 64, v62
	v_cmp_eq_u32_e32 vcc, 0, v3
	s_andn2_b64 s[44:45], s[44:45], exec
	s_and_saveexec_b64 s[46:47], vcc
	s_cbranch_execz .LBB2_2989
; %bb.2991:                             ;   in Loop: Header=BB2_2990 Depth=2
	v_add_u32_e32 v3, 1, v2
	v_cmp_lt_i32_e32 vcc, s59, v2
	s_mov_b64 s[50:51], -1
	s_and_saveexec_b64 s[48:49], vcc
	s_cbranch_execz .LBB2_2988
; %bb.2992:                             ;   in Loop: Header=BB2_2990 Depth=2
	s_trap 2
	ds_read_b64 v[2:3], v0
	s_waitcnt vmcnt(0) lgkmcnt(0)
	flat_load_dword v2, v[2:3] glc
	s_waitcnt vmcnt(0) lgkmcnt(0)
	buffer_invl2
	buffer_wbinvl1_vol
	v_cmp_ne_u32_e32 vcc, 0, v2
	s_and_saveexec_b64 s[52:53], vcc
	s_cbranch_execz .LBB2_2987
; %bb.2993:                             ;   in Loop: Header=BB2_2990 Depth=2
	v_or_b32_e32 v62, 64, v62
	s_xor_b64 s[50:51], exec, -1
	ds_write_b32 v0, v2
	s_trap 2
	s_branch .LBB2_2987
.LBB2_2994:                             ;   in Loop: Header=BB2_2981 Depth=1
	s_or_b64 exec, exec, s[42:43]
	v_and_b32_e32 v2, 8, v62
.LBB2_2995:                             ;   in Loop: Header=BB2_2981 Depth=1
	s_or_b64 exec, exec, s[40:41]
	v_cmp_eq_u32_e32 vcc, 0, v2
	s_orn2_b64 s[40:41], vcc, exec
	;;#ASMSTART
	s_wakeup
	;;#ASMEND
.LBB2_2996:                             ;   in Loop: Header=BB2_2981 Depth=1
	s_or_b64 exec, exec, s[20:21]
	s_xor_b64 s[20:21], s[40:41], -1
	v_min_u32_e32 v12, v12, v20
	s_and_saveexec_b64 s[40:41], s[20:21]
	s_cbranch_execz .LBB2_3006
; %bb.2997:                             ;   in Loop: Header=BB2_2981 Depth=1
	v_and_b32_e32 v2, 0x100, v62
	v_cmp_ne_u32_e32 vcc, 0, v2
	v_and_b32_e32 v4, 7, v50
	s_mov_b64 s[20:21], -1
                                        ; implicit-def: $vgpr2_vgpr3
	s_and_saveexec_b64 s[42:43], vcc
	s_cbranch_execz .LBB2_3001
; %bb.2998:                             ;   in Loop: Header=BB2_2981 Depth=1
	v_mad_u64_u32 v[22:23], s[20:21], v4, 24, v[48:49]
	flat_load_dword v2, v[22:23]
	s_waitcnt vmcnt(0) lgkmcnt(0)
	v_cmp_ne_u32_e32 vcc, 1, v2
	v_cmp_eq_u32_e64 s[20:21], 1, v2
	flat_store_dwordx2 v[22:23], v[12:13] offset:8
                                        ; implicit-def: $vgpr2_vgpr3
	s_and_saveexec_b64 s[44:45], s[20:21]
	s_cbranch_execz .LBB2_3000
; %bb.2999:                             ;   in Loop: Header=BB2_2981 Depth=1
	flat_load_dword v2, v[22:23] offset:4 glc
	s_waitcnt vmcnt(0) lgkmcnt(0)
	v_ashrrev_i32_e32 v3, 31, v2
.LBB2_3000:                             ;   in Loop: Header=BB2_2981 Depth=1
	s_or_b64 exec, exec, s[44:45]
	s_orn2_b64 s[20:21], vcc, exec
.LBB2_3001:                             ;   in Loop: Header=BB2_2981 Depth=1
	s_or_b64 exec, exec, s[42:43]
	s_and_saveexec_b64 vcc, s[20:21]
; %bb.3002:                             ;   in Loop: Header=BB2_2981 Depth=1
	v_mad_i64_i32 v[2:3], s[20:21], v4, v56, 0
; %bb.3003:                             ;   in Loop: Header=BB2_2981 Depth=1
	s_or_b64 exec, exec, vcc
	v_add_co_u32_e32 v2, vcc, v42, v2
	v_addc_co_u32_e32 v3, vcc, v43, v3, vcc
	ds_write_b64 v0, v[2:3] offset:784
	v_and_b32_e32 v2, 0x2000, v62
	v_cmp_ne_u32_e32 vcc, 0, v2
	s_and_saveexec_b64 s[20:21], vcc
	s_cbranch_execz .LBB2_3005
; %bb.3004:                             ;   in Loop: Header=BB2_2981 Depth=1
	ds_read_b64 v[2:3], v0 offset:584
	s_waitcnt lgkmcnt(0)
	v_add_co_u32_e32 v2, vcc, 1, v2
	v_addc_co_u32_e32 v3, vcc, 0, v3, vcc
	ds_write_b64 v0, v[2:3] offset:584
.LBB2_3005:                             ;   in Loop: Header=BB2_2981 Depth=1
	s_or_b64 exec, exec, s[20:21]
	v_add_co_u32_e32 v50, vcc, 1, v50
	v_addc_co_u32_e32 v51, vcc, 0, v51, vcc
.LBB2_3006:                             ;   in Loop: Header=BB2_2981 Depth=1
	s_or_b64 exec, exec, s[40:41]
	s_and_saveexec_b64 s[20:21], s[10:11]
	s_cbranch_execz .LBB2_3025
; %bb.3007:                             ;   in Loop: Header=BB2_2981 Depth=1
	s_and_saveexec_b64 vcc, s[30:31]
	s_xor_b64 s[40:41], exec, vcc
	s_cbranch_execz .LBB2_3022
; %bb.3008:                             ;   in Loop: Header=BB2_2981 Depth=1
	s_and_saveexec_b64 s[42:43], s[12:13]
	s_cbranch_execz .LBB2_3021
; %bb.3009:                             ;   in Loop: Header=BB2_2981 Depth=1
	s_mov_b64 s[46:47], exec
	v_mbcnt_lo_u32_b32 v2, s46, 0
	v_mbcnt_hi_u32_b32 v2, s47, v2
	v_cmp_eq_u32_e32 vcc, 0, v2
	s_waitcnt vmcnt(0) lgkmcnt(0)
	buffer_wbinvl1_vol
	s_and_saveexec_b64 s[44:45], vcc
	s_cbranch_execz .LBB2_3011
; %bb.3010:                             ;   in Loop: Header=BB2_2981 Depth=1
	s_bcnt1_i32_b64 vcc_lo, s[46:47]
	v_mov_b32_e32 v2, vcc_lo
	v_mov_b32_e32 v3, v13
	ds_add_u64 v0, v[2:3]
	s_trap 2
.LBB2_3011:                             ;   in Loop: Header=BB2_2981 Depth=1
	s_or_b64 exec, exec, s[44:45]
	s_trap 2
	ds_read_b64 v[2:3], v0
	v_add_co_u32_e32 v38, vcc, v38, v10
	v_addc_co_u32_e32 v39, vcc, 0, v39, vcc
	s_waitcnt lgkmcnt(0)
	v_cmp_lt_u64_e32 vcc, v[2:3], v[38:39]
	s_and_saveexec_b64 s[44:45], vcc
	s_cbranch_execz .LBB2_3020
; %bb.3012:                             ;   in Loop: Header=BB2_2981 Depth=1
	s_mov_b32 s56, 0
	s_mov_b64 s[46:47], 0
                                        ; implicit-def: $sgpr48_sgpr49
                                        ; implicit-def: $sgpr50_sgpr51
	s_branch .LBB2_3014
.LBB2_3013:                             ;   in Loop: Header=BB2_3014 Depth=2
	s_or_b64 exec, exec, s[54:55]
	s_and_b64 vcc, exec, vcc
	s_or_b64 s[46:47], vcc, s[46:47]
	s_andn2_b64 vcc, s[48:49], exec
	s_and_b64 s[48:49], s[50:51], exec
	s_or_b64 s[48:49], vcc, s[48:49]
	s_andn2_b64 exec, exec, s[46:47]
	s_cbranch_execz .LBB2_3018
.LBB2_3014:                             ;   Parent Loop BB2_2981 Depth=1
                                        ; =>  This Inner Loop Header: Depth=2
	s_add_i32 s56, s56, 1
	s_cmpk_lg_i32 s56, 0x2710
	s_cselect_b64 s[52:53], -1, 0
	s_and_b64 vcc, exec, s[52:53]
                                        ; implicit-def: $sgpr54_sgpr55
	s_cbranch_vccnz .LBB2_3016
; %bb.3015:                             ;   in Loop: Header=BB2_3014 Depth=2
	s_trap 2
	ds_read_b64 v[2:3], v0
	s_andn2_b64 s[52:53], s[52:53], exec
	s_mov_b32 s56, 0
	s_mov_b64 s[54:55], -1
	s_waitcnt lgkmcnt(0)
	flat_load_dword v2, v[2:3] glc
	s_waitcnt vmcnt(0) lgkmcnt(0)
	buffer_invl2
	buffer_wbinvl1_vol
	v_cmp_eq_u32_e32 vcc, 0, v2
	s_and_b64 vcc, vcc, exec
	s_or_b64 s[52:53], s[52:53], vcc
.LBB2_3016:                             ;   in Loop: Header=BB2_3014 Depth=2
	s_andn2_b64 s[50:51], s[50:51], exec
	s_and_b64 s[54:55], s[54:55], exec
	s_mov_b64 vcc, -1
	s_or_b64 s[50:51], s[50:51], s[54:55]
	s_and_saveexec_b64 s[54:55], s[52:53]
	s_cbranch_execz .LBB2_3013
; %bb.3017:                             ;   in Loop: Header=BB2_3014 Depth=2
	s_sleep 1
	s_trap 2
	ds_read_b64 v[2:3], v0
	s_andn2_b64 s[50:51], s[50:51], exec
	s_waitcnt lgkmcnt(0)
	v_cmp_ge_u64_e32 vcc, v[2:3], v[38:39]
	s_orn2_b64 vcc, vcc, exec
	s_branch .LBB2_3013
.LBB2_3018:                             ;   in Loop: Header=BB2_2981 Depth=1
	s_or_b64 exec, exec, s[46:47]
	s_and_saveexec_b64 vcc, s[48:49]
	s_xor_b64 vcc, exec, vcc
	s_cbranch_execz .LBB2_3020
; %bb.3019:                             ;   in Loop: Header=BB2_2981 Depth=1
	ds_write_b32 v0, v55
	s_trap 2
.LBB2_3020:                             ;   in Loop: Header=BB2_2981 Depth=1
	s_or_b64 exec, exec, s[44:45]
	;;#ASMSTART
	s_wakeup
	;;#ASMEND
.LBB2_3021:                             ;   in Loop: Header=BB2_2981 Depth=1
	s_or_b64 exec, exec, s[42:43]
.LBB2_3022:                             ;   in Loop: Header=BB2_2981 Depth=1
	s_andn2_saveexec_b64 vcc, s[40:41]
	s_cbranch_execz .LBB2_3024
; %bb.3023:                             ;   in Loop: Header=BB2_2981 Depth=1
	s_waitcnt vmcnt(0) lgkmcnt(0)
	buffer_wbinvl1_vol
	s_barrier
.LBB2_3024:                             ;   in Loop: Header=BB2_2981 Depth=1
	s_or_b64 exec, exec, vcc
.LBB2_3025:                             ;   in Loop: Header=BB2_2981 Depth=1
	s_or_b64 exec, exec, s[20:21]
	s_trap 2
	ds_read_b32 v2, v0
	v_and_b32_e32 v3, 0x4000, v62
	v_cmp_ne_u32_e32 vcc, 0, v3
	s_and_b64 vcc, s[34:35], vcc
	s_and_saveexec_b64 s[20:21], vcc
	s_cbranch_execz .LBB2_3044
; %bb.3026:                             ;   in Loop: Header=BB2_2981 Depth=1
	s_and_saveexec_b64 vcc, s[30:31]
	s_xor_b64 s[40:41], exec, vcc
	s_cbranch_execz .LBB2_3041
; %bb.3027:                             ;   in Loop: Header=BB2_2981 Depth=1
	s_and_saveexec_b64 s[42:43], s[12:13]
	s_cbranch_execz .LBB2_3040
; %bb.3028:                             ;   in Loop: Header=BB2_2981 Depth=1
	s_mov_b64 s[46:47], exec
	v_mbcnt_lo_u32_b32 v3, s46, 0
	v_mbcnt_hi_u32_b32 v3, s47, v3
	v_cmp_eq_u32_e32 vcc, 0, v3
	s_waitcnt vmcnt(0) lgkmcnt(0)
	buffer_wbinvl1_vol
	s_and_saveexec_b64 s[44:45], vcc
	s_cbranch_execz .LBB2_3030
; %bb.3029:                             ;   in Loop: Header=BB2_2981 Depth=1
	s_bcnt1_i32_b64 vcc_lo, s[46:47]
	v_mov_b32_e32 v4, vcc_lo
	v_mov_b32_e32 v5, v13
	ds_add_u64 v0, v[4:5]
	s_trap 2
.LBB2_3030:                             ;   in Loop: Header=BB2_2981 Depth=1
	s_or_b64 exec, exec, s[44:45]
	s_trap 2
	ds_read_b64 v[4:5], v0
	v_add_co_u32_e32 v38, vcc, v38, v10
	v_addc_co_u32_e32 v39, vcc, 0, v39, vcc
	s_waitcnt lgkmcnt(0)
	v_cmp_lt_u64_e32 vcc, v[4:5], v[38:39]
	s_and_saveexec_b64 s[44:45], vcc
	s_cbranch_execz .LBB2_3039
; %bb.3031:                             ;   in Loop: Header=BB2_2981 Depth=1
	s_mov_b32 s56, 0
	s_mov_b64 s[46:47], 0
                                        ; implicit-def: $sgpr48_sgpr49
                                        ; implicit-def: $sgpr50_sgpr51
	s_branch .LBB2_3033
.LBB2_3032:                             ;   in Loop: Header=BB2_3033 Depth=2
	s_or_b64 exec, exec, s[54:55]
	s_and_b64 vcc, exec, vcc
	s_or_b64 s[46:47], vcc, s[46:47]
	s_andn2_b64 vcc, s[48:49], exec
	s_and_b64 s[48:49], s[50:51], exec
	s_or_b64 s[48:49], vcc, s[48:49]
	s_andn2_b64 exec, exec, s[46:47]
	s_cbranch_execz .LBB2_3037
.LBB2_3033:                             ;   Parent Loop BB2_2981 Depth=1
                                        ; =>  This Inner Loop Header: Depth=2
	s_add_i32 s56, s56, 1
	s_cmpk_lg_i32 s56, 0x2710
	s_cselect_b64 s[52:53], -1, 0
	s_and_b64 vcc, exec, s[52:53]
                                        ; implicit-def: $sgpr54_sgpr55
	s_cbranch_vccnz .LBB2_3035
; %bb.3034:                             ;   in Loop: Header=BB2_3033 Depth=2
	s_trap 2
	ds_read_b64 v[4:5], v0
	s_andn2_b64 s[52:53], s[52:53], exec
	s_mov_b32 s56, 0
	s_mov_b64 s[54:55], -1
	s_waitcnt lgkmcnt(0)
	flat_load_dword v3, v[4:5] glc
	s_waitcnt vmcnt(0) lgkmcnt(0)
	buffer_invl2
	buffer_wbinvl1_vol
	v_cmp_eq_u32_e32 vcc, 0, v3
	s_and_b64 vcc, vcc, exec
	s_or_b64 s[52:53], s[52:53], vcc
.LBB2_3035:                             ;   in Loop: Header=BB2_3033 Depth=2
	s_andn2_b64 s[50:51], s[50:51], exec
	s_and_b64 s[54:55], s[54:55], exec
	s_mov_b64 vcc, -1
	s_or_b64 s[50:51], s[50:51], s[54:55]
	s_and_saveexec_b64 s[54:55], s[52:53]
	s_cbranch_execz .LBB2_3032
; %bb.3036:                             ;   in Loop: Header=BB2_3033 Depth=2
	s_sleep 1
	s_trap 2
	ds_read_b64 v[4:5], v0
	s_andn2_b64 s[50:51], s[50:51], exec
	s_waitcnt lgkmcnt(0)
	v_cmp_ge_u64_e32 vcc, v[4:5], v[38:39]
	s_orn2_b64 vcc, vcc, exec
	s_branch .LBB2_3032
.LBB2_3037:                             ;   in Loop: Header=BB2_2981 Depth=1
	s_or_b64 exec, exec, s[46:47]
	s_and_saveexec_b64 vcc, s[48:49]
	s_xor_b64 vcc, exec, vcc
	s_cbranch_execz .LBB2_3039
; %bb.3038:                             ;   in Loop: Header=BB2_2981 Depth=1
	ds_write_b32 v0, v55
	s_trap 2
.LBB2_3039:                             ;   in Loop: Header=BB2_2981 Depth=1
	s_or_b64 exec, exec, s[44:45]
	;;#ASMSTART
	s_wakeup
	;;#ASMEND
.LBB2_3040:                             ;   in Loop: Header=BB2_2981 Depth=1
	s_or_b64 exec, exec, s[42:43]
.LBB2_3041:                             ;   in Loop: Header=BB2_2981 Depth=1
	s_andn2_saveexec_b64 vcc, s[40:41]
	s_cbranch_execz .LBB2_3043
; %bb.3042:                             ;   in Loop: Header=BB2_2981 Depth=1
	s_waitcnt vmcnt(0) lgkmcnt(0)
	buffer_wbinvl1_vol
	s_barrier
.LBB2_3043:                             ;   in Loop: Header=BB2_2981 Depth=1
	s_or_b64 exec, exec, vcc
.LBB2_3044:                             ;   in Loop: Header=BB2_2981 Depth=1
	s_or_b64 exec, exec, s[20:21]
	s_trap 2
	ds_read_b64 v[4:5], v0
	s_waitcnt lgkmcnt(0)
	v_readfirstlane_b32 s20, v4
	v_readfirstlane_b32 s21, v5
	s_cmp_eq_u64 s[20:21], 0
	s_cselect_b64 s[20:21], -1, 0
	s_or_b64 vcc, s[20:21], s[20:21]
	s_mov_b64 s[20:21], 0
	s_and_b64 vcc, exec, vcc
	s_cbranch_vccnz .LBB2_3071
; %bb.3045:                             ;   in Loop: Header=BB2_2981 Depth=1
	s_mov_b64 s[20:21], -1
	s_and_saveexec_b64 s[40:41], s[14:15]
	s_cbranch_execz .LBB2_3047
; %bb.3046:                             ;   in Loop: Header=BB2_2981 Depth=1
	ds_read_b32 v3, v0 offset:720
	s_waitcnt lgkmcnt(0)
	v_and_b32_e32 v3, 15, v3
	v_cmp_eq_u32_e32 vcc, 0, v3
	s_orn2_b64 s[20:21], vcc, exec
.LBB2_3047:                             ;   in Loop: Header=BB2_2981 Depth=1
	s_or_b64 exec, exec, s[40:41]
	s_and_saveexec_b64 s[40:41], s[16:17]
	s_cbranch_execz .LBB2_3049
; %bb.3048:                             ;   in Loop: Header=BB2_2981 Depth=1
	ds_read_b32 v3, v0 offset:784
	s_waitcnt lgkmcnt(0)
	v_and_b32_e32 v3, 15, v3
	v_cmp_eq_u32_e32 vcc, 0, v3
	s_and_b64 vcc, s[20:21], vcc
	s_andn2_b64 s[20:21], s[20:21], exec
	s_and_b64 vcc, vcc, exec
	s_or_b64 s[20:21], s[20:21], vcc
.LBB2_3049:                             ;   in Loop: Header=BB2_2981 Depth=1
	s_or_b64 exec, exec, s[40:41]
	v_cmp_eq_u32_e32 vcc, 0, v2
	s_xor_b64 s[20:21], s[20:21], -1
	v_cndmask_b32_e32 v4, 0, v12, vcc
	v_cndmask_b32_e64 v2, 0, 1, s[20:21]
	v_mov_b32_e32 v21, 0
	s_mov_b64 s[42:43], -1
	;;#ASMSTART
	;;#ASMEND
	v_cmp_ne_u32_e32 vcc, 0, v2
	v_mov_b32_e32 v5, v4
	v_mov_b32_e32 v23, v41
	s_cbranch_vccz .LBB2_3051
; %bb.3050:                             ;   in Loop: Header=BB2_2981 Depth=1
	s_and_saveexec_b64 s[20:21], s[42:43]
	s_cbranch_execnz .LBB2_3062
	s_branch .LBB2_3070
.LBB2_3051:                             ;   in Loop: Header=BB2_2981 Depth=1
	v_and_b32_e32 v24, 0x3ff, v4
	v_lshrrev_b32_e32 v2, 10, v4
	v_cmp_lt_u32_e32 vcc, 15, v24
	v_sub_u32_e32 v5, v4, v14
	v_addc_co_u32_e64 v17, s[20:21], v2, v1, vcc
	v_cmp_lt_i32_e64 s[20:21], 15, v5
	s_and_saveexec_b64 s[40:41], s[20:21]
	s_cbranch_execz .LBB2_3055
; %bb.3052:                             ;   in Loop: Header=BB2_2981 Depth=1
	s_trap 2
	ds_read_b64 v[2:3], v0
	v_accvgpr_write_b32 a0, v48
	v_accvgpr_write_b32 a1, v49
	;; [unrolled: 1-line block ×4, first 2 shown]
	s_mov_b64 s[42:43], 0
	v_pk_mov_b32 v[22:23], v[14:15], v[14:15] op_sel:[0,1]
.LBB2_3053:                             ;   Parent Loop BB2_2981 Depth=1
                                        ; =>  This Inner Loop Header: Depth=2
	s_waitcnt lgkmcnt(0)
	v_add_co_u32_e64 v6, s[20:21], v2, v22
	v_addc_co_u32_e64 v7, s[20:21], v3, v23, s[20:21]
	global_load_dwordx4 v[48:51], v[6:7], off glc slc
	v_add_co_u32_e64 v22, s[20:21], v22, v27
	v_sub_u32_e32 v5, v5, v26
	v_addc_co_u32_e64 v23, s[20:21], v23, v28, s[20:21]
	v_cmp_gt_i32_e64 s[20:21], 16, v5
	v_sub_u32_e32 v17, v17, v10
	s_or_b64 s[42:43], s[20:21], s[42:43]
	s_waitcnt vmcnt(0)
	global_store_dwordx4 v[6:7], v[48:51], off glc slc
	s_andn2_b64 exec, exec, s[42:43]
	s_cbranch_execnz .LBB2_3053
; %bb.3054:                             ;   in Loop: Header=BB2_2981 Depth=1
	s_or_b64 exec, exec, s[42:43]
	v_accvgpr_read_b32 v51, a3
	v_accvgpr_read_b32 v50, a2
	;; [unrolled: 1-line block ×4, first 2 shown]
.LBB2_3055:                             ;   in Loop: Header=BB2_2981 Depth=1
	s_or_b64 exec, exec, s[40:41]
	v_and_b32_e32 v2, 15, v4
	v_cndmask_b32_e32 v5, v24, v2, vcc
	v_cmp_ne_u32_e64 s[20:21], 0, v5
	s_mov_b64 s[42:43], 0
	v_mov_b32_e32 v21, 0
                                        ; implicit-def: $vgpr23
	s_and_saveexec_b64 s[40:41], s[20:21]
	s_cbranch_execz .LBB2_3061
; %bb.3056:                             ;   in Loop: Header=BB2_2981 Depth=1
	v_sub_u32_e32 v2, v24, v2
	v_cndmask_b32_e32 v23, 0, v2, vcc
	v_cmp_lt_i32_e32 vcc, 0, v17
	v_cndmask_b32_e32 v2, 0, v10, vcc
	v_sub_u32_e32 v2, v2, v17
	v_lshl_add_u32 v2, v2, 6, v0
	v_ashrrev_i32_e32 v3, 31, v2
	v_lshrrev_b32_e32 v3, 26, v3
	v_add_u32_e32 v3, v2, v3
	v_ashrrev_i32_e32 v6, 6, v3
	v_and_b32_e32 v3, 0xffffffc0, v3
	v_sub_u32_e32 v25, v2, v3
	v_lshlrev_b32_e32 v2, 4, v25
	v_lshl_add_u32 v17, v6, 10, v2
	v_sub_u32_e32 v34, v5, v17
	v_and_b32_e32 v21, 0x3ffffc00, v4
	v_sub_u32_e32 v24, 0, v6
	v_cmp_lt_i32_e32 vcc, 15, v34
	s_and_saveexec_b64 s[20:21], vcc
	s_cbranch_execz .LBB2_3060
; %bb.3057:                             ;   in Loop: Header=BB2_2981 Depth=1
	s_trap 2
	ds_read_b64 v[2:3], v0
	v_accvgpr_write_b32 a0, v48
	v_add3_u32 v22, v23, v21, v17
	v_accvgpr_write_b32 a1, v49
	v_accvgpr_write_b32 a2, v50
	;; [unrolled: 1-line block ×3, first 2 shown]
	v_ashrrev_i32_e32 v17, 31, v22
.LBB2_3058:                             ;   Parent Loop BB2_2981 Depth=1
                                        ; =>  This Inner Loop Header: Depth=2
	s_waitcnt lgkmcnt(0)
	v_add_co_u32_e32 v6, vcc, v2, v22
	v_addc_co_u32_e32 v7, vcc, v3, v17, vcc
	global_load_dwordx4 v[48:51], v[6:7], off glc slc
	v_add_co_u32_e32 v22, vcc, v22, v27
	v_sub_u32_e32 v34, v34, v26
	v_addc_co_u32_e32 v17, vcc, v17, v28, vcc
	v_cmp_gt_i32_e32 vcc, 16, v34
	v_sub_u32_e32 v24, v24, v10
	s_or_b64 s[42:43], vcc, s[42:43]
	s_waitcnt vmcnt(0)
	global_store_dwordx4 v[6:7], v[48:51], off glc slc
	s_andn2_b64 exec, exec, s[42:43]
	s_cbranch_execnz .LBB2_3058
; %bb.3059:                             ;   in Loop: Header=BB2_2981 Depth=1
	s_or_b64 exec, exec, s[42:43]
	v_accvgpr_read_b32 v51, a3
	v_accvgpr_read_b32 v50, a2
	;; [unrolled: 1-line block ×4, first 2 shown]
.LBB2_3060:                             ;   in Loop: Header=BB2_2981 Depth=1
	s_or_b64 exec, exec, s[20:21]
	v_cmp_lt_i32_e32 vcc, 0, v24
	v_cndmask_b32_e32 v2, 0, v10, vcc
	v_sub_u32_e32 v2, v2, v24
	s_mov_b64 s[42:43], exec
	v_or_b32_e32 v21, v23, v21
	v_lshl_add_u32 v23, v2, 6, v25
.LBB2_3061:                             ;   in Loop: Header=BB2_2981 Depth=1
	s_or_b64 exec, exec, s[40:41]
	s_and_saveexec_b64 s[20:21], s[42:43]
	s_cbranch_execz .LBB2_3070
.LBB2_3062:                             ;   in Loop: Header=BB2_2981 Depth=1
	v_ashrrev_i32_e32 v2, 31, v23
	v_lshrrev_b32_e32 v2, 26, v2
	v_add_u32_e32 v17, v23, v2
	v_ashrrev_i32_e32 v34, 6, v17
	v_lshrrev_b32_e32 v2, 9, v5
	v_sub_u32_e32 v35, v2, v34
	v_cmp_lt_i32_e32 vcc, 0, v35
	s_and_saveexec_b64 s[40:41], vcc
	s_cbranch_execz .LBB2_3066
; %bb.3063:                             ;   in Loop: Header=BB2_2981 Depth=1
	s_trap 2
	ds_read_b64 v[2:3], v0
	v_and_b32_e32 v6, 0xffffffc0, v17
	v_sub_u32_e32 v6, v23, v6
	v_lshlrev_b32_e32 v7, 9, v34
	v_accvgpr_write_b32 a0, v48
	v_add3_u32 v22, v21, v6, v7
	v_accvgpr_write_b32 a1, v49
	v_accvgpr_write_b32 a2, v50
	;; [unrolled: 1-line block ×3, first 2 shown]
	v_ashrrev_i32_e32 v17, 31, v22
	s_mov_b64 s[42:43], 0
	s_waitcnt lgkmcnt(0)
	v_pk_mov_b32 v[24:25], v[2:3], v[2:3] op_sel:[0,1]
.LBB2_3064:                             ;   Parent Loop BB2_2981 Depth=1
                                        ; =>  This Inner Loop Header: Depth=2
	v_add_co_u32_e32 v6, vcc, v22, v24
	v_addc_co_u32_e32 v7, vcc, v17, v25, vcc
	flat_load_ubyte v8, v[6:7] glc slc
	flat_load_ubyte v9, v[6:7] offset:64 glc slc
	flat_load_ubyte v48, v[6:7] offset:128 glc slc
	flat_load_ubyte v49, v[6:7] offset:192 glc slc
	flat_load_ubyte v50, v[6:7] offset:256 glc slc
	flat_load_ubyte v51, v[6:7] offset:320 glc slc
	flat_load_ubyte v52, v[6:7] offset:384 glc slc
	flat_load_ubyte v53, v[6:7] offset:448 glc slc
	v_add_co_u32_e32 v6, vcc, v22, v2
	v_addc_co_u32_e32 v7, vcc, v17, v3, vcc
	v_add_co_u32_e32 v24, vcc, v24, v29
	v_addc_co_u32_e32 v25, vcc, v25, v30, vcc
	v_add_co_u32_e32 v2, vcc, v2, v29
	v_sub_u32_e32 v35, v35, v10
	v_addc_co_u32_e32 v3, vcc, v3, v30, vcc
	v_cmp_gt_i32_e32 vcc, 1, v35
	s_or_b64 s[42:43], vcc, s[42:43]
	s_waitcnt vmcnt(0) lgkmcnt(0)
	flat_store_byte v[6:7], v8 glc slc
	flat_store_byte v[6:7], v9 offset:64 glc slc
	flat_store_byte v[6:7], v48 offset:128 glc slc
	flat_store_byte v[6:7], v49 offset:192 glc slc
	flat_store_byte v[6:7], v50 offset:256 glc slc
	flat_store_byte v[6:7], v51 offset:320 glc slc
	flat_store_byte v[6:7], v52 offset:384 glc slc
	flat_store_byte v[6:7], v53 offset:448 glc slc
	s_andn2_b64 exec, exec, s[42:43]
	s_cbranch_execnz .LBB2_3064
; %bb.3065:                             ;   in Loop: Header=BB2_2981 Depth=1
	s_or_b64 exec, exec, s[42:43]
	v_accvgpr_read_b32 v51, a3
	v_accvgpr_read_b32 v50, a2
	;; [unrolled: 1-line block ×4, first 2 shown]
.LBB2_3066:                             ;   in Loop: Header=BB2_2981 Depth=1
	s_or_b64 exec, exec, s[40:41]
	v_and_b32_e32 v17, 0xfffffe00, v5
	v_cmp_ne_u32_e32 vcc, v5, v17
	s_and_b64 exec, exec, vcc
	s_cbranch_execz .LBB2_3070
; %bb.3067:                             ;   in Loop: Header=BB2_2981 Depth=1
	v_lshlrev_b32_e32 v2, 6, v34
	v_sub_u32_e32 v2, v23, v2
	v_lshlrev_b32_e32 v3, 6, v35
	v_sub_u32_e32 v22, v2, v3
	v_and_b32_e32 v2, 0x1ff, v5
	v_sub_u32_e32 v5, v2, v22
	v_cmp_lt_i32_e32 vcc, 0, v5
	s_and_b64 exec, exec, vcc
	s_cbranch_execz .LBB2_3070
; %bb.3068:                             ;   in Loop: Header=BB2_2981 Depth=1
	s_trap 2
	ds_read_b64 v[2:3], v0
	v_add3_u32 v22, v17, v21, v22
	v_ashrrev_i32_e32 v17, 31, v22
	s_mov_b64 s[40:41], 0
.LBB2_3069:                             ;   Parent Loop BB2_2981 Depth=1
                                        ; =>  This Inner Loop Header: Depth=2
	s_waitcnt lgkmcnt(0)
	v_add_co_u32_e32 v6, vcc, v2, v22
	v_addc_co_u32_e32 v7, vcc, v3, v17, vcc
	flat_load_ubyte v8, v[6:7] glc slc
	v_add_co_u32_e32 v22, vcc, v22, v16
	v_sub_u32_e32 v5, v5, v16
	v_addc_co_u32_e32 v17, vcc, v17, v11, vcc
	v_cmp_gt_i32_e32 vcc, 1, v5
	s_or_b64 s[40:41], vcc, s[40:41]
	s_waitcnt vmcnt(0) lgkmcnt(0)
	flat_store_byte v[6:7], v8 glc slc
	s_andn2_b64 exec, exec, s[40:41]
	s_cbranch_execnz .LBB2_3069
.LBB2_3070:                             ;   in Loop: Header=BB2_2981 Depth=1
	s_or_b64 exec, exec, s[20:21]
	v_cmp_ne_u32_e64 s[20:21], 0, v4
.LBB2_3071:                             ;   in Loop: Header=BB2_2981 Depth=1
	s_and_saveexec_b64 s[40:41], s[10:11]
	s_cbranch_execz .LBB2_3090
; %bb.3072:                             ;   in Loop: Header=BB2_2981 Depth=1
	s_and_saveexec_b64 vcc, s[30:31]
	s_xor_b64 s[42:43], exec, vcc
	s_cbranch_execz .LBB2_3087
; %bb.3073:                             ;   in Loop: Header=BB2_2981 Depth=1
	s_and_saveexec_b64 s[44:45], s[12:13]
	s_cbranch_execz .LBB2_3086
; %bb.3074:                             ;   in Loop: Header=BB2_2981 Depth=1
	s_mov_b64 s[48:49], exec
	v_mbcnt_lo_u32_b32 v2, s48, 0
	v_mbcnt_hi_u32_b32 v2, s49, v2
	v_cmp_eq_u32_e32 vcc, 0, v2
	s_waitcnt vmcnt(0) lgkmcnt(0)
	buffer_wbinvl1_vol
	s_and_saveexec_b64 s[46:47], vcc
	s_cbranch_execz .LBB2_3076
; %bb.3075:                             ;   in Loop: Header=BB2_2981 Depth=1
	s_bcnt1_i32_b64 vcc_lo, s[48:49]
	v_mov_b32_e32 v2, vcc_lo
	v_mov_b32_e32 v3, v13
	ds_add_u64 v0, v[2:3]
	s_trap 2
.LBB2_3076:                             ;   in Loop: Header=BB2_2981 Depth=1
	s_or_b64 exec, exec, s[46:47]
	s_trap 2
	ds_read_b64 v[2:3], v0
	v_add_co_u32_e32 v38, vcc, v38, v10
	v_addc_co_u32_e32 v39, vcc, 0, v39, vcc
	s_waitcnt lgkmcnt(0)
	v_cmp_lt_u64_e32 vcc, v[2:3], v[38:39]
	s_and_saveexec_b64 s[46:47], vcc
	s_cbranch_execz .LBB2_3085
; %bb.3077:                             ;   in Loop: Header=BB2_2981 Depth=1
	s_mov_b32 s60, 0
	s_mov_b64 s[48:49], 0
                                        ; implicit-def: $sgpr50_sgpr51
                                        ; implicit-def: $sgpr52_sgpr53
	s_branch .LBB2_3079
.LBB2_3078:                             ;   in Loop: Header=BB2_3079 Depth=2
	s_or_b64 exec, exec, s[56:57]
	s_and_b64 vcc, exec, vcc
	s_or_b64 s[48:49], vcc, s[48:49]
	s_andn2_b64 vcc, s[50:51], exec
	s_and_b64 s[50:51], s[52:53], exec
	s_or_b64 s[50:51], vcc, s[50:51]
	s_andn2_b64 exec, exec, s[48:49]
	s_cbranch_execz .LBB2_3083
.LBB2_3079:                             ;   Parent Loop BB2_2981 Depth=1
                                        ; =>  This Inner Loop Header: Depth=2
	s_add_i32 s60, s60, 1
	s_cmpk_lg_i32 s60, 0x2710
	s_cselect_b64 s[54:55], -1, 0
	s_and_b64 vcc, exec, s[54:55]
                                        ; implicit-def: $sgpr56_sgpr57
	s_cbranch_vccnz .LBB2_3081
; %bb.3080:                             ;   in Loop: Header=BB2_3079 Depth=2
	s_trap 2
	ds_read_b64 v[2:3], v0
	s_andn2_b64 s[54:55], s[54:55], exec
	s_mov_b32 s60, 0
	s_mov_b64 s[56:57], -1
	s_waitcnt lgkmcnt(0)
	flat_load_dword v2, v[2:3] glc
	s_waitcnt vmcnt(0) lgkmcnt(0)
	buffer_invl2
	buffer_wbinvl1_vol
	v_cmp_eq_u32_e32 vcc, 0, v2
	s_and_b64 vcc, vcc, exec
	s_or_b64 s[54:55], s[54:55], vcc
.LBB2_3081:                             ;   in Loop: Header=BB2_3079 Depth=2
	s_andn2_b64 s[52:53], s[52:53], exec
	s_and_b64 s[56:57], s[56:57], exec
	s_mov_b64 vcc, -1
	s_or_b64 s[52:53], s[52:53], s[56:57]
	s_and_saveexec_b64 s[56:57], s[54:55]
	s_cbranch_execz .LBB2_3078
; %bb.3082:                             ;   in Loop: Header=BB2_3079 Depth=2
	s_sleep 1
	s_trap 2
	ds_read_b64 v[2:3], v0
	s_andn2_b64 s[52:53], s[52:53], exec
	s_waitcnt lgkmcnt(0)
	v_cmp_ge_u64_e32 vcc, v[2:3], v[38:39]
	s_orn2_b64 vcc, vcc, exec
	s_branch .LBB2_3078
.LBB2_3083:                             ;   in Loop: Header=BB2_2981 Depth=1
	s_or_b64 exec, exec, s[48:49]
	s_and_saveexec_b64 vcc, s[50:51]
	s_xor_b64 vcc, exec, vcc
	s_cbranch_execz .LBB2_3085
; %bb.3084:                             ;   in Loop: Header=BB2_2981 Depth=1
	ds_write_b32 v0, v55
	s_trap 2
.LBB2_3085:                             ;   in Loop: Header=BB2_2981 Depth=1
	s_or_b64 exec, exec, s[46:47]
	;;#ASMSTART
	s_wakeup
	;;#ASMEND
.LBB2_3086:                             ;   in Loop: Header=BB2_2981 Depth=1
	s_or_b64 exec, exec, s[44:45]
.LBB2_3087:                             ;   in Loop: Header=BB2_2981 Depth=1
	s_andn2_saveexec_b64 vcc, s[42:43]
	s_cbranch_execz .LBB2_3089
; %bb.3088:                             ;   in Loop: Header=BB2_2981 Depth=1
	s_waitcnt vmcnt(0) lgkmcnt(0)
	buffer_wbinvl1_vol
	s_barrier
.LBB2_3089:                             ;   in Loop: Header=BB2_2981 Depth=1
	s_or_b64 exec, exec, vcc
.LBB2_3090:                             ;   in Loop: Header=BB2_2981 Depth=1
	s_or_b64 exec, exec, s[40:41]
	v_and_b32_e32 v2, 16, v62
	v_cmp_ne_u32_e32 vcc, 0, v2
	s_and_b64 vcc, vcc, s[20:21]
	s_and_saveexec_b64 s[20:21], vcc
	s_cbranch_execz .LBB2_3092
; %bb.3091:                             ;   in Loop: Header=BB2_2981 Depth=1
	s_waitcnt vmcnt(0) lgkmcnt(0)
	buffer_wbinvl1_vol
.LBB2_3092:                             ;   in Loop: Header=BB2_2981 Depth=1
	s_or_b64 exec, exec, s[20:21]
	v_cmp_ne_u32_e32 vcc, 0, v2
	s_and_saveexec_b64 s[20:21], vcc
	s_cbranch_execz .LBB2_3096
; %bb.3093:                             ;   in Loop: Header=BB2_2981 Depth=1
	s_and_saveexec_b64 vcc, s[18:19]
	s_cbranch_execz .LBB2_3095
; %bb.3094:                             ;   in Loop: Header=BB2_2981 Depth=1
	v_accvgpr_read_b32 v2, a22
	v_accvgpr_read_b32 v3, a23
	flat_store_dword v[2:3], v55
.LBB2_3095:                             ;   in Loop: Header=BB2_2981 Depth=1
	s_or_b64 exec, exec, vcc
	v_add_co_u32_e32 v50, vcc, 1, v50
	v_addc_co_u32_e32 v51, vcc, 0, v51, vcc
	flat_store_dwordx2 v[32:33], v[50:51]
.LBB2_3096:                             ;   in Loop: Header=BB2_2981 Depth=1
	s_or_b64 exec, exec, s[20:21]
	v_mov_b32_e32 v2, v12
.LBB2_3097:                             ;   in Loop: Header=BB2_2981 Depth=1
	s_or_b64 exec, exec, s[38:39]
	s_and_saveexec_b64 s[38:39], s[36:37]
	s_cbranch_execz .LBB2_2980
; %bb.3098:                             ;   in Loop: Header=BB2_2981 Depth=1
	v_and_b32_e32 v3, 8, v62
	v_cmp_ne_u32_e32 vcc, 0, v3
	s_mov_b64 s[36:37], -1
	s_and_saveexec_b64 s[20:21], vcc
	s_cbranch_execz .LBB2_3110
; %bb.3099:                             ;   in Loop: Header=BB2_2981 Depth=1
	v_add_co_u32_e32 v4, vcc, 8, v36
	v_addc_co_u32_e32 v5, vcc, 0, v37, vcc
	v_add_co_u32_e32 v22, vcc, 1, v50
	v_addc_co_u32_e32 v23, vcc, 0, v51, vcc
	v_cmp_lt_u64_e32 vcc, v[4:5], v[22:23]
	v_mov_b32_e32 v3, 1
	s_and_saveexec_b64 s[36:37], vcc
	s_cbranch_execz .LBB2_3109
; %bb.3100:                             ;   in Loop: Header=BB2_2981 Depth=1
	s_mov_b64 s[40:41], 0
	v_mov_b32_e32 v3, 0
                                        ; implicit-def: $sgpr42_sgpr43
	s_branch .LBB2_3104
.LBB2_3101:                             ;   in Loop: Header=BB2_3104 Depth=2
	s_or_b64 exec, exec, s[50:51]
	v_mov_b32_e32 v4, 0
	s_orn2_b64 s[48:49], s[48:49], exec
.LBB2_3102:                             ;   in Loop: Header=BB2_3104 Depth=2
	s_or_b64 exec, exec, s[46:47]
	s_andn2_b64 vcc, s[42:43], exec
	s_and_b64 s[42:43], s[48:49], exec
	s_or_b64 s[42:43], vcc, s[42:43]
	v_mov_b32_e32 v3, v4
.LBB2_3103:                             ;   in Loop: Header=BB2_3104 Depth=2
	s_or_b64 exec, exec, s[44:45]
	s_waitcnt vmcnt(0) lgkmcnt(0)
	v_add_co_u32_e32 v4, vcc, 8, v36
	v_addc_co_u32_e32 v5, vcc, 0, v37, vcc
	v_cmp_ge_u64_e32 vcc, v[4:5], v[22:23]
	s_xor_b64 s[44:45], s[42:43], -1
	s_or_b64 vcc, s[44:45], vcc
	s_and_b64 vcc, exec, vcc
	s_or_b64 s[40:41], vcc, s[40:41]
	s_andn2_b64 exec, exec, s[40:41]
	s_cbranch_execz .LBB2_3108
.LBB2_3104:                             ;   Parent Loop BB2_2981 Depth=1
                                        ; =>  This Inner Loop Header: Depth=2
	s_sleep 1
	flat_load_dwordx2 v[36:37], v[32:33] glc
	v_and_b32_e32 v4, 64, v62
	v_cmp_eq_u32_e32 vcc, 0, v4
	s_andn2_b64 s[42:43], s[42:43], exec
	s_and_saveexec_b64 s[44:45], vcc
	s_cbranch_execz .LBB2_3103
; %bb.3105:                             ;   in Loop: Header=BB2_3104 Depth=2
	v_add_u32_e32 v4, 1, v3
	v_cmp_lt_i32_e32 vcc, s59, v3
	s_mov_b64 s[48:49], -1
	s_and_saveexec_b64 s[46:47], vcc
	s_cbranch_execz .LBB2_3102
; %bb.3106:                             ;   in Loop: Header=BB2_3104 Depth=2
	s_trap 2
	ds_read_b64 v[4:5], v0
	s_waitcnt vmcnt(0) lgkmcnt(0)
	flat_load_dword v3, v[4:5] glc
	s_waitcnt vmcnt(0) lgkmcnt(0)
	buffer_invl2
	buffer_wbinvl1_vol
	v_cmp_ne_u32_e32 vcc, 0, v3
	s_and_saveexec_b64 s[50:51], vcc
	s_cbranch_execz .LBB2_3101
; %bb.3107:                             ;   in Loop: Header=BB2_3104 Depth=2
	v_or_b32_e32 v62, 64, v62
	s_xor_b64 s[48:49], exec, -1
	ds_write_b32 v0, v3
	s_trap 2
	s_branch .LBB2_3101
.LBB2_3108:                             ;   in Loop: Header=BB2_2981 Depth=1
	s_or_b64 exec, exec, s[40:41]
	v_and_b32_e32 v3, 8, v62
.LBB2_3109:                             ;   in Loop: Header=BB2_2981 Depth=1
	s_or_b64 exec, exec, s[36:37]
	v_cmp_eq_u32_e32 vcc, 0, v3
	s_orn2_b64 s[36:37], vcc, exec
	;;#ASMSTART
	s_wakeup
	;;#ASMEND
.LBB2_3110:                             ;   in Loop: Header=BB2_2981 Depth=1
	s_or_b64 exec, exec, s[20:21]
	v_sub_u32_e32 v2, v20, v2
	s_xor_b64 s[20:21], s[36:37], -1
	v_min_i32_e32 v20, v12, v2
	s_and_saveexec_b64 s[36:37], s[20:21]
	s_cbranch_execz .LBB2_3120
; %bb.3111:                             ;   in Loop: Header=BB2_2981 Depth=1
	v_and_b32_e32 v2, 0x100, v62
	v_cmp_ne_u32_e32 vcc, 0, v2
	v_and_b32_e32 v4, 7, v50
	s_mov_b64 s[20:21], -1
                                        ; implicit-def: $vgpr2_vgpr3
	s_and_saveexec_b64 s[40:41], vcc
	s_cbranch_execz .LBB2_3115
; %bb.3112:                             ;   in Loop: Header=BB2_2981 Depth=1
	v_mad_u64_u32 v[22:23], s[20:21], v4, 24, v[48:49]
	flat_load_dword v2, v[22:23]
	v_ashrrev_i32_e32 v21, 31, v20
	flat_store_dwordx2 v[22:23], v[20:21] offset:8
	s_waitcnt vmcnt(0) lgkmcnt(0)
	v_cmp_ne_u32_e32 vcc, 1, v2
	v_cmp_eq_u32_e64 s[20:21], 1, v2
                                        ; implicit-def: $vgpr2_vgpr3
	s_and_saveexec_b64 s[42:43], s[20:21]
	s_cbranch_execz .LBB2_3114
; %bb.3113:                             ;   in Loop: Header=BB2_2981 Depth=1
	flat_load_dword v2, v[22:23] offset:4 glc
	s_waitcnt vmcnt(0) lgkmcnt(0)
	v_ashrrev_i32_e32 v3, 31, v2
.LBB2_3114:                             ;   in Loop: Header=BB2_2981 Depth=1
	s_or_b64 exec, exec, s[42:43]
	s_orn2_b64 s[20:21], vcc, exec
.LBB2_3115:                             ;   in Loop: Header=BB2_2981 Depth=1
	s_or_b64 exec, exec, s[40:41]
	s_and_saveexec_b64 vcc, s[20:21]
; %bb.3116:                             ;   in Loop: Header=BB2_2981 Depth=1
	v_mad_i64_i32 v[2:3], s[20:21], v4, v56, 0
; %bb.3117:                             ;   in Loop: Header=BB2_2981 Depth=1
	s_or_b64 exec, exec, vcc
	v_add_co_u32_e32 v2, vcc, v42, v2
	v_addc_co_u32_e32 v3, vcc, v43, v3, vcc
	ds_write_b64 v0, v[2:3] offset:784
	v_and_b32_e32 v2, 0x2000, v62
	v_cmp_ne_u32_e32 vcc, 0, v2
	s_and_saveexec_b64 s[20:21], vcc
	s_cbranch_execz .LBB2_3119
; %bb.3118:                             ;   in Loop: Header=BB2_2981 Depth=1
	ds_read_b64 v[2:3], v0 offset:584
	s_waitcnt lgkmcnt(0)
	v_add_co_u32_e32 v2, vcc, 1, v2
	v_addc_co_u32_e32 v3, vcc, 0, v3, vcc
	ds_write_b64 v0, v[2:3] offset:584
.LBB2_3119:                             ;   in Loop: Header=BB2_2981 Depth=1
	s_or_b64 exec, exec, s[20:21]
	v_add_co_u32_e32 v50, vcc, 1, v50
	v_addc_co_u32_e32 v51, vcc, 0, v51, vcc
.LBB2_3120:                             ;   in Loop: Header=BB2_2981 Depth=1
	s_or_b64 exec, exec, s[36:37]
	s_and_saveexec_b64 s[20:21], s[10:11]
	s_cbranch_execz .LBB2_3139
; %bb.3121:                             ;   in Loop: Header=BB2_2981 Depth=1
	s_and_saveexec_b64 vcc, s[30:31]
	s_xor_b64 s[36:37], exec, vcc
	s_cbranch_execz .LBB2_3136
; %bb.3122:                             ;   in Loop: Header=BB2_2981 Depth=1
	s_and_saveexec_b64 s[40:41], s[12:13]
	s_cbranch_execz .LBB2_3135
; %bb.3123:                             ;   in Loop: Header=BB2_2981 Depth=1
	s_mov_b64 s[44:45], exec
	v_mbcnt_lo_u32_b32 v2, s44, 0
	v_mbcnt_hi_u32_b32 v2, s45, v2
	v_cmp_eq_u32_e32 vcc, 0, v2
	s_waitcnt vmcnt(0) lgkmcnt(0)
	buffer_wbinvl1_vol
	s_and_saveexec_b64 s[42:43], vcc
	s_cbranch_execz .LBB2_3125
; %bb.3124:                             ;   in Loop: Header=BB2_2981 Depth=1
	s_bcnt1_i32_b64 vcc_lo, s[44:45]
	v_mov_b32_e32 v12, vcc_lo
	ds_add_u64 v0, v[12:13]
	s_trap 2
.LBB2_3125:                             ;   in Loop: Header=BB2_2981 Depth=1
	s_or_b64 exec, exec, s[42:43]
	s_trap 2
	ds_read_b64 v[2:3], v0
	v_add_co_u32_e32 v38, vcc, v38, v10
	v_addc_co_u32_e32 v39, vcc, 0, v39, vcc
	s_waitcnt lgkmcnt(0)
	v_cmp_lt_u64_e32 vcc, v[2:3], v[38:39]
	s_and_saveexec_b64 s[42:43], vcc
	s_cbranch_execz .LBB2_3134
; %bb.3126:                             ;   in Loop: Header=BB2_2981 Depth=1
	s_mov_b32 s54, 0
	s_mov_b64 s[44:45], 0
                                        ; implicit-def: $sgpr46_sgpr47
                                        ; implicit-def: $sgpr48_sgpr49
	s_branch .LBB2_3128
.LBB2_3127:                             ;   in Loop: Header=BB2_3128 Depth=2
	s_or_b64 exec, exec, s[52:53]
	s_and_b64 vcc, exec, vcc
	s_or_b64 s[44:45], vcc, s[44:45]
	s_andn2_b64 vcc, s[46:47], exec
	s_and_b64 s[46:47], s[48:49], exec
	s_or_b64 s[46:47], vcc, s[46:47]
	s_andn2_b64 exec, exec, s[44:45]
	s_cbranch_execz .LBB2_3132
.LBB2_3128:                             ;   Parent Loop BB2_2981 Depth=1
                                        ; =>  This Inner Loop Header: Depth=2
	s_add_i32 s54, s54, 1
	s_cmpk_lg_i32 s54, 0x2710
	s_cselect_b64 s[50:51], -1, 0
	s_and_b64 vcc, exec, s[50:51]
                                        ; implicit-def: $sgpr52_sgpr53
	s_cbranch_vccnz .LBB2_3130
; %bb.3129:                             ;   in Loop: Header=BB2_3128 Depth=2
	s_trap 2
	ds_read_b64 v[2:3], v0
	s_andn2_b64 s[50:51], s[50:51], exec
	s_mov_b32 s54, 0
	s_mov_b64 s[52:53], -1
	s_waitcnt lgkmcnt(0)
	flat_load_dword v2, v[2:3] glc
	s_waitcnt vmcnt(0) lgkmcnt(0)
	buffer_invl2
	buffer_wbinvl1_vol
	v_cmp_eq_u32_e32 vcc, 0, v2
	s_and_b64 vcc, vcc, exec
	s_or_b64 s[50:51], s[50:51], vcc
.LBB2_3130:                             ;   in Loop: Header=BB2_3128 Depth=2
	s_andn2_b64 s[48:49], s[48:49], exec
	s_and_b64 s[52:53], s[52:53], exec
	s_mov_b64 vcc, -1
	s_or_b64 s[48:49], s[48:49], s[52:53]
	s_and_saveexec_b64 s[52:53], s[50:51]
	s_cbranch_execz .LBB2_3127
; %bb.3131:                             ;   in Loop: Header=BB2_3128 Depth=2
	s_sleep 1
	s_trap 2
	ds_read_b64 v[2:3], v0
	s_andn2_b64 s[48:49], s[48:49], exec
	s_waitcnt lgkmcnt(0)
	v_cmp_ge_u64_e32 vcc, v[2:3], v[38:39]
	s_orn2_b64 vcc, vcc, exec
	s_branch .LBB2_3127
.LBB2_3132:                             ;   in Loop: Header=BB2_2981 Depth=1
	s_or_b64 exec, exec, s[44:45]
	s_and_saveexec_b64 vcc, s[46:47]
	s_xor_b64 vcc, exec, vcc
	s_cbranch_execz .LBB2_3134
; %bb.3133:                             ;   in Loop: Header=BB2_2981 Depth=1
	ds_write_b32 v0, v55
	s_trap 2
.LBB2_3134:                             ;   in Loop: Header=BB2_2981 Depth=1
	s_or_b64 exec, exec, s[42:43]
	;;#ASMSTART
	s_wakeup
	;;#ASMEND
.LBB2_3135:                             ;   in Loop: Header=BB2_2981 Depth=1
	s_or_b64 exec, exec, s[40:41]
.LBB2_3136:                             ;   in Loop: Header=BB2_2981 Depth=1
	s_andn2_saveexec_b64 vcc, s[36:37]
	s_cbranch_execz .LBB2_3138
; %bb.3137:                             ;   in Loop: Header=BB2_2981 Depth=1
	s_waitcnt vmcnt(0) lgkmcnt(0)
	buffer_wbinvl1_vol
	s_barrier
.LBB2_3138:                             ;   in Loop: Header=BB2_2981 Depth=1
	s_or_b64 exec, exec, vcc
.LBB2_3139:                             ;   in Loop: Header=BB2_2981 Depth=1
	s_or_b64 exec, exec, s[20:21]
	s_trap 2
	ds_read_b32 v3, v0
	v_cmp_lt_i32_e32 vcc, 0, v20
	v_and_b32_e32 v2, 16, v62
	s_waitcnt lgkmcnt(0)
	v_readfirstlane_b32 s20, v3
	s_cmp_eq_u32 s20, 0
	s_cselect_b64 s[20:21], -1, 0
	s_and_b64 s[20:21], vcc, s[20:21]
	v_cmp_ne_u32_e32 vcc, 0, v2
	s_and_b64 vcc, vcc, s[20:21]
	s_and_saveexec_b64 s[20:21], vcc
	s_cbranch_execz .LBB2_3141
; %bb.3140:                             ;   in Loop: Header=BB2_2981 Depth=1
	s_waitcnt vmcnt(0)
	buffer_wbinvl1_vol
.LBB2_3141:                             ;   in Loop: Header=BB2_2981 Depth=1
	s_or_b64 exec, exec, s[20:21]
	v_cmp_ne_u32_e32 vcc, 0, v2
	s_and_saveexec_b64 s[20:21], vcc
	s_cbranch_execz .LBB2_2979
; %bb.3142:                             ;   in Loop: Header=BB2_2981 Depth=1
	s_and_saveexec_b64 vcc, s[18:19]
	s_cbranch_execz .LBB2_2978
; %bb.3143:                             ;   in Loop: Header=BB2_2981 Depth=1
	v_accvgpr_read_b32 v2, a22
	v_accvgpr_read_b32 v3, a23
	flat_store_dword v[2:3], v55
	s_branch .LBB2_2978
.LBB2_3144:
	s_or_b64 exec, exec, s[28:29]
.LBB2_3145:
	s_or_b64 exec, exec, s[24:25]
.LBB2_3146:
	s_or_b64 exec, exec, s[22:23]
	v_and_b32_e32 v0, 0x800, v62
	v_cmp_eq_u32_e32 vcc, 0, v0
	s_and_saveexec_b64 s[4:5], vcc
	s_cbranch_execz .LBB2_3181
; %bb.3147:
	v_and_b32_e32 v0, 48, v62
	v_cmp_ne_u32_e32 vcc, 0, v0
	s_and_saveexec_b64 s[6:7], vcc
	s_cbranch_execz .LBB2_3149
; %bb.3148:
	s_waitcnt vmcnt(0) lgkmcnt(0)
	flat_store_dwordx2 v[46:47], v[50:51] offset:104
.LBB2_3149:
	s_or_b64 exec, exec, s[6:7]
	s_movk_i32 s6, 0x88
	v_and_b32_e32 v0, 0x88, v62
	v_cmp_eq_u32_e32 vcc, s6, v0
	s_and_saveexec_b64 s[6:7], vcc
	s_cbranch_execz .LBB2_3161
; %bb.3150:
	s_waitcnt vmcnt(0) lgkmcnt(0)
	v_add_u32_e32 v0, -1, v50
	v_and_b32_e32 v0, 7, v0
	v_mad_u64_u32 v[0:1], s[10:11], v0, 24, v[48:49]
	v_add_co_u32_e32 v4, vcc, 8, v0
	v_addc_co_u32_e32 v5, vcc, 0, v1, vcc
	s_mov_b64 s[10:11], 0
	v_mov_b32_e32 v0, 0
	s_movk_i32 s24, 0x270e
                                        ; implicit-def: $sgpr12_sgpr13
	s_branch .LBB2_3155
.LBB2_3151:                             ;   in Loop: Header=BB2_3155 Depth=1
	s_or_b64 exec, exec, s[22:23]
	v_mov_b32_e32 v1, 0
	s_orn2_b64 s[20:21], s[20:21], exec
.LBB2_3152:                             ;   in Loop: Header=BB2_3155 Depth=1
	s_or_b64 exec, exec, s[18:19]
	s_and_b64 s[18:19], s[20:21], exec
	v_mov_b32_e32 v0, v1
.LBB2_3153:                             ;   in Loop: Header=BB2_3155 Depth=1
	s_or_b64 exec, exec, s[16:17]
	s_xor_b64 s[16:17], s[18:19], -1
	s_andn2_b64 s[12:13], s[12:13], exec
	s_and_b64 s[16:17], s[16:17], exec
	s_or_b64 s[12:13], s[12:13], s[16:17]
.LBB2_3154:                             ;   in Loop: Header=BB2_3155 Depth=1
	s_or_b64 exec, exec, s[14:15]
	s_and_b64 s[14:15], exec, s[12:13]
	s_or_b64 s[10:11], s[14:15], s[10:11]
	s_andn2_b64 exec, exec, s[10:11]
	s_cbranch_execz .LBB2_3160
.LBB2_3155:                             ; =>This Inner Loop Header: Depth=1
	flat_load_dwordx2 v[2:3], v[4:5] glc
	s_waitcnt vmcnt(0)
	s_or_b64 s[12:13], s[12:13], exec
	s_waitcnt lgkmcnt(0)
	v_cmp_ne_u64_e32 vcc, -1, v[2:3]
	s_and_saveexec_b64 s[14:15], vcc
	s_cbranch_execz .LBB2_3154
; %bb.3156:                             ;   in Loop: Header=BB2_3155 Depth=1
	v_and_b32_e32 v1, 64, v62
	v_cmp_eq_u32_e32 vcc, 0, v1
	s_mov_b64 s[18:19], 0
	s_and_saveexec_b64 s[16:17], vcc
	s_cbranch_execz .LBB2_3153
; %bb.3157:                             ;   in Loop: Header=BB2_3155 Depth=1
	v_add_u32_e32 v1, 1, v0
	v_cmp_lt_i32_e32 vcc, s24, v0
	s_mov_b64 s[20:21], -1
	s_and_saveexec_b64 s[18:19], vcc
	s_cbranch_execz .LBB2_3152
; %bb.3158:                             ;   in Loop: Header=BB2_3155 Depth=1
	s_trap 2
	ds_read_b64 v[0:1], v0
	s_waitcnt lgkmcnt(0)
	flat_load_dword v0, v[0:1] glc
	s_waitcnt vmcnt(0) lgkmcnt(0)
	buffer_invl2
	buffer_wbinvl1_vol
	v_cmp_ne_u32_e32 vcc, 0, v0
	s_and_saveexec_b64 s[22:23], vcc
	s_cbranch_execz .LBB2_3151
; %bb.3159:                             ;   in Loop: Header=BB2_3155 Depth=1
	v_or_b32_e32 v62, 64, v62
	s_xor_b64 s[20:21], exec, -1
	ds_write_b32 v0, v0
	s_trap 2
	s_branch .LBB2_3151
.LBB2_3160:
	s_or_b64 exec, exec, s[10:11]
.LBB2_3161:
	s_or_b64 exec, exec, s[6:7]
	v_and_b32_e32 v0, 0x2000, v62
	v_cmp_ne_u32_e32 vcc, 0, v0
	s_and_saveexec_b64 s[6:7], vcc
	s_cbranch_execz .LBB2_3163
; %bb.3162:
	s_trap 2
	ds_read_b64 v[0:1], v0
	v_accvgpr_read_b32 v2, a8
	v_accvgpr_read_b32 v3, a9
	s_waitcnt lgkmcnt(0)
	flat_store_dwordx2 v[2:3], v[0:1] offset:16
.LBB2_3163:
	s_or_b64 exec, exec, s[6:7]
	v_cmp_ne_u32_e32 vcc, 64, v54
	s_and_b64 exec, exec, vcc
	s_cbranch_execz .LBB2_3181
; %bb.3164:
	s_waitcnt vmcnt(0)
	v_cmp_ne_u32_sdwa s[6:7], v40, v54 src0_sel:WORD_0 src1_sel:DWORD
	s_and_saveexec_b64 s[10:11], s[6:7]
	s_xor_b64 s[6:7], exec, s[10:11]
	s_cbranch_execz .LBB2_3179
; %bb.3165:
	v_and_b32_e32 v0, 63, v31
	v_cmp_eq_u32_e32 vcc, 0, v0
	s_and_saveexec_b64 s[10:11], vcc
	s_cbranch_execz .LBB2_3178
; %bb.3166:
	s_mov_b64 s[14:15], exec
	v_mbcnt_lo_u32_b32 v0, s14, 0
	v_mbcnt_hi_u32_b32 v0, s15, v0
	v_cmp_eq_u32_e32 vcc, 0, v0
	s_waitcnt lgkmcnt(0)
	buffer_wbinvl1_vol
	s_and_saveexec_b64 s[12:13], vcc
	s_cbranch_execz .LBB2_3168
; %bb.3167:
	s_bcnt1_i32_b64 s14, s[14:15]
	v_mov_b32_e32 v0, s14
	v_mov_b32_e32 v1, 0
	ds_add_u64 v0, v[0:1]
	s_trap 2
.LBB2_3168:
	s_or_b64 exec, exec, s[12:13]
	v_ashrrev_i32_e32 v0, 31, v54
	v_lshrrev_b32_e32 v0, 26, v0
	v_add_u32_e32 v0, v54, v0
	v_ashrrev_i32_e32 v0, 6, v0
	s_trap 2
	ds_read_b64 v[2:3], v0
	v_ashrrev_i32_e32 v1, 31, v0
	v_add_co_u32_e32 v0, vcc, v38, v0
	v_addc_co_u32_e32 v1, vcc, v39, v1, vcc
	s_waitcnt lgkmcnt(0)
	v_cmp_lt_u64_e32 vcc, v[2:3], v[0:1]
	s_and_saveexec_b64 s[12:13], vcc
	s_cbranch_execz .LBB2_3177
; %bb.3169:
	s_mov_b32 s28, 0
	s_mov_b64 s[14:15], 0
                                        ; implicit-def: $sgpr16_sgpr17
                                        ; implicit-def: $sgpr18_sgpr19
	s_branch .LBB2_3171
.LBB2_3170:                             ;   in Loop: Header=BB2_3171 Depth=1
	s_or_b64 exec, exec, s[24:25]
	s_and_b64 s[20:21], exec, s[22:23]
	s_or_b64 s[14:15], s[20:21], s[14:15]
	s_andn2_b64 s[16:17], s[16:17], exec
	s_and_b64 s[20:21], s[18:19], exec
	s_or_b64 s[16:17], s[16:17], s[20:21]
	s_andn2_b64 exec, exec, s[14:15]
	s_cbranch_execz .LBB2_3175
.LBB2_3171:                             ; =>This Inner Loop Header: Depth=1
	s_add_i32 s28, s28, 1
	s_cmpk_lg_i32 s28, 0x2710
	s_cselect_b64 s[20:21], -1, 0
	s_and_b64 vcc, exec, s[20:21]
                                        ; implicit-def: $sgpr24_sgpr25
	s_cbranch_vccnz .LBB2_3173
; %bb.3172:                             ;   in Loop: Header=BB2_3171 Depth=1
	s_trap 2
	ds_read_b64 v[2:3], v0
	s_andn2_b64 s[20:21], s[20:21], exec
	s_mov_b32 s28, 0
	s_mov_b64 s[24:25], -1
	s_waitcnt lgkmcnt(0)
	flat_load_dword v2, v[2:3] glc
	s_waitcnt vmcnt(0) lgkmcnt(0)
	buffer_invl2
	buffer_wbinvl1_vol
	v_cmp_eq_u32_e32 vcc, 0, v2
	s_and_b64 s[22:23], vcc, exec
	s_or_b64 s[20:21], s[20:21], s[22:23]
.LBB2_3173:                             ;   in Loop: Header=BB2_3171 Depth=1
	s_andn2_b64 s[18:19], s[18:19], exec
	s_and_b64 s[24:25], s[24:25], exec
	s_mov_b64 s[22:23], -1
	s_or_b64 s[18:19], s[18:19], s[24:25]
	s_and_saveexec_b64 s[24:25], s[20:21]
	s_cbranch_execz .LBB2_3170
; %bb.3174:                             ;   in Loop: Header=BB2_3171 Depth=1
	s_sleep 1
	s_trap 2
	ds_read_b64 v[2:3], v0
	s_andn2_b64 s[18:19], s[18:19], exec
	s_waitcnt lgkmcnt(0)
	v_cmp_ge_u64_e32 vcc, v[2:3], v[0:1]
	s_orn2_b64 s[22:23], vcc, exec
	s_branch .LBB2_3170
.LBB2_3175:
	s_or_b64 exec, exec, s[14:15]
	s_and_saveexec_b64 s[14:15], s[16:17]
	s_xor_b64 s[14:15], exec, s[14:15]
	s_cbranch_execz .LBB2_3177
; %bb.3176:
	v_mov_b32_e32 v0, 1
	ds_write_b32 v0, v0
	s_trap 2
.LBB2_3177:
	s_or_b64 exec, exec, s[12:13]
	;;#ASMSTART
	s_wakeup
	;;#ASMEND
.LBB2_3178:
	s_or_b64 exec, exec, s[10:11]
.LBB2_3179:
	s_andn2_saveexec_b64 s[6:7], s[6:7]
	s_cbranch_execz .LBB2_3181
; %bb.3180:
	s_waitcnt lgkmcnt(0)
	buffer_wbinvl1_vol
	s_barrier
.LBB2_3181:
	s_or_b64 exec, exec, s[4:5]
.LBB2_3182:
	s_andn2_saveexec_b64 s[26:27], s[26:27]
	s_cbranch_execz .LBB2_3184
; %bb.3183:
	s_getpc_b64 s[4:5]
	s_add_u32 s4, s4, __PRETTY_FUNCTION__._ZN10PrimitivesI14__hip_fp8_e4m37FuncSumIS0_E12FanSymmetricILi1EELi0E11ProtoSimpleILi1ELi1ELi0ELi1ELi0ELi0EELi0ELb0ELi0ELi0ELi0EEC2EiiPKiS9_PKvPvmhhhP15ncclDevWorkCollP14ncclDevWorkP2pii@rel32@lo+4
	s_addc_u32 s5, s5, __PRETTY_FUNCTION__._ZN10PrimitivesI14__hip_fp8_e4m37FuncSumIS0_E12FanSymmetricILi1EELi0E11ProtoSimpleILi1ELi1ELi0ELi1ELi0ELi0EELi0ELb0ELi0ELi0ELi0EEC2EiiPKiS9_PKvPvmhhhP15ncclDevWorkCollP14ncclDevWorkP2pii@rel32@hi+12
	v_mov_b32_e32 v0, s4
	v_mov_b32_e32 v1, s5
	s_getpc_b64 s[6:7]
	s_add_u32 s6, s6, __assert_fail@rel32@lo+4
	s_addc_u32 s7, s7, __assert_fail@rel32@hi+12
	s_swappc_b64 s[30:31], s[6:7]
	; divergent unreachable
.LBB2_3184:
	s_or_b64 exec, exec, s[26:27]
	buffer_load_dword a40, off, s[0:3], s33 ; 4-byte Folded Reload
	buffer_load_dword a38, off, s[0:3], s33 offset:4 ; 4-byte Folded Reload
	buffer_load_dword a37, off, s[0:3], s33 offset:8 ; 4-byte Folded Reload
	;; [unrolled: 1-line block ×13, first 2 shown]
	s_waitcnt lgkmcnt(0)
	buffer_load_dword v56, off, s[0:3], s33 offset:56 ; 4-byte Folded Reload
	buffer_load_dword v47, off, s[0:3], s33 offset:60 ; 4-byte Folded Reload
	buffer_load_dword v46, off, s[0:3], s33 offset:64 ; 4-byte Folded Reload
	buffer_load_dword v45, off, s[0:3], s33 offset:68 ; 4-byte Folded Reload
	buffer_load_dword v44, off, s[0:3], s33 offset:72 ; 4-byte Folded Reload
	buffer_load_dword v43, off, s[0:3], s33 offset:76 ; 4-byte Folded Reload
	buffer_load_dword v42, off, s[0:3], s33 offset:80 ; 4-byte Folded Reload
	buffer_load_dword v41, off, s[0:3], s33 offset:84 ; 4-byte Folded Reload
	buffer_load_dword v40, off, s[0:3], s33 offset:88 ; 4-byte Folded Reload
	v_readlane_b32 s30, v63, 45
	v_readlane_b32 s31, v63, 46
	;; [unrolled: 1-line block ×48, first 2 shown]
	s_or_saveexec_b64 s[6:7], -1
	buffer_load_dword v63, off, s[0:3], s33 offset:92 ; 4-byte Folded Reload
	s_mov_b64 exec, s[6:7]
	s_addk_i32 s32, 0xe400
	s_mov_b32 s33, s4
	s_waitcnt vmcnt(0)
	s_setpc_b64 s[30:31]
.Lfunc_end2:
	.size	_ZN12_GLOBAL__N_17runRingI14__hip_fp8_e4m37FuncSumIS1_E11ProtoSimpleILi1ELi1ELi0ELi1ELi0ELi0EELi0ELi1ELi0EEEviiP15ncclDevWorkColl, .Lfunc_end2-_ZN12_GLOBAL__N_17runRingI14__hip_fp8_e4m37FuncSumIS1_E11ProtoSimpleILi1ELi1ELi0ELi1ELi0ELi0EELi0ELi1ELi0EEEviiP15ncclDevWorkColl
                                        ; -- End function
	.section	.AMDGPU.csdata,"",@progbits
; Function info:
; codeLenInByte = 105036
; NumSgprs: 83
; NumVgprs: 64
; NumAgprs: 41
; TotalNumVgprs: 105
; ScratchSize: 176
; MemoryBound: 1
	.text
	.p2align	2                               ; -- Begin function _Z47ncclDevFunc_Reduce_RING_SIMPLE_Sum_f8e4m3_0_0_1v
	.type	_Z47ncclDevFunc_Reduce_RING_SIMPLE_Sum_f8e4m3_0_0_1v,@function
_Z47ncclDevFunc_Reduce_RING_SIMPLE_Sum_f8e4m3_0_0_1v: ; @_Z47ncclDevFunc_Reduce_RING_SIMPLE_Sum_f8e4m3_0_0_1v
; %bb.0:
	s_waitcnt vmcnt(0) expcnt(0) lgkmcnt(0)
	s_mov_b32 s4, s33
	s_mov_b32 s33, s32
	s_or_saveexec_b64 s[6:7], -1
	buffer_store_dword v43, off, s[0:3], s33 offset:16 ; 4-byte Folded Spill
	s_mov_b64 exec, s[6:7]
	v_writelane_b32 v43, s4, 55
	s_addk_i32 s32, 0x800
	buffer_store_dword v40, off, s[0:3], s33 offset:12 ; 4-byte Folded Spill
	buffer_store_dword v41, off, s[0:3], s33 offset:8 ; 4-byte Folded Spill
	buffer_store_dword v42, off, s[0:3], s33 offset:4 ; 4-byte Folded Spill
	buffer_store_dword v63, off, s[0:3], s33 ; 4-byte Folded Spill
	v_writelane_b32 v43, s34, 0
	v_writelane_b32 v43, s35, 1
	;; [unrolled: 1-line block ×55, first 2 shown]
	s_trap 2
	ds_read_b32 v0, v0
	v_mov_b32_e32 v40, v31
	s_mov_b32 s79, s12
	s_mov_b64 s[80:81], s[8:9]
	s_waitcnt lgkmcnt(0)
	v_cmp_gt_i32_e32 vcc, 1, v0
	s_cbranch_vccnz .LBB3_8
; %bb.1:
	s_mov_b32 s86, 0
	v_and_b32_e32 v41, 0x3ff, v40
	s_mov_b64 s[82:83], src_shared_base
	v_mov_b32_e32 v42, 6
	s_branch .LBB3_3
.LBB3_2:                                ;   in Loop: Header=BB3_3 Depth=1
	s_or_b64 exec, exec, s[84:85]
	s_trap 2
	ds_read_b32 v0, v0
	s_add_i32 s86, s86, 1
	s_waitcnt lgkmcnt(0)
	v_cmp_lt_i32_e32 vcc, s86, v0
	s_cbranch_vccz .LBB3_8
.LBB3_3:                                ; =>This Inner Loop Header: Depth=1
	s_trap 2
	ds_read_b32 v0, v0
	s_cmp_eq_u32 s86, 0
	s_cbranch_scc1 .LBB3_6
; %bb.4:                                ;   in Loop: Header=BB3_3 Depth=1
	s_trap 2
	s_waitcnt lgkmcnt(0)
	ds_read_b32 v1, v0
	s_waitcnt lgkmcnt(0)
	v_xor_b32_e32 v1, v1, v0
	v_and_b32_e32 v1, 0xff0000, v1
	v_cmp_eq_u32_e32 vcc, 0, v1
	s_cbranch_vccnz .LBB3_6
; %bb.5:                                ;   in Loop: Header=BB3_3 Depth=1
	s_barrier
	ds_read_b32 v0, v0
.LBB3_6:                                ;   in Loop: Header=BB3_3 Depth=1
	s_waitcnt lgkmcnt(0)
	v_lshlrev_b32_sdwa v1, v42, v0 dst_sel:DWORD dst_unused:UNUSED_PAD src0_sel:DWORD src1_sel:BYTE_2
	v_cmp_lt_u32_e32 vcc, v41, v1
	s_and_saveexec_b64 s[84:85], vcc
	s_cbranch_execz .LBB3_2
; %bb.7:                                ;   in Loop: Header=BB3_3 Depth=1
	s_mov_b64 s[8:9], s[80:81]
	s_mov_b32 s12, s79
	v_mov_b32_e32 v31, v40
	v_mov_b32_e32 v0, v41
	;; [unrolled: 1-line block ×3, first 2 shown]
	s_getpc_b64 s[4:5]
	s_add_u32 s4, s4, _ZN12_GLOBAL__N_17runRingI14__hip_fp8_e4m37FuncSumIS1_E11ProtoSimpleILi1ELi1ELi0ELi1ELi0ELi0EELi0ELi1ELi0EEEviiP15ncclDevWorkColl@rel32@lo+4
	s_addc_u32 s5, s5, _ZN12_GLOBAL__N_17runRingI14__hip_fp8_e4m37FuncSumIS1_E11ProtoSimpleILi1ELi1ELi0ELi1ELi0ELi0EELi0ELi1ELi0EEEviiP15ncclDevWorkColl@rel32@hi+12
	s_swappc_b64 s[30:31], s[4:5]
	s_branch .LBB3_2
.LBB3_8:
	buffer_load_dword v63, off, s[0:3], s33 ; 4-byte Folded Reload
	buffer_load_dword v42, off, s[0:3], s33 offset:4 ; 4-byte Folded Reload
	buffer_load_dword v41, off, s[0:3], s33 offset:8 ; 4-byte Folded Reload
	;; [unrolled: 1-line block ×3, first 2 shown]
	v_readlane_b32 s30, v43, 53
	v_readlane_b32 s31, v43, 54
	v_readlane_b32 s86, v43, 52
	v_readlane_b32 s85, v43, 51
	v_readlane_b32 s84, v43, 50
	v_readlane_b32 s83, v43, 49
	v_readlane_b32 s82, v43, 48
	v_readlane_b32 s81, v43, 47
	v_readlane_b32 s80, v43, 46
	v_readlane_b32 s79, v43, 45
	v_readlane_b32 s78, v43, 44
	v_readlane_b32 s77, v43, 43
	v_readlane_b32 s76, v43, 42
	v_readlane_b32 s75, v43, 41
	v_readlane_b32 s74, v43, 40
	v_readlane_b32 s73, v43, 39
	v_readlane_b32 s72, v43, 38
	v_readlane_b32 s71, v43, 37
	v_readlane_b32 s70, v43, 36
	v_readlane_b32 s69, v43, 35
	v_readlane_b32 s68, v43, 34
	v_readlane_b32 s67, v43, 33
	v_readlane_b32 s66, v43, 32
	v_readlane_b32 s65, v43, 31
	v_readlane_b32 s64, v43, 30
	v_readlane_b32 s63, v43, 29
	v_readlane_b32 s62, v43, 28
	v_readlane_b32 s61, v43, 27
	v_readlane_b32 s60, v43, 26
	v_readlane_b32 s59, v43, 25
	v_readlane_b32 s58, v43, 24
	v_readlane_b32 s57, v43, 23
	v_readlane_b32 s56, v43, 22
	v_readlane_b32 s55, v43, 21
	v_readlane_b32 s54, v43, 20
	v_readlane_b32 s53, v43, 19
	v_readlane_b32 s52, v43, 18
	v_readlane_b32 s51, v43, 17
	v_readlane_b32 s50, v43, 16
	v_readlane_b32 s49, v43, 15
	v_readlane_b32 s48, v43, 14
	v_readlane_b32 s47, v43, 13
	v_readlane_b32 s46, v43, 12
	v_readlane_b32 s45, v43, 11
	v_readlane_b32 s44, v43, 10
	v_readlane_b32 s43, v43, 9
	v_readlane_b32 s42, v43, 8
	v_readlane_b32 s41, v43, 7
	v_readlane_b32 s40, v43, 6
	v_readlane_b32 s39, v43, 5
	v_readlane_b32 s38, v43, 4
	v_readlane_b32 s37, v43, 3
	v_readlane_b32 s36, v43, 2
	v_readlane_b32 s35, v43, 1
	v_readlane_b32 s34, v43, 0
	v_readlane_b32 s4, v43, 55
	s_or_saveexec_b64 s[6:7], -1
	buffer_load_dword v43, off, s[0:3], s33 offset:16 ; 4-byte Folded Reload
	s_mov_b64 exec, s[6:7]
	s_addk_i32 s32, 0xf800
	s_mov_b32 s33, s4
	s_waitcnt vmcnt(0)
	s_setpc_b64 s[30:31]
.Lfunc_end3:
	.size	_Z47ncclDevFunc_Reduce_RING_SIMPLE_Sum_f8e4m3_0_0_1v, .Lfunc_end3-_Z47ncclDevFunc_Reduce_RING_SIMPLE_Sum_f8e4m3_0_0_1v
                                        ; -- End function
	.section	.AMDGPU.csdata,"",@progbits
; Function info:
; codeLenInByte = 1260
; NumSgprs: 91
; NumVgprs: 64
; NumAgprs: 41
; TotalNumVgprs: 105
; ScratchSize: 208
; MemoryBound: 0
	.text
	.p2align	2                               ; -- Begin function _ZN12_GLOBAL__N_17runRingI14__hip_fp8_e4m37FuncSumIS1_E11ProtoSimpleILi1ELi1ELi0ELi2ELi0ELi0EELi0ELi2ELi0EEEviiP15ncclDevWorkColl
	.type	_ZN12_GLOBAL__N_17runRingI14__hip_fp8_e4m37FuncSumIS1_E11ProtoSimpleILi1ELi1ELi0ELi2ELi0ELi0EELi0ELi2ELi0EEEviiP15ncclDevWorkColl,@function
_ZN12_GLOBAL__N_17runRingI14__hip_fp8_e4m37FuncSumIS1_E11ProtoSimpleILi1ELi1ELi0ELi2ELi0ELi0EELi0ELi2ELi0EEEviiP15ncclDevWorkColl: ; @_ZN12_GLOBAL__N_17runRingI14__hip_fp8_e4m37FuncSumIS1_E11ProtoSimpleILi1ELi1ELi0ELi2ELi0ELi0EELi0ELi2ELi0EEEviiP15ncclDevWorkColl
; %bb.0:
	s_waitcnt vmcnt(0) expcnt(0) lgkmcnt(0)
	s_mov_b32 s4, s33
	s_mov_b32 s33, s32
	s_or_saveexec_b64 s[6:7], -1
	buffer_store_dword v63, off, s[0:3], s33 offset:92 ; 4-byte Folded Spill
	s_mov_b64 exec, s[6:7]
	v_writelane_b32 v63, s4, 48
	s_addk_i32 s32, 0x1c00
	buffer_store_dword v40, off, s[0:3], s33 offset:88 ; 4-byte Folded Spill
	buffer_store_dword v41, off, s[0:3], s33 offset:84 ; 4-byte Folded Spill
	;; [unrolled: 1-line block ×22, first 2 shown]
	buffer_store_dword a40, off, s[0:3], s33 ; 4-byte Folded Spill
	v_writelane_b32 v63, s34, 0
	v_writelane_b32 v63, s35, 1
	;; [unrolled: 1-line block ×48, first 2 shown]
	s_trap 2
	ds_read_b64 v[14:15], v0
	ds_read_b32 v4, v0
	v_mov_b32_e32 v47, v1
	v_mov_b32_e32 v58, v0
	flat_load_ushort v17, v[2:3] offset:8
	flat_load_dwordx2 v[8:9], v[2:3]
	s_waitcnt lgkmcnt(0)
	v_ashrrev_i32_e32 v1, 31, v15
	v_mov_b32_e32 v0, v15
	v_lshlrev_b64 v[0:1], 2, v[0:1]
	v_add_co_u32_e32 v0, vcc, v14, v0
	v_addc_co_u32_e32 v1, vcc, v15, v1, vcc
	v_add_co_u32_e32 v0, vcc, -4, v0
	v_addc_co_u32_e32 v1, vcc, -1, v1, vcc
	flat_load_dword v0, v[0:1]
	v_mov_b32_e32 v56, v31
                                        ; implicit-def: $vgpr18_vgpr19
                                        ; implicit-def: $vgpr40_vgpr41
                                        ; implicit-def: $vgpr60_vgpr61
	s_waitcnt vmcnt(0)
	v_mov_b32_e32 v16, v9
	v_cmp_ne_u32_sdwa s[4:5], v8, v4 src0_sel:BYTE_0 src1_sel:DWORD
	s_and_saveexec_b64 s[6:7], s[4:5]
	s_xor_b64 s[4:5], exec, s[6:7]
	s_cbranch_execz .LBB4_6
; %bb.1:
	v_not_b32_sdwa v1, v8 dst_sel:DWORD dst_unused:UNUSED_PAD src0_sel:BYTE_0
	v_cmp_ne_u32_sdwa s[6:7], v8, v4 src0_sel:BYTE_1 src1_sel:DWORD
                                        ; implicit-def: $vgpr18_vgpr19
                                        ; implicit-def: $vgpr40_vgpr41
                                        ; implicit-def: $vgpr60_vgpr61
	s_and_saveexec_b64 s[10:11], s[6:7]
	s_xor_b64 s[6:7], exec, s[10:11]
	s_cbranch_execz .LBB4_3
; %bb.2:
	flat_load_dwordx4 v[6:9], v[2:3] offset:72
	flat_load_dwordx2 v[10:11], v[2:3] offset:96
	v_add_u32_e32 v1, v4, v1
	v_ashrrev_i32_e32 v4, 31, v1
	s_waitcnt vmcnt(0) lgkmcnt(0)
	v_mul_lo_u32 v4, v8, v4
	v_mad_u64_u32 v[60:61], s[10:11], v8, v1, v[6:7]
	v_mul_lo_u32 v1, v9, v1
	v_lshrrev_b64 v[18:19], 12, v[10:11]
	v_add3_u32 v61, v1, v61, v4
	v_pk_mov_b32 v[40:41], v[8:9], v[8:9] op_sel:[0,1]
                                        ; implicit-def: $vgpr8
                                        ; implicit-def: $vgpr1
.LBB4_3:
	s_andn2_saveexec_b64 s[6:7], s[6:7]
	s_cbranch_execz .LBB4_5
; %bb.4:
	flat_load_dwordx4 v[4:7], v[2:3] offset:72
	flat_load_dwordx4 v[40:43], v[2:3] offset:88
	v_add_u32_sdwa v1, v8, v1 dst_sel:DWORD dst_unused:UNUSED_PAD src0_sel:BYTE_1 src1_sel:DWORD
	v_ashrrev_i32_e32 v8, 31, v1
	s_waitcnt vmcnt(0) lgkmcnt(0)
	v_mul_lo_u32 v8, v6, v8
	v_mad_u64_u32 v[60:61], s[10:11], v6, v1, v[4:5]
	v_mul_lo_u32 v1, v7, v1
	v_add3_u32 v61, v1, v61, v8
	v_lshrrev_b32_e32 v18, 1, v43
.LBB4_5:
	s_or_b64 exec, exec, s[6:7]
.LBB4_6:
	s_andn2_saveexec_b64 s[4:5], s[4:5]
	s_cbranch_execz .LBB4_8
; %bb.7:
	flat_load_dwordx2 v[4:5], v[2:3] offset:96
	flat_load_dwordx2 v[40:41], v[2:3] offset:72
	v_pk_mov_b32 v[60:61], 0, 0
	s_waitcnt vmcnt(0) lgkmcnt(0)
	v_lshlrev_b64 v[18:19], 9, v[4:5]
.LBB4_8:
	s_or_b64 exec, exec, s[4:5]
	s_trap 2
	s_waitcnt lgkmcnt(0)
	ds_read_b64 v[4:5], v0
	s_waitcnt lgkmcnt(0)
	v_cmp_ne_u32_e32 vcc, -1, v4
	v_cndmask_b32_e64 v1, 0, 1, vcc
	v_cmp_ne_u32_e32 vcc, -1, v5
	v_addc_co_u32_e64 v4, s[4:5], 0, v1, vcc
	v_lshlrev_b32_e32 v5, 1, v4
	v_cmp_le_i32_e64 s[4:5], v5, v47
	s_and_saveexec_b64 s[6:7], s[4:5]
	s_xor_b64 s[26:27], exec, s[6:7]
	s_cbranch_execz .LBB4_3408
; %bb.9:
	flat_load_dwordx4 v[10:13], v[2:3] offset:16
	flat_load_dwordx2 v[20:21], v[2:3] offset:104
	s_trap 2
	s_load_dword s4, s[8:9], 0x0
	v_mov_b32_e32 v2, 0
	v_mov_b32_e32 v62, 4
	s_waitcnt lgkmcnt(0)
	s_cmp_lt_u32 s12, s4
	s_cselect_b32 s4, 12, 18
	s_add_u32 s4, s8, s4
	s_addc_u32 s5, s9, 0
	global_load_ushort v57, v2, s[4:5]
	ds_read_b32 v2, v0
	v_cmp_ge_i32_e64 s[4:5], v58, v1
	s_waitcnt lgkmcnt(0)
	v_readfirstlane_b32 s70, v2
	s_and_saveexec_b64 s[6:7], s[4:5]
	s_cbranch_execz .LBB4_19
; %bb.10:
	v_cmp_le_u32_e64 s[4:5], v4, v58
                                        ; implicit-def: $vgpr62
	s_and_saveexec_b64 s[10:11], s[4:5]
	s_xor_b64 s[4:5], exec, s[10:11]
	s_cbranch_execz .LBB4_16
; %bb.11:
	v_cndmask_b32_e64 v2, 0, 1, vcc
	v_sub_u32_e32 v2, v47, v2
	v_cmp_ge_u32_e32 vcc, v58, v2
                                        ; implicit-def: $sgpr12
	s_and_saveexec_b64 s[10:11], vcc
	s_xor_b64 s[10:11], exec, s[10:11]
; %bb.12:
	s_mov_b32 s12, 16
                                        ; implicit-def: $vgpr4
; %bb.13:
	s_or_saveexec_b64 s[10:11], s[10:11]
	v_mov_b32_e32 v62, s12
	s_xor_b64 exec, exec, s[10:11]
; %bb.14:
	v_sub_u32_e32 v2, v47, v4
	v_cmp_ge_i32_e32 vcc, v58, v2
	v_cndmask_b32_e64 v2, 0, 1, vcc
	v_lshlrev_b32_e32 v62, 5, v2
; %bb.15:
	s_or_b64 exec, exec, s[10:11]
.LBB4_16:
	s_andn2_saveexec_b64 s[4:5], s[4:5]
; %bb.17:
	v_mov_b32_e32 v62, 8
; %bb.18:
	s_or_b64 exec, exec, s[4:5]
.LBB4_19:
	s_or_b64 exec, exec, s[6:7]
	v_and_b32_e32 v2, 36, v62
	v_cmp_ne_u32_e32 vcc, 0, v2
	v_mov_b32_e32 v22, -1
	s_and_saveexec_b64 s[4:5], vcc
	s_cbranch_execz .LBB4_21
; %bb.20:
	s_trap 2
	ds_read_b32 v22, v0
.LBB4_21:
	s_or_b64 exec, exec, s[4:5]
	v_and_b32_e32 v2, 24, v62
	v_cmp_ne_u32_e64 s[4:5], 0, v2
	s_and_saveexec_b64 s[6:7], s[4:5]
	s_cbranch_execz .LBB4_23
; %bb.22:
	s_trap 2
	s_waitcnt lgkmcnt(0)
	ds_read_b32 v22, v0
.LBB4_23:
	s_or_b64 exec, exec, s[6:7]
	v_pk_mov_b32 v[4:5], 0, 0
	v_lshrrev_b64 v[2:3], 31, v[16:17]
	v_accvgpr_write_b32 a11, v5
	v_and_b32_e32 v2, 3, v2
	s_waitcnt lgkmcnt(0)
	v_ashrrev_i32_e32 v23, 31, v22
	v_accvgpr_write_b32 a10, v4
	v_pk_mov_b32 v[42:43], v[4:5], v[4:5] op_sel:[0,1]
                                        ; implicit-def: $agpr8_agpr9
                                        ; implicit-def: $agpr16
                                        ; implicit-def: $vgpr36_vgpr37
                                        ; implicit-def: $agpr18_agpr19
                                        ; implicit-def: $vgpr32_vgpr33
	s_and_saveexec_b64 s[4:5], vcc
	s_cbranch_execz .LBB4_33
; %bb.24:
	s_trap 2
	ds_read_b64 v[4:5], v0
	v_lshlrev_b64 v[6:7], 3, v[22:23]
	v_and_b32_e32 v3, 0xffff, v2
	s_movk_i32 s6, 0xa8
                                        ; implicit-def: $agpr8_agpr9
	s_waitcnt lgkmcnt(0)
	v_add_co_u32_e32 v4, vcc, v4, v6
	v_addc_co_u32_e32 v5, vcc, v5, v7, vcc
	flat_load_dwordx2 v[4:5], v[4:5]
	s_waitcnt vmcnt(0) lgkmcnt(0)
	v_mad_u64_u32 v[4:5], s[6:7], v3, s6, v[4:5]
	flat_load_dword v3, v[4:5] offset:640
	v_add_co_u32_e32 v8, vcc, 0x1f8, v4
	v_addc_co_u32_e32 v9, vcc, 0, v5, vcc
	s_waitcnt vmcnt(0) lgkmcnt(0)
	v_cmp_eq_u32_e32 vcc, 1, v3
	s_and_saveexec_b64 s[6:7], vcc
	s_cbranch_execz .LBB4_26
; %bb.25:
	flat_load_dwordx2 v[6:7], v[8:9] offset:144
	v_or_b32_e32 v62, 0x2000, v62
	s_waitcnt vmcnt(0) lgkmcnt(0)
	flat_load_dwordx2 v[4:5], v[6:7]
	s_trap 2
	v_accvgpr_write_b32 a9, v7
	v_accvgpr_write_b32 a8, v6
	s_waitcnt vmcnt(0) lgkmcnt(0)
	ds_write_b64 v0, v[4:5]
	flat_load_dwordx2 v[4:5], v[6:7] offset:8
	s_waitcnt vmcnt(0) lgkmcnt(0)
	ds_write_b64 v0, v[4:5]
	flat_load_dwordx2 v[4:5], v[6:7] offset:16
	s_waitcnt vmcnt(0) lgkmcnt(0)
	ds_write_b64 v0, v[4:5]
.LBB4_26:
	s_or_b64 exec, exec, s[6:7]
	flat_load_dwordx2 v[44:45], v[8:9] offset:104
	v_accvgpr_write_b32 a11, v9
	v_and_b32_e32 v3, 32, v62
	v_accvgpr_write_b32 a10, v8
	v_cmp_ne_u32_e32 vcc, 0, v3
                                        ; implicit-def: $vgpr32_vgpr33
	s_and_saveexec_b64 s[6:7], vcc
	s_cbranch_execz .LBB4_28
; %bb.27:
	v_accvgpr_read_b32 v4, a10
	v_accvgpr_read_b32 v5, a11
	flat_load_dwordx2 v[32:33], v[4:5] offset:56
	s_waitcnt vmcnt(0) lgkmcnt(0)
	flat_store_dwordx2 v[32:33], v[44:45]
.LBB4_28:
	s_or_b64 exec, exec, s[6:7]
	v_and_b32_e32 v3, 4, v62
	v_cmp_ne_u32_e32 vcc, 0, v3
	v_pk_mov_b32 v[42:43], 0, 0
                                        ; implicit-def: $agpr16
                                        ; implicit-def: $vgpr36_vgpr37
                                        ; implicit-def: $agpr18_agpr19
	s_and_saveexec_b64 s[6:7], vcc
	s_cbranch_execz .LBB4_32
; %bb.29:
	v_and_b32_e32 v3, 0x800, v62
	v_cmp_eq_u32_e32 vcc, 0, v3
	s_and_saveexec_b64 s[10:11], vcc
	s_cbranch_execz .LBB4_31
; %bb.30:
	s_trap 2
	ds_write_b64 v0, a[10:11]
.LBB4_31:
	s_or_b64 exec, exec, s[10:11]
	v_accvgpr_read_b32 v4, a10
	v_accvgpr_read_b32 v5, a11
	flat_load_dwordx2 v[32:33], v[4:5] offset:48
	v_or_b32_e32 v3, 0x100, v62
	s_waitcnt vmcnt(0) lgkmcnt(0)
	flat_load_dwordx2 v[36:37], v[32:33] glc
	flat_load_dwordx2 v[42:43], v[4:5] offset:96
	flat_load_dword a16, v[4:5] offset:72
	flat_load_dwordx2 a[18:19], v[4:5] offset:16
	s_waitcnt vmcnt(0) lgkmcnt(0)
	v_cmp_eq_u64_e32 vcc, 0, v[42:43]
	v_cndmask_b32_e32 v62, v3, v62, vcc
.LBB4_32:
	s_or_b64 exec, exec, s[6:7]
.LBB4_33:
	s_or_b64 exec, exec, s[4:5]
	v_and_b32_e32 v3, 24, v62
	v_cmp_ne_u32_e32 vcc, 0, v3
                                        ; implicit-def: $agpr22_agpr23
	s_and_saveexec_b64 s[4:5], vcc
	s_cbranch_execz .LBB4_41
; %bb.34:
	s_trap 2
	ds_read_b64 v[4:5], v0
	v_lshlrev_b64 v[6:7], 3, v[22:23]
	v_and_b32_e32 v2, 0xffff, v2
	s_movk_i32 s6, 0xa8
                                        ; implicit-def: $agpr22_agpr23
	s_waitcnt lgkmcnt(0)
	v_add_co_u32_e32 v4, vcc, v4, v6
	v_addc_co_u32_e32 v5, vcc, v5, v7, vcc
	flat_load_dwordx2 v[4:5], v[4:5]
	s_waitcnt vmcnt(0) lgkmcnt(0)
	v_mad_u64_u32 v[2:3], s[6:7], v2, s6, v[4:5]
	flat_load_dwordx4 v[42:45], v[2:3] offset:96
	v_accvgpr_write_b32 a11, v3
	v_accvgpr_write_b32 a10, v2
	v_or_b32_e32 v2, 0x100, v62
	s_waitcnt vmcnt(0) lgkmcnt(0)
	v_cmp_eq_u64_e32 vcc, 0, v[42:43]
	v_cndmask_b32_e32 v62, v2, v62, vcc
	v_and_b32_e32 v2, 16, v62
	v_cmp_ne_u32_e32 vcc, 0, v2
	s_and_saveexec_b64 s[6:7], vcc
	s_cbranch_execz .LBB4_36
; %bb.35:
	v_accvgpr_read_b32 v2, a10
	v_accvgpr_read_b32 v3, a11
	flat_load_dwordx2 a[22:23], v[2:3] offset:120
	flat_load_dwordx2 v[32:33], v[2:3] offset:48
	;; [unrolled: 1-line block ×3, first 2 shown]
.LBB4_36:
	s_or_b64 exec, exec, s[6:7]
	v_and_b32_e32 v2, 8, v62
	v_cmp_ne_u32_e32 vcc, 0, v2
	s_and_saveexec_b64 s[6:7], vcc
	s_cbranch_execz .LBB4_40
; %bb.37:
	v_and_b32_e32 v2, 0x800, v62
	v_cmp_eq_u32_e32 vcc, 0, v2
	s_and_saveexec_b64 s[10:11], vcc
	s_cbranch_execz .LBB4_39
; %bb.38:
	s_trap 2
	ds_write_b64 v0, a[10:11]
.LBB4_39:
	s_or_b64 exec, exec, s[10:11]
	v_accvgpr_read_b32 v2, a10
	v_accvgpr_read_b32 v3, a11
	s_waitcnt vmcnt(0) lgkmcnt(0)
	flat_load_dwordx2 v[32:33], v[2:3] offset:56
	s_waitcnt vmcnt(0) lgkmcnt(0)
	flat_load_dwordx2 v[36:37], v[32:33] glc
	flat_load_dword a16, v[2:3] offset:72
	flat_load_dwordx2 a[18:19], v[2:3] offset:16
.LBB4_40:
	s_or_b64 exec, exec, s[6:7]
.LBB4_41:
	s_or_b64 exec, exec, s[4:5]
	v_cmp_eq_u32_e64 s[4:5], 0, v58
	s_and_saveexec_b64 s[6:7], s[4:5]
	s_cbranch_execz .LBB4_43
; %bb.42:
	s_waitcnt vmcnt(0)
	v_mov_b32_e32 v2, v12
	v_mov_b32_e32 v3, v13
	;; [unrolled: 1-line block ×4, first 2 shown]
	ds_write2_b64 v0, v[2:3], v[4:5] offset1:1
	v_mov_b32_e32 v2, 0
	v_mov_b32_e32 v3, v2
	s_trap 2
	ds_write_b64 v0, v[2:3]
	ds_write_b64 v0, v[20:21]
.LBB4_43:
	s_or_b64 exec, exec, s[6:7]
	v_mov_b32_e32 v3, 0
	v_and_b32_e32 v2, 0x3ffffe00, v18
	v_accvgpr_write_b32 a21, v3
	v_accvgpr_write_b32 a20, v2
	v_bfe_u32 v2, v16, 1, 30
	v_cmp_ne_u32_e32 vcc, v0, v2
                                        ; implicit-def: $vgpr38_vgpr39
	s_and_saveexec_b64 s[6:7], vcc
	s_xor_b64 s[28:29], exec, s[6:7]
	s_cbranch_execz .LBB4_3199
; %bb.44:
	v_cmp_ne_u32_e32 vcc, v14, v2
	v_cmp_ne_u64_e64 s[6:7], 0, v[40:41]
                                        ; implicit-def: $vgpr38_vgpr39
	s_and_saveexec_b64 s[10:11], vcc
	s_xor_b64 s[30:31], exec, s[10:11]
	s_cbranch_execz .LBB4_1625
; %bb.45:
	v_pk_mov_b32 v[38:39], 0, 0
	s_and_saveexec_b64 s[34:35], s[6:7]
	s_cbranch_execz .LBB4_1624
; %bb.46:
	s_waitcnt vmcnt(0) lgkmcnt(0)
	v_accvgpr_read_b32 v0, a16
	v_ashrrev_i32_e32 v55, 31, v0
	v_and_b32_e32 v0, 63, v56
	v_cmp_eq_u32_e64 s[14:15], 0, v0
	v_ashrrev_i32_e32 v0, 31, v58
	v_lshrrev_b32_e32 v0, 26, v0
	v_accvgpr_write_b32 a12, v42
	v_add_u32_e32 v0, v58, v0
	v_accvgpr_write_b32 a13, v43
	v_accvgpr_write_b32 a14, v44
	;; [unrolled: 1-line block ×3, first 2 shown]
	v_and_b32_e32 v2, 0xffffffc0, v0
	v_ashrrev_i32_e32 v43, 6, v0
	v_sub_u32_e32 v2, v58, v2
	v_lshlrev_b32_e32 v0, 11, v43
	v_lshl_add_u32 v0, v2, 4, v0
	v_lshrrev_b32_e32 v54, 6, v47
	v_cmp_le_i32_e64 s[16:17], v2, v1
	v_cmp_lt_i32_e64 s[18:19], v2, v1
	v_accvgpr_write_b32 a28, v0
	v_ashrrev_i32_e32 v1, 31, v0
	v_mov_b32_e32 v0, 0xfffff800
	v_lshl_add_u32 v0, v54, 11, v0
	s_movk_i32 s20, 0x800
	v_accvgpr_write_b32 a27, v1
	v_ashrrev_i32_e32 v1, 31, v0
	v_add_co_u32_e64 v0, s[20:21], s20, v0
	v_accvgpr_write_b32 a29, v0
	v_addc_co_u32_e64 v0, s[20:21], 0, v1, s[20:21]
	v_lshlrev_b32_e32 v46, 10, v54
	v_accvgpr_write_b32 a30, v0
	v_add_u32_e32 v0, 0xfffffc00, v46
	s_movk_i32 s20, 0x400
	v_ashrrev_i32_e32 v1, 31, v0
	v_add_co_u32_e64 v59, s[20:21], s20, v0
	v_addc_co_u32_e64 v0, s[20:21], 0, v1, s[20:21]
	v_accvgpr_write_b32 a33, v0
	v_mov_b32_e32 v0, 0xfffffe00
	v_lshl_add_u32 v0, v54, 9, v0
	s_movk_i32 s20, 0x200
	v_ashrrev_i32_e32 v1, 31, v0
	v_add_co_u32_e64 v42, s[20:21], s20, v0
	v_and_b32_e32 v0, 0xffffffc0, v47
	s_ashr_i32 s10, s70, 31
	v_addc_co_u32_e64 v50, s[20:21], 0, v1, s[20:21]
	v_ashrrev_i32_e32 v1, 31, v0
	s_lshr_b32 s10, s10, 24
	v_accvgpr_write_b32 a36, v0
	v_accvgpr_write_b32 a35, v1
	v_accvgpr_read_b32 v0, a22
	s_add_i32 s10, s70, s10
	v_cmp_eq_u32_e32 vcc, 64, v47
	v_accvgpr_read_b32 v1, a23
	v_pk_mov_b32 v[44:45], 0, 0
	s_mov_b32 s46, -1
	v_accvgpr_read_b32 v53, a21
	s_ashr_i32 s71, s10, 8
	v_cmp_ge_i32_e64 s[10:11], v58, v47
	v_cmp_ne_u32_e64 s[12:13], 64, v47
	v_accvgpr_write_b32 a2, v57
	v_cmp_ne_u32_sdwa s[36:37], v57, v47 src0_sel:WORD_0 src1_sel:DWORD
	v_accvgpr_write_b32 a1, v56
	v_mov_b32_e32 v57, 0
	s_movk_i32 s72, 0xffc0
	v_accvgpr_write_b32 a25, v2
	v_accvgpr_write_b32 a0, v47
	s_mov_b64 s[38:39], 0
	v_cmp_eq_u64_e64 s[20:21], 0, v[0:1]
	s_movk_i32 s73, 0x270e
	s_movk_i32 s74, 0x108
	v_mov_b32_e32 v47, 1
	s_xor_b64 s[40:41], vcc, -1
	s_movk_i32 s75, 0x80
	s_movk_i32 s76, 0x7f
	s_mov_b64 s[42:43], 0x7f800000
	s_mov_b64 s[44:45], 0x43e00001
	s_movk_i32 s77, 0x7a
	s_mov_b32 s47, 0xffffff
	s_mov_b64 s[48:49], 0xffffff
	s_mov_b32 s78, 0xc0c0500
	v_bfrev_b32_e32 v51, 60
	v_pk_mov_b32 v[38:39], v[44:45], v[44:45] op_sel:[0,1]
	v_accvgpr_read_b32 v52, a20
	s_trap 2
	s_branch .LBB4_49
.LBB4_47:                               ;   in Loop: Header=BB4_49 Depth=1
	s_or_b64 exec, exec, s[22:23]
.LBB4_48:                               ;   in Loop: Header=BB4_49 Depth=1
	s_or_b64 exec, exec, s[24:25]
	v_add_co_u32_e32 v44, vcc, v44, v52
	v_addc_co_u32_e32 v45, vcc, 0, v45, vcc
	v_cmp_ge_u64_e32 vcc, v[44:45], v[40:41]
	s_or_b64 s[38:39], vcc, s[38:39]
	s_andn2_b64 exec, exec, s[38:39]
	s_cbranch_execz .LBB4_1623
.LBB4_49:                               ; =>This Loop Header: Depth=1
                                        ;     Child Loop BB4_58 Depth 2
                                        ;     Child Loop BB4_84 Depth 2
	;; [unrolled: 1-line block ×10, first 2 shown]
	v_sub_co_u32_e32 v0, vcc, v40, v44
	v_subb_co_u32_e32 v1, vcc, v41, v45, vcc
	v_cmp_lt_u64_e32 vcc, v[52:53], v[0:1]
	v_cndmask_b32_e64 v7, v1, 0, vcc
	v_cndmask_b32_e32 v6, v0, v52, vcc
	v_add_u32_e32 v0, 15, v6
	v_cmp_eq_u64_e32 vcc, 0, v[6:7]
	v_and_b32_e32 v0, 0x7ffffff0, v0
	s_or_b64 s[50:51], s[10:11], vcc
	v_max_i32_e32 v16, s71, v0
	s_xor_b64 s[22:23], s[50:51], -1
	v_mov_b32_e32 v0, v57
	s_and_saveexec_b64 s[52:53], s[22:23]
	s_cbranch_execz .LBB4_1573
; %bb.50:                               ;   in Loop: Header=BB4_49 Depth=1
	s_and_saveexec_b64 s[22:23], s[4:5]
	s_cbranch_execz .LBB4_52
; %bb.51:                               ;   in Loop: Header=BB4_49 Depth=1
	s_trap 2
	ds_read_b64 v[0:1], v0
	v_mov_b32_e32 v56, v57
	s_waitcnt lgkmcnt(0)
	v_add_co_u32_e32 v0, vcc, v0, v60
	v_addc_co_u32_e32 v1, vcc, v1, v61, vcc
	v_add_co_u32_e32 v0, vcc, v0, v44
	v_addc_co_u32_e32 v1, vcc, v1, v45, vcc
	ds_write_b64 v0, v[0:1]
	ds_write_b64 v0, v[56:57]
.LBB4_52:                               ;   in Loop: Header=BB4_49 Depth=1
	s_or_b64 exec, exec, s[22:23]
	v_and_b32_e32 v0, 12, v62
	v_cmp_ne_u32_e32 vcc, 0, v0
	s_mov_b64 s[24:25], -1
	s_and_saveexec_b64 s[22:23], vcc
	s_cbranch_execz .LBB4_64
; %bb.53:                               ;   in Loop: Header=BB4_49 Depth=1
	v_and_b32_e32 v10, 8, v62
	v_add_co_u32_e32 v0, vcc, v36, v10
	v_accvgpr_read_b32 v2, a12
	v_addc_co_u32_e32 v1, vcc, 0, v37, vcc
	v_accvgpr_read_b32 v4, a14
	v_accvgpr_read_b32 v5, a15
	v_add_co_u32_e32 v12, vcc, 1, v4
	v_addc_co_u32_e32 v13, vcc, 0, v5, vcc
	v_cmp_lt_u64_e32 vcc, v[0:1], v[12:13]
	v_mov_b32_e32 v0, 1
	v_accvgpr_read_b32 v3, a13
	s_and_saveexec_b64 s[24:25], vcc
	s_cbranch_execz .LBB4_63
; %bb.54:                               ;   in Loop: Header=BB4_49 Depth=1
	s_mov_b64 s[54:55], 0
	v_mov_b32_e32 v0, 0
                                        ; implicit-def: $sgpr56_sgpr57
	s_branch .LBB4_58
.LBB4_55:                               ;   in Loop: Header=BB4_58 Depth=2
	s_or_b64 exec, exec, s[64:65]
	v_mov_b32_e32 v1, 0
	s_orn2_b64 s[62:63], s[62:63], exec
.LBB4_56:                               ;   in Loop: Header=BB4_58 Depth=2
	s_or_b64 exec, exec, s[60:61]
	s_andn2_b64 vcc, s[56:57], exec
	s_and_b64 s[56:57], s[62:63], exec
	s_or_b64 s[56:57], vcc, s[56:57]
	v_mov_b32_e32 v0, v1
.LBB4_57:                               ;   in Loop: Header=BB4_58 Depth=2
	s_or_b64 exec, exec, s[58:59]
	s_waitcnt vmcnt(0) lgkmcnt(0)
	v_add_co_u32_e32 v2, vcc, v36, v10
	v_addc_co_u32_e32 v3, vcc, 0, v37, vcc
	v_cmp_ge_u64_e32 vcc, v[2:3], v[12:13]
	s_xor_b64 s[58:59], s[56:57], -1
	s_or_b64 vcc, s[58:59], vcc
	s_and_b64 vcc, exec, vcc
	s_or_b64 s[54:55], vcc, s[54:55]
	s_andn2_b64 exec, exec, s[54:55]
	s_cbranch_execz .LBB4_62
.LBB4_58:                               ;   Parent Loop BB4_49 Depth=1
                                        ; =>  This Inner Loop Header: Depth=2
	s_sleep 1
	flat_load_dwordx2 v[36:37], v[32:33] glc
	v_and_b32_e32 v1, 64, v62
	v_cmp_eq_u32_e32 vcc, 0, v1
	s_andn2_b64 s[56:57], s[56:57], exec
	s_and_saveexec_b64 s[58:59], vcc
	s_cbranch_execz .LBB4_57
; %bb.59:                               ;   in Loop: Header=BB4_58 Depth=2
	v_add_u32_e32 v1, 1, v0
	v_cmp_lt_i32_e32 vcc, s73, v0
	s_mov_b64 s[62:63], -1
	s_and_saveexec_b64 s[60:61], vcc
	s_cbranch_execz .LBB4_56
; %bb.60:                               ;   in Loop: Header=BB4_58 Depth=2
	s_trap 2
	ds_read_b64 v[0:1], v0
	s_waitcnt vmcnt(0) lgkmcnt(0)
	flat_load_dword v0, v[0:1] glc
	s_waitcnt vmcnt(0) lgkmcnt(0)
	buffer_invl2
	buffer_wbinvl1_vol
	v_cmp_ne_u32_e32 vcc, 0, v0
	s_and_saveexec_b64 s[64:65], vcc
	s_cbranch_execz .LBB4_55
; %bb.61:                               ;   in Loop: Header=BB4_58 Depth=2
	v_or_b32_e32 v62, 64, v62
	s_xor_b64 s[62:63], exec, -1
	ds_write_b32 v0, v0
	s_trap 2
	s_branch .LBB4_55
.LBB4_62:                               ;   in Loop: Header=BB4_49 Depth=1
	s_or_b64 exec, exec, s[54:55]
	v_and_b32_e32 v0, 12, v62
.LBB4_63:                               ;   in Loop: Header=BB4_49 Depth=1
	s_or_b64 exec, exec, s[24:25]
	v_cmp_eq_u32_e32 vcc, 0, v0
	s_orn2_b64 s[24:25], vcc, exec
	;;#ASMSTART
	s_wakeup
	;;#ASMEND
.LBB4_64:                               ;   in Loop: Header=BB4_49 Depth=1
	s_or_b64 exec, exec, s[22:23]
	s_xor_b64 s[22:23], s[24:25], -1
	v_min_u32_e32 v16, v16, v6
	s_and_saveexec_b64 s[24:25], s[22:23]
	s_cbranch_execz .LBB4_76
; %bb.65:                               ;   in Loop: Header=BB4_49 Depth=1
	v_and_b32_e32 v0, 0x108, v62
	v_cmp_ne_u32_e32 vcc, s74, v0
	v_accvgpr_read_b32 v0, a12
	v_accvgpr_read_b32 v2, a14
	v_and_b32_e32 v10, 7, v2
	v_accvgpr_read_b32 v1, a13
	v_accvgpr_read_b32 v3, a15
	s_and_saveexec_b64 s[22:23], vcc
	s_xor_b64 s[22:23], exec, s[22:23]
	s_andn2_saveexec_b64 s[22:23], s[22:23]
	s_cbranch_execz .LBB4_67
; %bb.66:                               ;   in Loop: Header=BB4_49 Depth=1
	v_accvgpr_read_b32 v0, a12
	v_accvgpr_read_b32 v1, a13
	v_mad_u64_u32 v[0:1], vcc, v10, 24, v[0:1]
	v_mov_b32_e32 v17, v57
	v_accvgpr_read_b32 v2, a14
	v_accvgpr_read_b32 v3, a15
	flat_store_dwordx2 v[0:1], v[16:17] offset:8
.LBB4_67:                               ;   in Loop: Header=BB4_49 Depth=1
	s_or_b64 exec, exec, s[22:23]
	v_and_b32_e32 v0, 0x100, v62
	v_cmp_ne_u32_e32 vcc, 0, v0
	s_mov_b64 s[22:23], -1
                                        ; implicit-def: $vgpr12_vgpr13
	s_and_saveexec_b64 s[54:55], vcc
	s_cbranch_execz .LBB4_71
; %bb.68:                               ;   in Loop: Header=BB4_49 Depth=1
	v_accvgpr_read_b32 v0, a12
	v_accvgpr_read_b32 v1, a13
	v_mad_u64_u32 v[14:15], s[22:23], v10, 24, v[0:1]
	v_mov_b32_e32 v0, v15
	v_mad_u64_u32 v[0:1], s[22:23], v57, 24, v[0:1]
	v_mov_b32_e32 v15, v0
	flat_load_dword v0, v[14:15]
	v_accvgpr_read_b32 v2, a14
	v_accvgpr_read_b32 v3, a15
                                        ; implicit-def: $vgpr12_vgpr13
	s_waitcnt vmcnt(0) lgkmcnt(0)
	v_cmp_ne_u32_e32 vcc, 1, v0
	v_cmp_eq_u32_e64 s[22:23], 1, v0
	s_and_saveexec_b64 s[56:57], s[22:23]
	s_cbranch_execz .LBB4_70
; %bb.69:                               ;   in Loop: Header=BB4_49 Depth=1
	flat_load_dword v12, v[14:15] offset:4 glc
	s_waitcnt vmcnt(0) lgkmcnt(0)
	v_ashrrev_i32_e32 v13, 31, v12
.LBB4_70:                               ;   in Loop: Header=BB4_49 Depth=1
	s_or_b64 exec, exec, s[56:57]
	s_orn2_b64 s[22:23], vcc, exec
.LBB4_71:                               ;   in Loop: Header=BB4_49 Depth=1
	s_or_b64 exec, exec, s[54:55]
	s_and_saveexec_b64 vcc, s[22:23]
; %bb.72:                               ;   in Loop: Header=BB4_49 Depth=1
	v_accvgpr_read_b32 v2, a16
	v_mul_lo_u32 v0, v57, v2
	v_mul_lo_u32 v1, v10, v55
	v_mad_u64_u32 v[12:13], s[22:23], v10, v2, 0
	v_add3_u32 v13, v13, v1, v0
; %bb.73:                               ;   in Loop: Header=BB4_49 Depth=1
	s_or_b64 exec, exec, vcc
	v_accvgpr_read_b32 v0, a18
	v_accvgpr_read_b32 v1, a19
	v_add_co_u32_e32 v0, vcc, v0, v12
	v_addc_co_u32_e32 v1, vcc, v1, v13, vcc
	s_trap 2
	ds_write_b64 v0, v[0:1]
	v_and_b32_e32 v0, 0x2000, v62
	v_cmp_ne_u32_e32 vcc, 0, v0
	s_and_saveexec_b64 s[22:23], vcc
	s_cbranch_execz .LBB4_75
; %bb.74:                               ;   in Loop: Header=BB4_49 Depth=1
	ds_read_b64 v[0:1], v0 offset:584
	s_waitcnt lgkmcnt(0)
	v_add_co_u32_e32 v0, vcc, 1, v0
	v_addc_co_u32_e32 v1, vcc, 0, v1, vcc
	ds_write_b64 v0, v[0:1] offset:584
.LBB4_75:                               ;   in Loop: Header=BB4_49 Depth=1
	s_or_b64 exec, exec, s[22:23]
	v_accvgpr_read_b32 v0, a12
	v_accvgpr_read_b32 v2, a14
	;; [unrolled: 1-line block ×3, first 2 shown]
	v_add_co_u32_e32 v2, vcc, 1, v2
	v_addc_co_u32_e32 v3, vcc, 0, v3, vcc
	v_accvgpr_read_b32 v1, a13
	v_accvgpr_write_b32 a15, v3
	v_accvgpr_write_b32 a14, v2
	;; [unrolled: 1-line block ×4, first 2 shown]
.LBB4_76:                               ;   in Loop: Header=BB4_49 Depth=1
	s_or_b64 exec, exec, s[24:25]
	s_and_saveexec_b64 s[22:23], s[12:13]
	s_cbranch_execz .LBB4_95
; %bb.77:                               ;   in Loop: Header=BB4_49 Depth=1
	s_and_saveexec_b64 s[24:25], s[36:37]
	s_xor_b64 s[24:25], exec, s[24:25]
	s_cbranch_execz .LBB4_92
; %bb.78:                               ;   in Loop: Header=BB4_49 Depth=1
	s_and_saveexec_b64 s[54:55], s[14:15]
	s_cbranch_execz .LBB4_91
; %bb.79:                               ;   in Loop: Header=BB4_49 Depth=1
	s_mov_b64 s[58:59], exec
	v_mbcnt_lo_u32_b32 v0, s58, 0
	v_mbcnt_hi_u32_b32 v0, s59, v0
	v_cmp_eq_u32_e32 vcc, 0, v0
	s_waitcnt vmcnt(0) lgkmcnt(0)
	buffer_wbinvl1_vol
	s_and_saveexec_b64 s[56:57], vcc
	s_cbranch_execz .LBB4_81
; %bb.80:                               ;   in Loop: Header=BB4_49 Depth=1
	s_bcnt1_i32_b64 vcc_lo, s[58:59]
	v_mov_b32_e32 v56, vcc_lo
	ds_add_u64 v0, v[56:57]
	s_trap 2
.LBB4_81:                               ;   in Loop: Header=BB4_49 Depth=1
	s_or_b64 exec, exec, s[56:57]
	s_trap 2
	ds_read_b64 v[0:1], v0
	v_add_co_u32_e32 v38, vcc, v38, v54
	v_addc_co_u32_e32 v39, vcc, 0, v39, vcc
	s_waitcnt lgkmcnt(0)
	v_cmp_lt_u64_e32 vcc, v[0:1], v[38:39]
	s_and_saveexec_b64 s[56:57], vcc
	s_cbranch_execz .LBB4_90
; %bb.82:                               ;   in Loop: Header=BB4_49 Depth=1
	s_mov_b32 s68, 0
	s_mov_b64 s[58:59], 0
                                        ; implicit-def: $sgpr60_sgpr61
                                        ; implicit-def: $sgpr62_sgpr63
	s_branch .LBB4_84
.LBB4_83:                               ;   in Loop: Header=BB4_84 Depth=2
	s_or_b64 exec, exec, s[66:67]
	s_and_b64 vcc, exec, vcc
	s_or_b64 s[58:59], vcc, s[58:59]
	s_andn2_b64 vcc, s[60:61], exec
	s_and_b64 s[60:61], s[62:63], exec
	s_or_b64 s[60:61], vcc, s[60:61]
	s_andn2_b64 exec, exec, s[58:59]
	s_cbranch_execz .LBB4_88
.LBB4_84:                               ;   Parent Loop BB4_49 Depth=1
                                        ; =>  This Inner Loop Header: Depth=2
	s_add_i32 s68, s68, 1
	s_cmpk_lg_i32 s68, 0x2710
	s_cselect_b64 s[64:65], -1, 0
	s_and_b64 vcc, exec, s[64:65]
                                        ; implicit-def: $sgpr66_sgpr67
	s_cbranch_vccnz .LBB4_86
; %bb.85:                               ;   in Loop: Header=BB4_84 Depth=2
	s_trap 2
	ds_read_b64 v[0:1], v0
	s_andn2_b64 s[64:65], s[64:65], exec
	s_mov_b32 s68, 0
	s_mov_b64 s[66:67], -1
	s_waitcnt lgkmcnt(0)
	flat_load_dword v0, v[0:1] glc
	s_waitcnt vmcnt(0) lgkmcnt(0)
	buffer_invl2
	buffer_wbinvl1_vol
	v_cmp_eq_u32_e32 vcc, 0, v0
	s_and_b64 vcc, vcc, exec
	s_or_b64 s[64:65], s[64:65], vcc
.LBB4_86:                               ;   in Loop: Header=BB4_84 Depth=2
	s_andn2_b64 s[62:63], s[62:63], exec
	s_and_b64 s[66:67], s[66:67], exec
	s_mov_b64 vcc, -1
	s_or_b64 s[62:63], s[62:63], s[66:67]
	s_and_saveexec_b64 s[66:67], s[64:65]
	s_cbranch_execz .LBB4_83
; %bb.87:                               ;   in Loop: Header=BB4_84 Depth=2
	s_sleep 1
	s_trap 2
	ds_read_b64 v[0:1], v0
	s_andn2_b64 s[62:63], s[62:63], exec
	s_waitcnt lgkmcnt(0)
	v_cmp_ge_u64_e32 vcc, v[0:1], v[38:39]
	s_orn2_b64 vcc, vcc, exec
	s_branch .LBB4_83
.LBB4_88:                               ;   in Loop: Header=BB4_49 Depth=1
	s_or_b64 exec, exec, s[58:59]
	s_and_saveexec_b64 vcc, s[60:61]
	s_xor_b64 vcc, exec, vcc
	s_cbranch_execz .LBB4_90
; %bb.89:                               ;   in Loop: Header=BB4_49 Depth=1
	ds_write_b32 v0, v47
	s_trap 2
.LBB4_90:                               ;   in Loop: Header=BB4_49 Depth=1
	s_or_b64 exec, exec, s[56:57]
	;;#ASMSTART
	s_wakeup
	;;#ASMEND
.LBB4_91:                               ;   in Loop: Header=BB4_49 Depth=1
	s_or_b64 exec, exec, s[54:55]
.LBB4_92:                               ;   in Loop: Header=BB4_49 Depth=1
	s_andn2_saveexec_b64 s[24:25], s[24:25]
	s_cbranch_execz .LBB4_94
; %bb.93:                               ;   in Loop: Header=BB4_49 Depth=1
	s_waitcnt vmcnt(0) lgkmcnt(0)
	buffer_wbinvl1_vol
	s_barrier
.LBB4_94:                               ;   in Loop: Header=BB4_49 Depth=1
	s_or_b64 exec, exec, s[24:25]
.LBB4_95:                               ;   in Loop: Header=BB4_49 Depth=1
	s_or_b64 exec, exec, s[22:23]
	s_trap 2
	ds_read_b32 v0, v0
	v_and_b32_e32 v1, 0x4000, v62
	v_cmp_ne_u32_e32 vcc, 0, v1
	s_and_b64 s[24:25], s[40:41], vcc
	s_and_saveexec_b64 s[22:23], s[24:25]
	s_cbranch_execz .LBB4_114
; %bb.96:                               ;   in Loop: Header=BB4_49 Depth=1
	s_and_saveexec_b64 s[24:25], s[36:37]
	s_xor_b64 s[24:25], exec, s[24:25]
	s_cbranch_execz .LBB4_111
; %bb.97:                               ;   in Loop: Header=BB4_49 Depth=1
	s_and_saveexec_b64 s[54:55], s[14:15]
	s_cbranch_execz .LBB4_110
; %bb.98:                               ;   in Loop: Header=BB4_49 Depth=1
	s_mov_b64 s[58:59], exec
	v_mbcnt_lo_u32_b32 v1, s58, 0
	v_mbcnt_hi_u32_b32 v1, s59, v1
	v_cmp_eq_u32_e32 vcc, 0, v1
	s_waitcnt vmcnt(0) lgkmcnt(0)
	buffer_wbinvl1_vol
	s_and_saveexec_b64 s[56:57], vcc
	s_cbranch_execz .LBB4_100
; %bb.99:                               ;   in Loop: Header=BB4_49 Depth=1
	s_bcnt1_i32_b64 vcc_lo, s[58:59]
	v_mov_b32_e32 v56, vcc_lo
	ds_add_u64 v0, v[56:57]
	s_trap 2
.LBB4_100:                              ;   in Loop: Header=BB4_49 Depth=1
	s_or_b64 exec, exec, s[56:57]
	s_trap 2
	ds_read_b64 v[2:3], v0
	v_add_co_u32_e32 v38, vcc, v38, v54
	v_addc_co_u32_e32 v39, vcc, 0, v39, vcc
	s_waitcnt lgkmcnt(0)
	v_cmp_lt_u64_e32 vcc, v[2:3], v[38:39]
	s_and_saveexec_b64 s[56:57], vcc
	s_cbranch_execz .LBB4_109
; %bb.101:                              ;   in Loop: Header=BB4_49 Depth=1
	s_mov_b32 s68, 0
	s_mov_b64 s[58:59], 0
                                        ; implicit-def: $sgpr60_sgpr61
                                        ; implicit-def: $sgpr62_sgpr63
	s_branch .LBB4_103
.LBB4_102:                              ;   in Loop: Header=BB4_103 Depth=2
	s_or_b64 exec, exec, s[66:67]
	s_and_b64 vcc, exec, vcc
	s_or_b64 s[58:59], vcc, s[58:59]
	s_andn2_b64 vcc, s[60:61], exec
	s_and_b64 s[60:61], s[62:63], exec
	s_or_b64 s[60:61], vcc, s[60:61]
	s_andn2_b64 exec, exec, s[58:59]
	s_cbranch_execz .LBB4_107
.LBB4_103:                              ;   Parent Loop BB4_49 Depth=1
                                        ; =>  This Inner Loop Header: Depth=2
	s_add_i32 s68, s68, 1
	s_cmpk_lg_i32 s68, 0x2710
	s_cselect_b64 s[64:65], -1, 0
	s_and_b64 vcc, exec, s[64:65]
                                        ; implicit-def: $sgpr66_sgpr67
	s_cbranch_vccnz .LBB4_105
; %bb.104:                              ;   in Loop: Header=BB4_103 Depth=2
	s_trap 2
	ds_read_b64 v[2:3], v0
	s_andn2_b64 s[64:65], s[64:65], exec
	s_mov_b32 s68, 0
	s_mov_b64 s[66:67], -1
	s_waitcnt lgkmcnt(0)
	flat_load_dword v1, v[2:3] glc
	s_waitcnt vmcnt(0) lgkmcnt(0)
	buffer_invl2
	buffer_wbinvl1_vol
	v_cmp_eq_u32_e32 vcc, 0, v1
	s_and_b64 vcc, vcc, exec
	s_or_b64 s[64:65], s[64:65], vcc
.LBB4_105:                              ;   in Loop: Header=BB4_103 Depth=2
	s_andn2_b64 s[62:63], s[62:63], exec
	s_and_b64 s[66:67], s[66:67], exec
	s_mov_b64 vcc, -1
	s_or_b64 s[62:63], s[62:63], s[66:67]
	s_and_saveexec_b64 s[66:67], s[64:65]
	s_cbranch_execz .LBB4_102
; %bb.106:                              ;   in Loop: Header=BB4_103 Depth=2
	s_sleep 1
	s_trap 2
	ds_read_b64 v[2:3], v0
	s_andn2_b64 s[62:63], s[62:63], exec
	s_waitcnt lgkmcnt(0)
	v_cmp_ge_u64_e32 vcc, v[2:3], v[38:39]
	s_orn2_b64 vcc, vcc, exec
	s_branch .LBB4_102
.LBB4_107:                              ;   in Loop: Header=BB4_49 Depth=1
	s_or_b64 exec, exec, s[58:59]
	s_and_saveexec_b64 vcc, s[60:61]
	s_xor_b64 vcc, exec, vcc
	s_cbranch_execz .LBB4_109
; %bb.108:                              ;   in Loop: Header=BB4_49 Depth=1
	ds_write_b32 v0, v47
	s_trap 2
.LBB4_109:                              ;   in Loop: Header=BB4_49 Depth=1
	s_or_b64 exec, exec, s[56:57]
	;;#ASMSTART
	s_wakeup
	;;#ASMEND
.LBB4_110:                              ;   in Loop: Header=BB4_49 Depth=1
	s_or_b64 exec, exec, s[54:55]
.LBB4_111:                              ;   in Loop: Header=BB4_49 Depth=1
	s_andn2_saveexec_b64 s[24:25], s[24:25]
	s_cbranch_execz .LBB4_113
; %bb.112:                              ;   in Loop: Header=BB4_49 Depth=1
	s_waitcnt vmcnt(0) lgkmcnt(0)
	buffer_wbinvl1_vol
	s_barrier
.LBB4_113:                              ;   in Loop: Header=BB4_49 Depth=1
	s_or_b64 exec, exec, s[24:25]
.LBB4_114:                              ;   in Loop: Header=BB4_49 Depth=1
	s_or_b64 exec, exec, s[22:23]
	s_trap 2
	s_waitcnt lgkmcnt(0)
	ds_read_b64 v[2:3], v0
	s_waitcnt lgkmcnt(0)
	v_readfirstlane_b32 s22, v2
	v_readfirstlane_b32 s23, v3
	s_cmp_eq_u64 s[22:23], 0
	s_cselect_b64 s[22:23], -1, 0
	s_or_b64 s[24:25], s[22:23], s[22:23]
	s_mov_b64 s[22:23], 0
	s_and_b64 vcc, exec, s[24:25]
	s_cbranch_vccnz .LBB4_1547
; %bb.115:                              ;   in Loop: Header=BB4_49 Depth=1
	s_mov_b64 s[24:25], -1
	s_and_saveexec_b64 s[22:23], s[16:17]
	s_cbranch_execz .LBB4_117
; %bb.116:                              ;   in Loop: Header=BB4_49 Depth=1
	ds_read_b32 v1, v0 offset:720
	s_waitcnt lgkmcnt(0)
	v_and_b32_e32 v1, 15, v1
	v_cmp_eq_u32_e32 vcc, 0, v1
	s_orn2_b64 s[24:25], vcc, exec
.LBB4_117:                              ;   in Loop: Header=BB4_49 Depth=1
	s_or_b64 exec, exec, s[22:23]
	s_and_saveexec_b64 s[22:23], s[18:19]
	s_cbranch_execz .LBB4_119
; %bb.118:                              ;   in Loop: Header=BB4_49 Depth=1
	ds_read_b32 v1, v0 offset:784
	s_waitcnt lgkmcnt(0)
	v_and_b32_e32 v1, 15, v1
	v_cmp_eq_u32_e32 vcc, 0, v1
	s_and_b64 vcc, s[24:25], vcc
	s_andn2_b64 s[24:25], s[24:25], exec
	s_and_b64 vcc, vcc, exec
	s_or_b64 s[24:25], s[24:25], vcc
.LBB4_119:                              ;   in Loop: Header=BB4_49 Depth=1
	s_or_b64 exec, exec, s[22:23]
	v_cmp_eq_u32_e32 vcc, 0, v0
	s_xor_b64 s[24:25], s[24:25], -1
	v_cndmask_b32_e32 v18, 0, v16, vcc
	v_cndmask_b32_e64 v0, 0, 1, s[24:25]
	v_mov_b32_e32 v2, 0
	v_accvgpr_write_b32 a40, v16
	s_mov_b64 s[22:23], -1
	;;#ASMSTART
	;;#ASMEND
	v_cmp_ne_u32_e32 vcc, 0, v0
	v_accvgpr_write_b32 a37, v18
	v_mov_b32_e32 v19, v58
	v_mov_b32_e32 v4, v43
	s_cbranch_vccz .LBB4_121
; %bb.120:                              ;   in Loop: Header=BB4_49 Depth=1
	s_and_saveexec_b64 s[24:25], s[22:23]
	s_cbranch_execnz .LBB4_1286
	s_branch .LBB4_1546
.LBB4_121:                              ;   in Loop: Header=BB4_49 Depth=1
	v_accvgpr_read_b32 v0, a37
	v_lshrrev_b32_e32 v0, 11, v0
	v_sub_u32_e32 v47, v0, v43
	v_accvgpr_write_b32 a34, v42
	v_accvgpr_write_b32 a24, v54
	;; [unrolled: 1-line block ×3, first 2 shown]
	v_cmp_lt_i32_e32 vcc, 0, v47
	s_and_saveexec_b64 s[24:25], vcc
	s_cbranch_execz .LBB4_893
; %bb.122:                              ;   in Loop: Header=BB4_49 Depth=1
	s_trap 2
	ds_read_b128 v[0:3], v0
	v_accvgpr_write_b32 a38, v6
	v_accvgpr_read_b32 v6, a28
	v_accvgpr_write_b32 a3, v58
	v_accvgpr_read_b32 v7, a27
	s_waitcnt lgkmcnt(0)
	ds_read_b64 v[4:5], v0
	v_add_co_u32_e32 v58, vcc, v0, v6
	v_accvgpr_write_b32 a32, v59
	v_accvgpr_write_b32 a6, v60
	v_addc_co_u32_e32 v59, vcc, v1, v7, vcc
	v_accvgpr_write_b32 a7, v61
	v_add_co_u32_e32 v60, vcc, v2, v6
	v_accvgpr_write_b32 a4, v40
	v_addc_co_u32_e32 v61, vcc, v3, v7, vcc
	v_accvgpr_write_b32 a5, v41
	s_waitcnt lgkmcnt(0)
	v_add_co_u32_e32 v40, vcc, v4, v6
	v_accvgpr_write_b32 a31, v46
	v_accvgpr_write_b32 a26, v43
	v_addc_co_u32_e32 v41, vcc, v5, v7, vcc
	s_mov_b64 s[54:55], 0
	s_branch .LBB4_124
.LBB4_123:                              ;   in Loop: Header=BB4_124 Depth=2
	s_or_b64 exec, exec, s[22:23]
	v_lshlrev_b32_e32 v6, 8, v35
	v_perm_b32 v6, v6, v34, s78
	v_lshl_or_b32 v6, v54, 16, v6
	v_and_b32_e32 v1, 0xff, v1
	v_lshlrev_b32_e32 v0, 8, v0
	v_lshl_or_b32 v7, v23, 24, v6
	v_lshlrev_b32_e32 v6, 24, v43
	v_lshlrev_b32_e32 v1, 16, v1
	v_perm_b32 v0, v0, v3, s78
	v_or3_b32 v6, v6, v1, v0
	v_and_b32_e32 v0, 0xff, v31
	v_lshlrev_b32_e32 v3, 8, v42
	v_lshlrev_b32_e32 v1, 24, v28
	;; [unrolled: 1-line block ×3, first 2 shown]
	v_perm_b32 v3, v3, v55, s78
	v_or3_b32 v8, v1, v0, v3
	v_lshlrev_b32_e32 v0, 8, v22
	v_perm_b32 v0, v0, v52, s78
	v_lshl_or_b32 v0, v46, 16, v0
	v_lshl_or_b32 v9, v21, 24, v0
	v_lshlrev_b32_e32 v0, 8, v20
	v_perm_b32 v0, v0, v30, s78
	v_lshl_or_b32 v0, v18, 16, v0
	v_lshl_or_b32 v1, v15, 24, v0
	v_and_b32_e32 v0, 0xff, v2
	v_lshlrev_b32_e32 v3, 8, v25
	v_lshlrev_b32_e32 v2, 24, v53
	;; [unrolled: 1-line block ×3, first 2 shown]
	v_perm_b32 v3, v3, v24, s78
	v_or3_b32 v0, v2, v0, v3
	v_and_b32_e32 v2, 0xff, v27
	v_lshlrev_b32_e32 v3, 24, v4
	v_lshlrev_b32_e32 v4, 8, v26
	v_lshlrev_b32_e32 v2, 16, v2
	v_perm_b32 v4, v4, v19, s78
	v_or3_b32 v2, v3, v2, v4
	v_lshlrev_b32_e32 v3, 8, v14
	v_perm_b32 v3, v3, v5, s78
	v_lshl_or_b32 v3, v48, 16, v3
	v_lshl_or_b32 v3, v10, 24, v3
	global_store_dwordx4 v[40:41], v[6:9], off glc slc
	global_store_dwordx4 v[40:41], v[0:3], off offset:1024 glc slc
	s_nop 0
	v_accvgpr_read_b32 v1, a29
	v_add_co_u32_e32 v58, vcc, v58, v1
	v_accvgpr_read_b32 v2, a30
	v_addc_co_u32_e32 v59, vcc, v59, v2, vcc
	v_add_co_u32_e32 v60, vcc, v60, v1
	v_accvgpr_read_b32 v0, a24
	v_addc_co_u32_e32 v61, vcc, v61, v2, vcc
	v_sub_u32_e32 v47, v47, v0
	v_cmp_gt_i32_e32 vcc, 1, v47
	s_or_b64 s[54:55], vcc, s[54:55]
	v_add_co_u32_e32 v40, vcc, v40, v1
	v_addc_co_u32_e32 v41, vcc, v41, v2, vcc
	s_andn2_b64 exec, exec, s[54:55]
	s_cbranch_execz .LBB4_892
.LBB4_124:                              ;   Parent Loop BB4_49 Depth=1
                                        ; =>  This Inner Loop Header: Depth=2
	global_load_dwordx4 v[22:25], v[58:59], off glc slc
	global_load_dwordx4 v[14:17], v[58:59], off offset:1024 glc slc
	global_load_dwordx4 v[18:21], v[60:61], off glc slc
	global_load_dwordx4 v[10:13], v[60:61], off offset:1024 glc slc
	v_mov_b32_e32 v0, 0
	v_mov_b32_e32 v1, 0
	s_waitcnt vmcnt(0)
	v_cmp_ne_u16_sdwa vcc, v22, v57 src0_sel:BYTE_0 src1_sel:DWORD
	s_and_saveexec_b64 s[22:23], vcc
	s_cbranch_execz .LBB4_130
; %bb.125:                              ;   in Loop: Header=BB4_124 Depth=2
	v_cmp_ne_u16_sdwa vcc, v22, s75 src0_sel:BYTE_0 src1_sel:DWORD
	v_bfrev_b32_e32 v1, 1
	s_and_saveexec_b64 s[56:57], vcc
	s_cbranch_execz .LBB4_129
; %bb.126:                              ;   in Loop: Header=BB4_124 Depth=2
	v_and_b32_e32 v2, 0x7f, v22
	v_cmp_ne_u32_e32 vcc, s76, v2
	v_mov_b32_e32 v1, 0x7f800001
	s_and_saveexec_b64 s[58:59], vcc
	s_cbranch_execz .LBB4_128
; %bb.127:                              ;   in Loop: Header=BB4_124 Depth=2
	v_and_b32_e32 v1, 7, v22
	v_ffbh_u32_e32 v1, v1
	v_min_u32_e32 v1, 32, v1
	v_subrev_u32_e32 v4, 28, v1
	v_cmp_gt_u32_e32 vcc, 8, v2
	v_lshrrev_b32_e32 v3, 3, v2
	v_sub_u32_e32 v1, 29, v1
	v_cndmask_b32_e32 v2, 0, v4, vcc
	v_cndmask_b32_e32 v1, v3, v1, vcc
	v_lshlrev_b64 v[2:3], v2, v[22:23]
	v_lshlrev_b32_e32 v2, 20, v2
	v_lshlrev_b32_e32 v3, 24, v22
	v_and_b32_e32 v2, 0x700000, v2
	v_and_b32_e32 v3, 0x80000000, v3
	v_lshl_add_u32 v1, v1, 23, v51
	v_or3_b32 v1, v3, v1, v2
.LBB4_128:                              ;   in Loop: Header=BB4_124 Depth=2
	s_or_b64 exec, exec, s[58:59]
.LBB4_129:                              ;   in Loop: Header=BB4_124 Depth=2
	s_or_b64 exec, exec, s[56:57]
.LBB4_130:                              ;   in Loop: Header=BB4_124 Depth=2
	s_or_b64 exec, exec, s[22:23]
	v_cmp_ne_u16_sdwa vcc, v18, v57 src0_sel:BYTE_0 src1_sel:DWORD
	s_and_saveexec_b64 s[22:23], vcc
	s_cbranch_execz .LBB4_136
; %bb.131:                              ;   in Loop: Header=BB4_124 Depth=2
	v_cmp_ne_u16_sdwa vcc, v18, s75 src0_sel:BYTE_0 src1_sel:DWORD
	v_bfrev_b32_e32 v0, 1
	s_and_saveexec_b64 s[56:57], vcc
	s_cbranch_execz .LBB4_135
; %bb.132:                              ;   in Loop: Header=BB4_124 Depth=2
	v_and_b32_e32 v2, 0x7f, v18
	v_cmp_ne_u32_e32 vcc, s76, v2
	v_mov_b32_e32 v0, 0x7f800001
	s_and_saveexec_b64 s[58:59], vcc
	s_cbranch_execz .LBB4_134
; %bb.133:                              ;   in Loop: Header=BB4_124 Depth=2
	v_and_b32_e32 v0, 7, v18
	v_ffbh_u32_e32 v0, v0
	v_min_u32_e32 v0, 32, v0
	v_subrev_u32_e32 v4, 28, v0
	v_cmp_gt_u32_e32 vcc, 8, v2
	v_lshrrev_b32_e32 v3, 3, v2
	v_sub_u32_e32 v0, 29, v0
	v_cndmask_b32_e32 v2, 0, v4, vcc
	v_cndmask_b32_e32 v0, v3, v0, vcc
	v_lshlrev_b64 v[2:3], v2, v[18:19]
	v_lshlrev_b32_e32 v2, 20, v2
	v_lshlrev_b32_e32 v3, 24, v18
	v_and_b32_e32 v2, 0x700000, v2
	v_and_b32_e32 v3, 0x80000000, v3
	v_lshl_add_u32 v0, v0, 23, v51
	v_or3_b32 v0, v3, v0, v2
.LBB4_134:                              ;   in Loop: Header=BB4_124 Depth=2
	s_or_b64 exec, exec, s[58:59]
.LBB4_135:                              ;   in Loop: Header=BB4_124 Depth=2
	s_or_b64 exec, exec, s[56:57]
.LBB4_136:                              ;   in Loop: Header=BB4_124 Depth=2
	s_or_b64 exec, exec, s[22:23]
	v_add_f32_e32 v1, v1, v0
	v_and_b32_sdwa v0, v1, s75 dst_sel:DWORD dst_unused:UNUSED_PAD src0_sel:BYTE_3 src1_sel:DWORD
	v_and_b32_e32 v4, 0x7f800000, v1
	v_mov_b32_e32 v5, v57
	v_and_b32_e32 v56, 0x7fffff, v1
	v_or_b32_e32 v3, 0x7e, v0
	v_cmp_ne_u64_e32 vcc, s[42:43], v[4:5]
	s_and_saveexec_b64 s[22:23], vcc
	s_xor_b64 s[56:57], exec, s[22:23]
	s_cbranch_execz .LBB4_146
; %bb.137:                              ;   in Loop: Header=BB4_124 Depth=2
	v_and_b32_e32 v4, 0x7fffffff, v1
	v_mov_b32_e32 v5, v57
	v_cmp_gt_u64_e32 vcc, s[44:45], v[4:5]
	s_and_saveexec_b64 s[58:59], vcc
	s_cbranch_execz .LBB4_145
; %bb.138:                              ;   in Loop: Header=BB4_124 Depth=2
	v_cmp_ne_u32_e32 vcc, 0, v1
	v_mov_b32_e32 v3, 0
	s_and_saveexec_b64 s[60:61], vcc
	s_cbranch_execz .LBB4_144
; %bb.139:                              ;   in Loop: Header=BB4_124 Depth=2
	v_bfe_u32 v1, v1, 23, 8
	v_sub_u32_e32 v3, 0x79, v1
	v_cmp_gt_u32_e32 vcc, s77, v1
	v_add_u32_e32 v2, 0xffffff81, v1
	v_cndmask_b32_e32 v3, 0, v3, vcc
	v_cmp_eq_u32_e32 vcc, 0, v1
	v_mov_b32_e32 v1, 0xffffff82
	v_cndmask_b32_e32 v1, v2, v1, vcc
	v_mov_b32_e32 v2, 0x78
	v_cndmask_b32_e32 v26, v3, v2, vcc
	v_add_u32_e32 v2, 20, v26
	v_or_b32_e32 v4, 0x800000, v56
	v_lshlrev_b64 v[2:3], v2, -1
	v_cndmask_b32_e32 v56, v4, v56, vcc
	v_not_b32_e32 v2, v2
	v_and_b32_e32 v4, v56, v2
	v_add_u32_e32 v2, 19, v26
	v_lshrrev_b64 v[8:9], v26, v[56:57]
	v_not_b32_e32 v3, v3
	v_lshlrev_b64 v[6:7], v2, 1
	v_lshrrev_b32_e32 v2, 23, v8
	v_and_b32_e32 v5, 0, v3
	v_add3_u32 v3, v26, v1, v2
	v_bfe_u32 v1, v8, 20, 1
	v_add_u32_e32 v1, -1, v1
	v_cmp_eq_u64_e32 vcc, v[4:5], v[6:7]
	v_cndmask_b32_e32 v1, 0, v1, vcc
	v_add_u32_e32 v1, v1, v8
	v_and_b32_e32 v1, 0xfffff, v1
	v_add_co_u32_e32 v54, vcc, v1, v8
	v_add_u32_e32 v2, 6, v3
	v_addc_co_u32_e32 v55, vcc, 0, v9, vcc
	v_cmp_ne_u32_e32 vcc, 0, v2
                                        ; implicit-def: $vgpr1
	s_and_saveexec_b64 s[22:23], vcc
	s_xor_b64 s[22:23], exec, s[22:23]
; %bb.140:                              ;   in Loop: Header=BB4_124 Depth=2
	v_add_u32_e32 v1, 7, v3
	v_cmp_lt_u64_e32 vcc, s[48:49], v[54:55]
	v_cndmask_b32_e32 v1, v2, v1, vcc
	v_cndmask_b32_e64 v2, 0, 1, vcc
	v_lshrrev_b64 v[54:55], v2, v[54:55]
; %bb.141:                              ;   in Loop: Header=BB4_124 Depth=2
	s_andn2_saveexec_b64 s[22:23], s[22:23]
; %bb.142:                              ;   in Loop: Header=BB4_124 Depth=2
	v_bfe_u32 v1, v54, 23, 1
; %bb.143:                              ;   in Loop: Header=BB4_124 Depth=2
	s_or_b64 exec, exec, s[22:23]
	v_lshrrev_b64 v[2:3], 20, v[54:55]
	v_cmp_gt_i32_e32 vcc, 16, v1
	v_cndmask_b32_e32 v3, 0, v3, vcc
	v_cndmask_b32_e32 v2, 7, v2, vcc
	v_cmp_eq_u32_e32 vcc, 0, v1
	v_min_i32_e32 v1, 15, v1
	v_cmp_eq_u64_e64 s[22:23], 0, v[2:3]
	v_lshlrev_b32_e32 v1, 3, v1
	v_and_or_b32 v1, v2, 7, v1
	s_and_b64 s[22:23], vcc, s[22:23]
	v_cndmask_b32_e64 v1, v1, 0, s[22:23]
	v_or_b32_e32 v3, v1, v0
.LBB4_144:                              ;   in Loop: Header=BB4_124 Depth=2
	s_or_b64 exec, exec, s[60:61]
.LBB4_145:                              ;   in Loop: Header=BB4_124 Depth=2
	s_or_b64 exec, exec, s[58:59]
                                        ; implicit-def: $vgpr1
.LBB4_146:                              ;   in Loop: Header=BB4_124 Depth=2
	s_andn2_saveexec_b64 s[22:23], s[56:57]
; %bb.147:                              ;   in Loop: Header=BB4_124 Depth=2
	v_or_b32_sdwa v0, v1, s76 dst_sel:DWORD dst_unused:UNUSED_PAD src0_sel:BYTE_3 src1_sel:DWORD
	v_cmp_eq_u64_e32 vcc, 0, v[56:57]
	v_cndmask_b32_e32 v3, v0, v3, vcc
; %bb.148:                              ;   in Loop: Header=BB4_124 Depth=2
	s_or_b64 exec, exec, s[22:23]
	v_lshrrev_b16_e32 v54, 8, v22
	v_cmp_ne_u16_e32 vcc, 0, v54
	v_mov_b32_e32 v0, 0
	v_mov_b32_e32 v1, 0
	s_and_saveexec_b64 s[22:23], vcc
	s_cbranch_execz .LBB4_154
; %bb.149:                              ;   in Loop: Header=BB4_124 Depth=2
	v_cmp_ne_u16_e32 vcc, s75, v54
	v_bfrev_b32_e32 v1, 1
	s_and_saveexec_b64 s[56:57], vcc
	s_cbranch_execz .LBB4_153
; %bb.150:                              ;   in Loop: Header=BB4_124 Depth=2
	v_and_b32_e32 v2, 0x7f, v54
	v_cmp_ne_u32_e32 vcc, s76, v2
	v_mov_b32_e32 v1, 0x7f800001
	s_and_saveexec_b64 s[58:59], vcc
	s_cbranch_execz .LBB4_152
; %bb.151:                              ;   in Loop: Header=BB4_124 Depth=2
	v_and_b32_e32 v1, 7, v54
	v_ffbh_u32_e32 v4, v1
	v_min_u32_e32 v7, 32, v4
	v_subrev_u32_e32 v4, 28, v7
	v_lshlrev_b64 v[4:5], v4, v[54:55]
	v_lshrrev_b32_e32 v6, 3, v2
	v_sub_u32_e32 v5, 29, v7
	v_and_b32_e32 v4, 7, v4
	v_cmp_gt_u32_e32 vcc, 8, v2
	v_cndmask_b32_e32 v2, v6, v5, vcc
	v_cndmask_b32_e32 v1, v1, v4, vcc
	v_lshlrev_b32_e32 v4, 16, v22
	v_lshlrev_b32_e32 v1, 20, v1
	v_and_b32_e32 v4, 0x80000000, v4
	v_lshl_add_u32 v2, v2, 23, v51
	v_or3_b32 v1, v4, v2, v1
.LBB4_152:                              ;   in Loop: Header=BB4_124 Depth=2
	s_or_b64 exec, exec, s[58:59]
.LBB4_153:                              ;   in Loop: Header=BB4_124 Depth=2
	s_or_b64 exec, exec, s[56:57]
.LBB4_154:                              ;   in Loop: Header=BB4_124 Depth=2
	s_or_b64 exec, exec, s[22:23]
	v_lshrrev_b16_e32 v54, 8, v18
	v_cmp_ne_u16_e32 vcc, 0, v54
	s_and_saveexec_b64 s[22:23], vcc
	s_cbranch_execz .LBB4_160
; %bb.155:                              ;   in Loop: Header=BB4_124 Depth=2
	v_cmp_ne_u16_e32 vcc, s75, v54
	v_bfrev_b32_e32 v0, 1
	s_and_saveexec_b64 s[56:57], vcc
	s_cbranch_execz .LBB4_159
; %bb.156:                              ;   in Loop: Header=BB4_124 Depth=2
	v_and_b32_e32 v2, 0x7f, v54
	v_cmp_ne_u32_e32 vcc, s76, v2
	v_mov_b32_e32 v0, 0x7f800001
	s_and_saveexec_b64 s[58:59], vcc
	s_cbranch_execz .LBB4_158
; %bb.157:                              ;   in Loop: Header=BB4_124 Depth=2
	v_and_b32_e32 v0, 7, v54
	v_ffbh_u32_e32 v4, v0
	v_min_u32_e32 v7, 32, v4
	v_subrev_u32_e32 v4, 28, v7
	v_lshlrev_b64 v[4:5], v4, v[54:55]
	v_lshrrev_b32_e32 v6, 3, v2
	v_sub_u32_e32 v5, 29, v7
	v_and_b32_e32 v4, 7, v4
	v_cmp_gt_u32_e32 vcc, 8, v2
	v_cndmask_b32_e32 v2, v6, v5, vcc
	v_cndmask_b32_e32 v0, v0, v4, vcc
	v_lshlrev_b32_e32 v4, 16, v18
	v_lshlrev_b32_e32 v0, 20, v0
	v_and_b32_e32 v4, 0x80000000, v4
	v_lshl_add_u32 v2, v2, 23, v51
	v_or3_b32 v0, v4, v2, v0
.LBB4_158:                              ;   in Loop: Header=BB4_124 Depth=2
	s_or_b64 exec, exec, s[58:59]
.LBB4_159:                              ;   in Loop: Header=BB4_124 Depth=2
	s_or_b64 exec, exec, s[56:57]
.LBB4_160:                              ;   in Loop: Header=BB4_124 Depth=2
	s_or_b64 exec, exec, s[22:23]
	v_add_f32_e32 v2, v1, v0
	v_and_b32_sdwa v1, v2, s75 dst_sel:DWORD dst_unused:UNUSED_PAD src0_sel:BYTE_3 src1_sel:DWORD
	v_and_b32_e32 v4, 0x7f800000, v2
	v_mov_b32_e32 v5, v57
	v_and_b32_e32 v56, 0x7fffff, v2
	v_or_b32_e32 v0, 0x7e, v1
	v_cmp_ne_u64_e32 vcc, s[42:43], v[4:5]
	s_and_saveexec_b64 s[22:23], vcc
	s_xor_b64 s[56:57], exec, s[22:23]
	s_cbranch_execz .LBB4_170
; %bb.161:                              ;   in Loop: Header=BB4_124 Depth=2
	v_and_b32_e32 v4, 0x7fffffff, v2
	v_mov_b32_e32 v5, v57
	v_cmp_gt_u64_e32 vcc, s[44:45], v[4:5]
	s_and_saveexec_b64 s[58:59], vcc
	s_cbranch_execz .LBB4_169
; %bb.162:                              ;   in Loop: Header=BB4_124 Depth=2
	v_cmp_ne_u32_e32 vcc, 0, v2
	v_mov_b32_e32 v0, 0
	s_and_saveexec_b64 s[60:61], vcc
	s_cbranch_execz .LBB4_168
; %bb.163:                              ;   in Loop: Header=BB4_124 Depth=2
	v_bfe_u32 v0, v2, 23, 8
	v_sub_u32_e32 v4, 0x79, v0
	v_cmp_gt_u32_e32 vcc, s77, v0
	v_add_u32_e32 v2, 0xffffff81, v0
	v_cndmask_b32_e32 v4, 0, v4, vcc
	v_cmp_eq_u32_e32 vcc, 0, v0
	v_mov_b32_e32 v0, 0xffffff82
	v_cndmask_b32_e32 v0, v2, v0, vcc
	v_mov_b32_e32 v2, 0x78
	v_cndmask_b32_e32 v2, v4, v2, vcc
	v_or_b32_e32 v5, 0x800000, v56
	v_add_u32_e32 v4, 20, v2
	v_cndmask_b32_e32 v56, v5, v56, vcc
	v_lshlrev_b64 v[4:5], v4, -1
	v_not_b32_e32 v4, v4
	v_and_b32_e32 v6, v56, v4
	v_add_u32_e32 v4, 19, v2
	v_lshrrev_b64 v[26:27], v2, v[56:57]
	v_not_b32_e32 v5, v5
	v_lshlrev_b64 v[8:9], v4, 1
	v_lshrrev_b32_e32 v4, 23, v26
	v_and_b32_e32 v7, 0, v5
	v_add3_u32 v4, v2, v0, v4
	v_bfe_u32 v0, v26, 20, 1
	v_add_u32_e32 v0, -1, v0
	v_cmp_eq_u64_e32 vcc, v[6:7], v[8:9]
	v_cndmask_b32_e32 v0, 0, v0, vcc
	v_add_u32_e32 v0, v0, v26
	v_and_b32_e32 v0, 0xfffff, v0
	v_add_co_u32_e32 v54, vcc, v0, v26
	v_add_u32_e32 v2, 6, v4
	v_addc_co_u32_e32 v55, vcc, 0, v27, vcc
	v_cmp_ne_u32_e32 vcc, 0, v2
                                        ; implicit-def: $vgpr0
	s_and_saveexec_b64 s[22:23], vcc
	s_xor_b64 s[22:23], exec, s[22:23]
; %bb.164:                              ;   in Loop: Header=BB4_124 Depth=2
	v_add_u32_e32 v0, 7, v4
	v_cmp_lt_u64_e32 vcc, s[48:49], v[54:55]
	v_cndmask_b32_e32 v0, v2, v0, vcc
	v_cndmask_b32_e64 v2, 0, 1, vcc
	v_lshrrev_b64 v[54:55], v2, v[54:55]
; %bb.165:                              ;   in Loop: Header=BB4_124 Depth=2
	s_andn2_saveexec_b64 s[22:23], s[22:23]
; %bb.166:                              ;   in Loop: Header=BB4_124 Depth=2
	v_bfe_u32 v0, v54, 23, 1
; %bb.167:                              ;   in Loop: Header=BB4_124 Depth=2
	s_or_b64 exec, exec, s[22:23]
	v_lshrrev_b64 v[4:5], 20, v[54:55]
	v_cmp_gt_i32_e32 vcc, 16, v0
	v_cndmask_b32_e32 v5, 0, v5, vcc
	v_cndmask_b32_e32 v4, 7, v4, vcc
	v_cmp_eq_u32_e32 vcc, 0, v0
	v_min_i32_e32 v0, 15, v0
	v_cmp_eq_u64_e64 s[22:23], 0, v[4:5]
	v_lshlrev_b32_e32 v0, 3, v0
	v_and_or_b32 v0, v4, 7, v0
	s_and_b64 s[22:23], vcc, s[22:23]
	v_cndmask_b32_e64 v0, v0, 0, s[22:23]
	v_or_b32_e32 v0, v0, v1
.LBB4_168:                              ;   in Loop: Header=BB4_124 Depth=2
	s_or_b64 exec, exec, s[60:61]
.LBB4_169:                              ;   in Loop: Header=BB4_124 Depth=2
	s_or_b64 exec, exec, s[58:59]
                                        ; implicit-def: $vgpr2
.LBB4_170:                              ;   in Loop: Header=BB4_124 Depth=2
	s_andn2_saveexec_b64 s[22:23], s[56:57]
; %bb.171:                              ;   in Loop: Header=BB4_124 Depth=2
	v_or_b32_sdwa v1, v2, s76 dst_sel:DWORD dst_unused:UNUSED_PAD src0_sel:BYTE_3 src1_sel:DWORD
	v_cmp_eq_u64_e32 vcc, 0, v[56:57]
	v_cndmask_b32_e32 v0, v1, v0, vcc
; %bb.172:                              ;   in Loop: Header=BB4_124 Depth=2
	s_or_b64 exec, exec, s[22:23]
	v_lshrrev_b32_e32 v54, 16, v22
	v_cmp_ne_u16_sdwa vcc, v54, v57 src0_sel:BYTE_0 src1_sel:DWORD
	v_mov_b32_e32 v1, 0
	v_mov_b32_e32 v2, 0
	s_and_saveexec_b64 s[22:23], vcc
	s_cbranch_execz .LBB4_178
; %bb.173:                              ;   in Loop: Header=BB4_124 Depth=2
	v_cmp_ne_u16_sdwa vcc, v54, s75 src0_sel:BYTE_0 src1_sel:DWORD
	v_bfrev_b32_e32 v2, 1
	s_and_saveexec_b64 s[56:57], vcc
	s_cbranch_execz .LBB4_177
; %bb.174:                              ;   in Loop: Header=BB4_124 Depth=2
	v_bfe_u32 v4, v22, 16, 7
	v_cmp_ne_u32_e32 vcc, s76, v4
	v_mov_b32_e32 v2, 0x7f800001
	s_and_saveexec_b64 s[58:59], vcc
	s_cbranch_execz .LBB4_176
; %bb.175:                              ;   in Loop: Header=BB4_124 Depth=2
	v_and_b32_e32 v2, 7, v54
	v_ffbh_u32_e32 v6, v2
	v_min_u32_e32 v8, 32, v6
	v_subrev_u32_e32 v6, 28, v8
	v_lshlrev_b64 v[6:7], v6, v[54:55]
	v_lshrrev_b32_e32 v5, 3, v4
	v_sub_u32_e32 v7, 29, v8
	v_and_b32_e32 v6, 7, v6
	v_cmp_gt_u32_e32 vcc, 8, v4
	v_cndmask_b32_e32 v4, v5, v7, vcc
	v_cndmask_b32_e32 v2, v2, v6, vcc
	v_lshlrev_b32_e32 v5, 24, v54
	v_lshlrev_b32_e32 v2, 20, v2
	v_and_b32_e32 v5, 0x80000000, v5
	v_lshl_add_u32 v4, v4, 23, v51
	v_or3_b32 v2, v5, v4, v2
.LBB4_176:                              ;   in Loop: Header=BB4_124 Depth=2
	s_or_b64 exec, exec, s[58:59]
.LBB4_177:                              ;   in Loop: Header=BB4_124 Depth=2
	s_or_b64 exec, exec, s[56:57]
.LBB4_178:                              ;   in Loop: Header=BB4_124 Depth=2
	s_or_b64 exec, exec, s[22:23]
	v_lshrrev_b32_e32 v54, 16, v18
	v_cmp_ne_u16_sdwa vcc, v54, v57 src0_sel:BYTE_0 src1_sel:DWORD
	s_and_saveexec_b64 s[22:23], vcc
	s_cbranch_execz .LBB4_184
; %bb.179:                              ;   in Loop: Header=BB4_124 Depth=2
	v_cmp_ne_u16_sdwa vcc, v54, s75 src0_sel:BYTE_0 src1_sel:DWORD
	v_bfrev_b32_e32 v1, 1
	s_and_saveexec_b64 s[56:57], vcc
	s_cbranch_execz .LBB4_183
; %bb.180:                              ;   in Loop: Header=BB4_124 Depth=2
	v_bfe_u32 v4, v18, 16, 7
	v_cmp_ne_u32_e32 vcc, s76, v4
	v_mov_b32_e32 v1, 0x7f800001
	s_and_saveexec_b64 s[58:59], vcc
	s_cbranch_execz .LBB4_182
; %bb.181:                              ;   in Loop: Header=BB4_124 Depth=2
	v_and_b32_e32 v1, 7, v54
	v_ffbh_u32_e32 v6, v1
	v_min_u32_e32 v8, 32, v6
	v_subrev_u32_e32 v6, 28, v8
	v_lshlrev_b64 v[6:7], v6, v[54:55]
	v_lshrrev_b32_e32 v5, 3, v4
	v_sub_u32_e32 v7, 29, v8
	v_and_b32_e32 v6, 7, v6
	v_cmp_gt_u32_e32 vcc, 8, v4
	v_cndmask_b32_e32 v4, v5, v7, vcc
	v_cndmask_b32_e32 v1, v1, v6, vcc
	v_lshlrev_b32_e32 v5, 8, v18
	v_lshlrev_b32_e32 v1, 20, v1
	v_and_b32_e32 v5, 0x80000000, v5
	v_lshl_add_u32 v4, v4, 23, v51
	v_or3_b32 v1, v5, v4, v1
.LBB4_182:                              ;   in Loop: Header=BB4_124 Depth=2
	s_or_b64 exec, exec, s[58:59]
.LBB4_183:                              ;   in Loop: Header=BB4_124 Depth=2
	s_or_b64 exec, exec, s[56:57]
.LBB4_184:                              ;   in Loop: Header=BB4_124 Depth=2
	s_or_b64 exec, exec, s[22:23]
	v_add_f32_e32 v4, v2, v1
	v_and_b32_sdwa v2, v4, s75 dst_sel:DWORD dst_unused:UNUSED_PAD src0_sel:BYTE_3 src1_sel:DWORD
	v_and_b32_e32 v6, 0x7f800000, v4
	v_mov_b32_e32 v7, v57
	v_and_b32_e32 v56, 0x7fffff, v4
	v_or_b32_e32 v1, 0x7e, v2
	v_cmp_ne_u64_e32 vcc, s[42:43], v[6:7]
	s_and_saveexec_b64 s[22:23], vcc
	s_xor_b64 s[56:57], exec, s[22:23]
	s_cbranch_execz .LBB4_194
; %bb.185:                              ;   in Loop: Header=BB4_124 Depth=2
	v_and_b32_e32 v6, 0x7fffffff, v4
	v_mov_b32_e32 v7, v57
	v_cmp_gt_u64_e32 vcc, s[44:45], v[6:7]
	s_and_saveexec_b64 s[58:59], vcc
	s_cbranch_execz .LBB4_193
; %bb.186:                              ;   in Loop: Header=BB4_124 Depth=2
	v_cmp_ne_u32_e32 vcc, 0, v4
	v_mov_b32_e32 v1, 0
	s_and_saveexec_b64 s[60:61], vcc
	s_cbranch_execz .LBB4_192
; %bb.187:                              ;   in Loop: Header=BB4_124 Depth=2
	v_bfe_u32 v1, v4, 23, 8
	v_sub_u32_e32 v5, 0x79, v1
	v_cmp_gt_u32_e32 vcc, s77, v1
	v_add_u32_e32 v4, 0xffffff81, v1
	v_cndmask_b32_e32 v5, 0, v5, vcc
	v_cmp_eq_u32_e32 vcc, 0, v1
	v_mov_b32_e32 v1, 0xffffff82
	v_cndmask_b32_e32 v1, v4, v1, vcc
	v_mov_b32_e32 v4, 0x78
	v_cndmask_b32_e32 v28, v5, v4, vcc
	v_add_u32_e32 v4, 20, v28
	v_or_b32_e32 v6, 0x800000, v56
	v_lshlrev_b64 v[4:5], v4, -1
	v_cndmask_b32_e32 v56, v6, v56, vcc
	v_not_b32_e32 v4, v4
	v_and_b32_e32 v6, v56, v4
	v_add_u32_e32 v4, 19, v28
	v_lshrrev_b64 v[26:27], v28, v[56:57]
	v_not_b32_e32 v5, v5
	v_lshlrev_b64 v[8:9], v4, 1
	v_lshrrev_b32_e32 v4, 23, v26
	v_and_b32_e32 v7, 0, v5
	v_add3_u32 v5, v28, v1, v4
	v_bfe_u32 v1, v26, 20, 1
	v_add_u32_e32 v1, -1, v1
	v_cmp_eq_u64_e32 vcc, v[6:7], v[8:9]
	v_cndmask_b32_e32 v1, 0, v1, vcc
	v_add_u32_e32 v1, v1, v26
	v_and_b32_e32 v1, 0xfffff, v1
	v_add_co_u32_e32 v54, vcc, v1, v26
	v_add_u32_e32 v4, 6, v5
	v_addc_co_u32_e32 v55, vcc, 0, v27, vcc
	v_cmp_ne_u32_e32 vcc, 0, v4
                                        ; implicit-def: $vgpr1
	s_and_saveexec_b64 s[22:23], vcc
	s_xor_b64 s[22:23], exec, s[22:23]
; %bb.188:                              ;   in Loop: Header=BB4_124 Depth=2
	v_add_u32_e32 v1, 7, v5
	v_cmp_lt_u64_e32 vcc, s[48:49], v[54:55]
	v_cndmask_b32_e32 v1, v4, v1, vcc
	v_cndmask_b32_e64 v4, 0, 1, vcc
	v_lshrrev_b64 v[54:55], v4, v[54:55]
; %bb.189:                              ;   in Loop: Header=BB4_124 Depth=2
	s_andn2_saveexec_b64 s[22:23], s[22:23]
; %bb.190:                              ;   in Loop: Header=BB4_124 Depth=2
	v_bfe_u32 v1, v54, 23, 1
; %bb.191:                              ;   in Loop: Header=BB4_124 Depth=2
	s_or_b64 exec, exec, s[22:23]
	v_lshrrev_b64 v[4:5], 20, v[54:55]
	v_cmp_gt_i32_e32 vcc, 16, v1
	v_cndmask_b32_e32 v5, 0, v5, vcc
	v_cndmask_b32_e32 v4, 7, v4, vcc
	v_cmp_eq_u32_e32 vcc, 0, v1
	v_min_i32_e32 v1, 15, v1
	v_cmp_eq_u64_e64 s[22:23], 0, v[4:5]
	v_lshlrev_b32_e32 v1, 3, v1
	v_and_or_b32 v1, v4, 7, v1
	s_and_b64 s[22:23], vcc, s[22:23]
	v_cndmask_b32_e64 v1, v1, 0, s[22:23]
	v_or_b32_e32 v1, v1, v2
.LBB4_192:                              ;   in Loop: Header=BB4_124 Depth=2
	s_or_b64 exec, exec, s[60:61]
.LBB4_193:                              ;   in Loop: Header=BB4_124 Depth=2
	s_or_b64 exec, exec, s[58:59]
                                        ; implicit-def: $vgpr4
.LBB4_194:                              ;   in Loop: Header=BB4_124 Depth=2
	s_andn2_saveexec_b64 s[22:23], s[56:57]
; %bb.195:                              ;   in Loop: Header=BB4_124 Depth=2
	v_or_b32_sdwa v2, v4, s76 dst_sel:DWORD dst_unused:UNUSED_PAD src0_sel:BYTE_3 src1_sel:DWORD
	v_cmp_eq_u64_e32 vcc, 0, v[56:57]
	v_cndmask_b32_e32 v1, v2, v1, vcc
; %bb.196:                              ;   in Loop: Header=BB4_124 Depth=2
	s_or_b64 exec, exec, s[22:23]
	v_cmp_lt_u32_e32 vcc, s47, v22
	v_mov_b32_e32 v2, 0
	v_mov_b32_e32 v4, 0
	s_and_saveexec_b64 s[22:23], vcc
	s_cbranch_execz .LBB4_202
; %bb.197:                              ;   in Loop: Header=BB4_124 Depth=2
	v_lshrrev_b32_e32 v54, 24, v22
	v_cmp_ne_u32_e32 vcc, s75, v54
	v_bfrev_b32_e32 v4, 1
	s_and_saveexec_b64 s[56:57], vcc
	s_cbranch_execz .LBB4_201
; %bb.198:                              ;   in Loop: Header=BB4_124 Depth=2
	v_bfe_u32 v5, v22, 24, 7
	v_cmp_ne_u32_e32 vcc, s76, v5
	v_mov_b32_e32 v4, 0x7f800001
	s_and_saveexec_b64 s[58:59], vcc
	s_cbranch_execz .LBB4_200
; %bb.199:                              ;   in Loop: Header=BB4_124 Depth=2
	v_and_b32_e32 v4, 7, v54
	v_ffbh_u32_e32 v6, v4
	v_min_u32_e32 v9, 32, v6
	v_subrev_u32_e32 v6, 28, v9
	v_lshlrev_b64 v[6:7], v6, v[54:55]
	v_lshrrev_b32_e32 v8, 3, v5
	v_sub_u32_e32 v7, 29, v9
	v_and_b32_e32 v6, 7, v6
	v_cmp_gt_u32_e32 vcc, 8, v5
	v_cndmask_b32_e32 v5, v8, v7, vcc
	v_cndmask_b32_e32 v4, v4, v6, vcc
	v_lshlrev_b32_e32 v6, 24, v54
	v_lshlrev_b32_e32 v4, 20, v4
	v_and_b32_e32 v6, 0x80000000, v6
	v_lshl_add_u32 v5, v5, 23, v51
	v_or3_b32 v4, v6, v5, v4
.LBB4_200:                              ;   in Loop: Header=BB4_124 Depth=2
	s_or_b64 exec, exec, s[58:59]
.LBB4_201:                              ;   in Loop: Header=BB4_124 Depth=2
	s_or_b64 exec, exec, s[56:57]
.LBB4_202:                              ;   in Loop: Header=BB4_124 Depth=2
	s_or_b64 exec, exec, s[22:23]
	v_cmp_lt_u32_e32 vcc, s47, v18
	s_and_saveexec_b64 s[22:23], vcc
	s_cbranch_execz .LBB4_208
; %bb.203:                              ;   in Loop: Header=BB4_124 Depth=2
	v_lshrrev_b32_e32 v54, 24, v18
	v_cmp_ne_u32_e32 vcc, s75, v54
	v_bfrev_b32_e32 v2, 1
	s_and_saveexec_b64 s[56:57], vcc
	s_cbranch_execz .LBB4_207
; %bb.204:                              ;   in Loop: Header=BB4_124 Depth=2
	v_bfe_u32 v5, v18, 24, 7
	v_cmp_ne_u32_e32 vcc, s76, v5
	v_mov_b32_e32 v2, 0x7f800001
	s_and_saveexec_b64 s[58:59], vcc
	s_cbranch_execz .LBB4_206
; %bb.205:                              ;   in Loop: Header=BB4_124 Depth=2
	v_and_b32_e32 v2, 7, v54
	v_ffbh_u32_e32 v6, v2
	v_min_u32_e32 v9, 32, v6
	v_subrev_u32_e32 v6, 28, v9
	v_lshlrev_b64 v[6:7], v6, v[54:55]
	v_lshrrev_b32_e32 v8, 3, v5
	v_sub_u32_e32 v7, 29, v9
	v_and_b32_e32 v6, 7, v6
	v_cmp_gt_u32_e32 vcc, 8, v5
	v_cndmask_b32_e32 v5, v8, v7, vcc
	v_cndmask_b32_e32 v2, v2, v6, vcc
	v_lshlrev_b32_e32 v6, 24, v54
	v_lshlrev_b32_e32 v2, 20, v2
	v_and_b32_e32 v6, 0x80000000, v6
	v_lshl_add_u32 v5, v5, 23, v51
	v_or3_b32 v2, v6, v5, v2
.LBB4_206:                              ;   in Loop: Header=BB4_124 Depth=2
	s_or_b64 exec, exec, s[58:59]
.LBB4_207:                              ;   in Loop: Header=BB4_124 Depth=2
	s_or_b64 exec, exec, s[56:57]
.LBB4_208:                              ;   in Loop: Header=BB4_124 Depth=2
	s_or_b64 exec, exec, s[22:23]
	v_add_f32_e32 v4, v4, v2
	v_and_b32_sdwa v2, v4, s75 dst_sel:DWORD dst_unused:UNUSED_PAD src0_sel:BYTE_3 src1_sel:DWORD
	v_and_b32_e32 v6, 0x7f800000, v4
	v_mov_b32_e32 v7, v57
	v_and_b32_e32 v56, 0x7fffff, v4
	v_or_b32_e32 v43, 0x7e, v2
	v_cmp_ne_u64_e32 vcc, s[42:43], v[6:7]
	s_and_saveexec_b64 s[22:23], vcc
	s_xor_b64 s[56:57], exec, s[22:23]
	s_cbranch_execz .LBB4_218
; %bb.209:                              ;   in Loop: Header=BB4_124 Depth=2
	v_and_b32_e32 v6, 0x7fffffff, v4
	v_mov_b32_e32 v7, v57
	v_cmp_gt_u64_e32 vcc, s[44:45], v[6:7]
	s_and_saveexec_b64 s[58:59], vcc
	s_cbranch_execz .LBB4_217
; %bb.210:                              ;   in Loop: Header=BB4_124 Depth=2
	v_cmp_ne_u32_e32 vcc, 0, v4
	v_mov_b32_e32 v43, 0
	s_and_saveexec_b64 s[60:61], vcc
	s_cbranch_execz .LBB4_216
; %bb.211:                              ;   in Loop: Header=BB4_124 Depth=2
	v_bfe_u32 v4, v4, 23, 8
	v_sub_u32_e32 v6, 0x79, v4
	v_cmp_gt_u32_e32 vcc, s77, v4
	v_add_u32_e32 v5, 0xffffff81, v4
	v_cndmask_b32_e32 v6, 0, v6, vcc
	v_cmp_eq_u32_e32 vcc, 0, v4
	v_mov_b32_e32 v4, 0xffffff82
	v_cndmask_b32_e32 v26, v5, v4, vcc
	v_mov_b32_e32 v4, 0x78
	v_cndmask_b32_e32 v27, v6, v4, vcc
	v_add_u32_e32 v4, 20, v27
	v_or_b32_e32 v7, 0x800000, v56
	v_lshlrev_b64 v[4:5], v4, -1
	v_cndmask_b32_e32 v56, v7, v56, vcc
	v_not_b32_e32 v4, v4
	v_and_b32_e32 v6, v56, v4
	v_add_u32_e32 v4, 19, v27
	v_lshrrev_b64 v[28:29], v27, v[56:57]
	v_not_b32_e32 v5, v5
	v_lshlrev_b64 v[8:9], v4, 1
	v_lshrrev_b32_e32 v4, 23, v28
	v_and_b32_e32 v7, 0, v5
	v_add3_u32 v26, v27, v26, v4
	v_bfe_u32 v4, v28, 20, 1
	v_add_u32_e32 v4, -1, v4
	v_cmp_eq_u64_e32 vcc, v[6:7], v[8:9]
	v_cndmask_b32_e32 v4, 0, v4, vcc
	v_add_u32_e32 v4, v4, v28
	v_and_b32_e32 v4, 0xfffff, v4
	v_add_co_u32_e32 v54, vcc, v4, v28
	v_add_u32_e32 v5, 6, v26
	v_addc_co_u32_e32 v55, vcc, 0, v29, vcc
	v_cmp_ne_u32_e32 vcc, 0, v5
                                        ; implicit-def: $vgpr4
	s_and_saveexec_b64 s[22:23], vcc
	s_xor_b64 s[22:23], exec, s[22:23]
; %bb.212:                              ;   in Loop: Header=BB4_124 Depth=2
	v_add_u32_e32 v4, 7, v26
	v_cmp_lt_u64_e32 vcc, s[48:49], v[54:55]
	v_cndmask_b32_e32 v4, v5, v4, vcc
	v_cndmask_b32_e64 v5, 0, 1, vcc
	v_lshrrev_b64 v[54:55], v5, v[54:55]
; %bb.213:                              ;   in Loop: Header=BB4_124 Depth=2
	s_andn2_saveexec_b64 s[22:23], s[22:23]
; %bb.214:                              ;   in Loop: Header=BB4_124 Depth=2
	v_bfe_u32 v4, v54, 23, 1
; %bb.215:                              ;   in Loop: Header=BB4_124 Depth=2
	s_or_b64 exec, exec, s[22:23]
	v_lshrrev_b64 v[6:7], 20, v[54:55]
	v_cmp_gt_i32_e32 vcc, 16, v4
	v_cndmask_b32_e32 v7, 0, v7, vcc
	v_cndmask_b32_e32 v6, 7, v6, vcc
	v_cmp_eq_u32_e32 vcc, 0, v4
	v_min_i32_e32 v4, 15, v4
	v_cmp_eq_u64_e64 s[22:23], 0, v[6:7]
	v_lshlrev_b32_e32 v4, 3, v4
	v_and_or_b32 v4, v6, 7, v4
	s_and_b64 s[22:23], vcc, s[22:23]
	v_cndmask_b32_e64 v4, v4, 0, s[22:23]
	v_or_b32_e32 v43, v4, v2
.LBB4_216:                              ;   in Loop: Header=BB4_124 Depth=2
	s_or_b64 exec, exec, s[60:61]
.LBB4_217:                              ;   in Loop: Header=BB4_124 Depth=2
	s_or_b64 exec, exec, s[58:59]
                                        ; implicit-def: $vgpr4
.LBB4_218:                              ;   in Loop: Header=BB4_124 Depth=2
	s_andn2_saveexec_b64 s[22:23], s[56:57]
; %bb.219:                              ;   in Loop: Header=BB4_124 Depth=2
	v_or_b32_sdwa v2, v4, s76 dst_sel:DWORD dst_unused:UNUSED_PAD src0_sel:BYTE_3 src1_sel:DWORD
	v_cmp_eq_u64_e32 vcc, 0, v[56:57]
	v_cndmask_b32_e32 v43, v2, v43, vcc
; %bb.220:                              ;   in Loop: Header=BB4_124 Depth=2
	s_or_b64 exec, exec, s[22:23]
	v_mov_b32_e32 v56, v23
	v_cmp_ne_u16_sdwa vcc, v23, v57 src0_sel:BYTE_0 src1_sel:DWORD
	v_mov_b32_e32 v4, 0
	v_mov_b32_e32 v2, 0
	s_and_saveexec_b64 s[22:23], vcc
	s_cbranch_execz .LBB4_226
; %bb.221:                              ;   in Loop: Header=BB4_124 Depth=2
	v_cmp_ne_u16_sdwa vcc, v23, s75 src0_sel:BYTE_0 src1_sel:DWORD
	v_bfrev_b32_e32 v2, 1
	s_and_saveexec_b64 s[56:57], vcc
	s_cbranch_execz .LBB4_225
; %bb.222:                              ;   in Loop: Header=BB4_124 Depth=2
	v_and_b32_e32 v5, 0x7f, v23
	v_cmp_ne_u32_e32 vcc, s76, v5
	v_mov_b32_e32 v2, 0x7f800001
	s_and_saveexec_b64 s[58:59], vcc
	s_cbranch_execz .LBB4_224
; %bb.223:                              ;   in Loop: Header=BB4_124 Depth=2
	v_and_b32_e32 v2, 7, v23
	v_ffbh_u32_e32 v2, v2
	v_min_u32_e32 v2, 32, v2
	v_subrev_u32_e32 v7, 28, v2
	v_cmp_gt_u32_e32 vcc, 8, v5
	v_lshrrev_b32_e32 v6, 3, v5
	v_sub_u32_e32 v2, 29, v2
	v_cndmask_b32_e32 v5, 0, v7, vcc
	v_cndmask_b32_e32 v2, v6, v2, vcc
	v_lshlrev_b64 v[6:7], v5, v[56:57]
	v_lshlrev_b32_e32 v5, 20, v6
	v_lshlrev_b32_e32 v6, 24, v56
	v_and_b32_e32 v5, 0x700000, v5
	v_and_b32_e32 v6, 0x80000000, v6
	v_lshl_add_u32 v2, v2, 23, v51
	v_or3_b32 v2, v6, v2, v5
.LBB4_224:                              ;   in Loop: Header=BB4_124 Depth=2
	s_or_b64 exec, exec, s[58:59]
.LBB4_225:                              ;   in Loop: Header=BB4_124 Depth=2
	s_or_b64 exec, exec, s[56:57]
.LBB4_226:                              ;   in Loop: Header=BB4_124 Depth=2
	s_or_b64 exec, exec, s[22:23]
	v_cmp_ne_u16_sdwa vcc, v19, v57 src0_sel:BYTE_0 src1_sel:DWORD
	s_and_saveexec_b64 s[22:23], vcc
	s_cbranch_execz .LBB4_232
; %bb.227:                              ;   in Loop: Header=BB4_124 Depth=2
	v_cmp_ne_u16_sdwa vcc, v19, s75 src0_sel:BYTE_0 src1_sel:DWORD
	v_bfrev_b32_e32 v4, 1
	s_and_saveexec_b64 s[56:57], vcc
	s_cbranch_execz .LBB4_231
; %bb.228:                              ;   in Loop: Header=BB4_124 Depth=2
	v_and_b32_e32 v5, 0x7f, v19
	v_cmp_ne_u32_e32 vcc, s76, v5
	v_mov_b32_e32 v4, 0x7f800001
	s_and_saveexec_b64 s[58:59], vcc
	s_cbranch_execz .LBB4_230
; %bb.229:                              ;   in Loop: Header=BB4_124 Depth=2
	v_and_b32_e32 v4, 7, v19
	v_ffbh_u32_e32 v4, v4
	v_min_u32_e32 v4, 32, v4
	v_lshrrev_b32_e32 v8, 3, v5
	v_subrev_u32_e32 v9, 28, v4
	v_sub_u32_e32 v4, 29, v4
	v_cmp_gt_u32_e32 vcc, 8, v5
	v_mov_b32_e32 v6, v19
	v_mov_b32_e32 v7, v57
	v_cndmask_b32_e32 v8, v8, v4, vcc
	v_cndmask_b32_e32 v4, 0, v9, vcc
	v_lshlrev_b64 v[4:5], v4, v[6:7]
	v_lshlrev_b32_e32 v4, 20, v4
	v_lshlrev_b32_e32 v5, 24, v6
	v_and_b32_e32 v4, 0x700000, v4
	v_and_b32_e32 v5, 0x80000000, v5
	v_lshl_add_u32 v6, v8, 23, v51
	v_or3_b32 v4, v5, v6, v4
.LBB4_230:                              ;   in Loop: Header=BB4_124 Depth=2
	s_or_b64 exec, exec, s[58:59]
.LBB4_231:                              ;   in Loop: Header=BB4_124 Depth=2
	s_or_b64 exec, exec, s[56:57]
.LBB4_232:                              ;   in Loop: Header=BB4_124 Depth=2
	s_or_b64 exec, exec, s[22:23]
	v_add_f32_e32 v4, v2, v4
	v_and_b32_sdwa v2, v4, s75 dst_sel:DWORD dst_unused:UNUSED_PAD src0_sel:BYTE_3 src1_sel:DWORD
	v_and_b32_e32 v6, 0x7f800000, v4
	v_mov_b32_e32 v7, v57
	v_and_b32_e32 v54, 0x7fffff, v4
	v_mov_b32_e32 v55, v57
	v_or_b32_e32 v34, 0x7e, v2
	v_cmp_ne_u64_e32 vcc, s[42:43], v[6:7]
	s_and_saveexec_b64 s[22:23], vcc
	s_xor_b64 s[56:57], exec, s[22:23]
	s_cbranch_execz .LBB4_242
; %bb.233:                              ;   in Loop: Header=BB4_124 Depth=2
	v_and_b32_e32 v6, 0x7fffffff, v4
	v_mov_b32_e32 v7, v57
	v_cmp_gt_u64_e32 vcc, s[44:45], v[6:7]
	s_and_saveexec_b64 s[58:59], vcc
	s_cbranch_execz .LBB4_241
; %bb.234:                              ;   in Loop: Header=BB4_124 Depth=2
	v_cmp_ne_u32_e32 vcc, 0, v4
	v_mov_b32_e32 v34, 0
	s_and_saveexec_b64 s[60:61], vcc
	s_cbranch_execz .LBB4_240
; %bb.235:                              ;   in Loop: Header=BB4_124 Depth=2
	v_bfe_u32 v4, v4, 23, 8
	v_sub_u32_e32 v6, 0x79, v4
	v_cmp_gt_u32_e32 vcc, s77, v4
	v_add_u32_e32 v5, 0xffffff81, v4
	v_cndmask_b32_e32 v6, 0, v6, vcc
	v_cmp_eq_u32_e32 vcc, 0, v4
	v_mov_b32_e32 v4, 0xffffff82
	v_cndmask_b32_e32 v26, v5, v4, vcc
	v_mov_b32_e32 v4, 0x78
	v_cndmask_b32_e32 v27, v6, v4, vcc
	v_add_u32_e32 v4, 20, v27
	v_or_b32_e32 v7, 0x800000, v54
	v_lshlrev_b64 v[4:5], v4, -1
	v_cndmask_b32_e32 v54, v7, v54, vcc
	v_not_b32_e32 v4, v4
	v_and_b32_e32 v6, v54, v4
	v_add_u32_e32 v4, 19, v27
	v_lshrrev_b64 v[28:29], v27, v[54:55]
	v_not_b32_e32 v5, v5
	v_lshlrev_b64 v[8:9], v4, 1
	v_lshrrev_b32_e32 v4, 23, v28
	v_and_b32_e32 v7, 0, v5
	v_add3_u32 v26, v27, v26, v4
	v_bfe_u32 v4, v28, 20, 1
	v_add_u32_e32 v4, -1, v4
	v_cmp_eq_u64_e32 vcc, v[6:7], v[8:9]
	v_cndmask_b32_e32 v4, 0, v4, vcc
	v_add_u32_e32 v4, v4, v28
	v_and_b32_e32 v4, 0xfffff, v4
	v_add_co_u32_e32 v54, vcc, v4, v28
	v_add_u32_e32 v5, 6, v26
	v_addc_co_u32_e32 v55, vcc, 0, v29, vcc
	v_cmp_ne_u32_e32 vcc, 0, v5
                                        ; implicit-def: $vgpr4
	s_and_saveexec_b64 s[22:23], vcc
	s_xor_b64 s[22:23], exec, s[22:23]
; %bb.236:                              ;   in Loop: Header=BB4_124 Depth=2
	v_add_u32_e32 v4, 7, v26
	v_cmp_lt_u64_e32 vcc, s[48:49], v[54:55]
	v_cndmask_b32_e32 v4, v5, v4, vcc
	v_cndmask_b32_e64 v5, 0, 1, vcc
	v_lshrrev_b64 v[54:55], v5, v[54:55]
; %bb.237:                              ;   in Loop: Header=BB4_124 Depth=2
	s_andn2_saveexec_b64 s[22:23], s[22:23]
; %bb.238:                              ;   in Loop: Header=BB4_124 Depth=2
	v_bfe_u32 v4, v54, 23, 1
; %bb.239:                              ;   in Loop: Header=BB4_124 Depth=2
	s_or_b64 exec, exec, s[22:23]
	v_lshrrev_b64 v[6:7], 20, v[54:55]
	v_cmp_gt_i32_e32 vcc, 16, v4
	v_cndmask_b32_e32 v7, 0, v7, vcc
	v_cndmask_b32_e32 v6, 7, v6, vcc
	v_cmp_eq_u32_e32 vcc, 0, v4
	v_min_i32_e32 v4, 15, v4
	v_cmp_eq_u64_e64 s[22:23], 0, v[6:7]
	v_lshlrev_b32_e32 v4, 3, v4
	v_and_or_b32 v4, v6, 7, v4
	s_and_b64 s[22:23], vcc, s[22:23]
	v_cndmask_b32_e64 v4, v4, 0, s[22:23]
	v_or_b32_e32 v34, v4, v2
.LBB4_240:                              ;   in Loop: Header=BB4_124 Depth=2
	s_or_b64 exec, exec, s[60:61]
.LBB4_241:                              ;   in Loop: Header=BB4_124 Depth=2
	s_or_b64 exec, exec, s[58:59]
                                        ; implicit-def: $vgpr4
                                        ; implicit-def: $vgpr54_vgpr55
.LBB4_242:                              ;   in Loop: Header=BB4_124 Depth=2
	s_andn2_saveexec_b64 s[22:23], s[56:57]
; %bb.243:                              ;   in Loop: Header=BB4_124 Depth=2
	v_or_b32_sdwa v2, v4, s76 dst_sel:DWORD dst_unused:UNUSED_PAD src0_sel:BYTE_3 src1_sel:DWORD
	v_cmp_eq_u64_e32 vcc, 0, v[54:55]
	v_cndmask_b32_e32 v34, v2, v34, vcc
; %bb.244:                              ;   in Loop: Header=BB4_124 Depth=2
	s_or_b64 exec, exec, s[22:23]
	v_lshrrev_b16_e32 v54, 8, v56
	v_cmp_ne_u16_e32 vcc, 0, v54
	v_mov_b32_e32 v2, 0
	v_mov_b32_e32 v4, 0
	s_and_saveexec_b64 s[22:23], vcc
	s_cbranch_execz .LBB4_250
; %bb.245:                              ;   in Loop: Header=BB4_124 Depth=2
	v_cmp_ne_u16_e32 vcc, s75, v54
	v_bfrev_b32_e32 v4, 1
	s_and_saveexec_b64 s[56:57], vcc
	s_cbranch_execz .LBB4_249
; %bb.246:                              ;   in Loop: Header=BB4_124 Depth=2
	v_and_b32_e32 v5, 0x7f, v54
	v_cmp_ne_u32_e32 vcc, s76, v5
	v_mov_b32_e32 v4, 0x7f800001
	s_and_saveexec_b64 s[58:59], vcc
	s_cbranch_execz .LBB4_248
; %bb.247:                              ;   in Loop: Header=BB4_124 Depth=2
	v_and_b32_e32 v4, 7, v54
	v_ffbh_u32_e32 v6, v4
	v_min_u32_e32 v9, 32, v6
	v_subrev_u32_e32 v6, 28, v9
	v_lshlrev_b64 v[6:7], v6, v[54:55]
	v_lshrrev_b32_e32 v8, 3, v5
	v_sub_u32_e32 v7, 29, v9
	v_and_b32_e32 v6, 7, v6
	v_cmp_gt_u32_e32 vcc, 8, v5
	v_cndmask_b32_e32 v5, v8, v7, vcc
	v_cndmask_b32_e32 v4, v4, v6, vcc
	v_lshlrev_b32_e32 v6, 16, v56
	v_lshlrev_b32_e32 v4, 20, v4
	v_and_b32_e32 v6, 0x80000000, v6
	v_lshl_add_u32 v5, v5, 23, v51
	v_or3_b32 v4, v6, v5, v4
.LBB4_248:                              ;   in Loop: Header=BB4_124 Depth=2
	s_or_b64 exec, exec, s[58:59]
.LBB4_249:                              ;   in Loop: Header=BB4_124 Depth=2
	s_or_b64 exec, exec, s[56:57]
.LBB4_250:                              ;   in Loop: Header=BB4_124 Depth=2
	s_or_b64 exec, exec, s[22:23]
	v_mov_b32_e32 v54, v19
	v_lshrrev_b16_e32 v56, 8, v54
	v_cmp_ne_u16_e32 vcc, 0, v56
	s_and_saveexec_b64 s[22:23], vcc
	s_cbranch_execz .LBB4_256
; %bb.251:                              ;   in Loop: Header=BB4_124 Depth=2
	v_cmp_ne_u16_e32 vcc, s75, v56
	v_bfrev_b32_e32 v2, 1
	s_and_saveexec_b64 s[56:57], vcc
	s_cbranch_execz .LBB4_255
; %bb.252:                              ;   in Loop: Header=BB4_124 Depth=2
	v_and_b32_e32 v5, 0x7f, v56
	v_cmp_ne_u32_e32 vcc, s76, v5
	v_mov_b32_e32 v2, 0x7f800001
	s_and_saveexec_b64 s[58:59], vcc
	s_cbranch_execz .LBB4_254
; %bb.253:                              ;   in Loop: Header=BB4_124 Depth=2
	v_and_b32_e32 v2, 7, v56
	v_ffbh_u32_e32 v6, v2
	v_min_u32_e32 v9, 32, v6
	v_subrev_u32_e32 v6, 28, v9
	v_lshlrev_b64 v[6:7], v6, v[56:57]
	v_lshrrev_b32_e32 v8, 3, v5
	v_sub_u32_e32 v7, 29, v9
	v_and_b32_e32 v6, 7, v6
	v_cmp_gt_u32_e32 vcc, 8, v5
	v_cndmask_b32_e32 v5, v8, v7, vcc
	v_cndmask_b32_e32 v2, v2, v6, vcc
	v_lshlrev_b32_e32 v6, 16, v54
	v_lshlrev_b32_e32 v2, 20, v2
	v_and_b32_e32 v6, 0x80000000, v6
	v_lshl_add_u32 v5, v5, 23, v51
	v_or3_b32 v2, v6, v5, v2
.LBB4_254:                              ;   in Loop: Header=BB4_124 Depth=2
	s_or_b64 exec, exec, s[58:59]
.LBB4_255:                              ;   in Loop: Header=BB4_124 Depth=2
	s_or_b64 exec, exec, s[56:57]
.LBB4_256:                              ;   in Loop: Header=BB4_124 Depth=2
	s_or_b64 exec, exec, s[22:23]
	v_add_f32_e32 v4, v4, v2
	v_and_b32_sdwa v2, v4, s75 dst_sel:DWORD dst_unused:UNUSED_PAD src0_sel:BYTE_3 src1_sel:DWORD
	v_and_b32_e32 v6, 0x7f800000, v4
	v_mov_b32_e32 v7, v57
	v_and_b32_e32 v56, 0x7fffff, v4
	v_or_b32_e32 v35, 0x7e, v2
	v_cmp_ne_u64_e32 vcc, s[42:43], v[6:7]
	s_and_saveexec_b64 s[22:23], vcc
	s_xor_b64 s[56:57], exec, s[22:23]
	s_cbranch_execz .LBB4_266
; %bb.257:                              ;   in Loop: Header=BB4_124 Depth=2
	v_and_b32_e32 v6, 0x7fffffff, v4
	v_mov_b32_e32 v7, v57
	v_cmp_gt_u64_e32 vcc, s[44:45], v[6:7]
	s_and_saveexec_b64 s[58:59], vcc
	s_cbranch_execz .LBB4_265
; %bb.258:                              ;   in Loop: Header=BB4_124 Depth=2
	v_cmp_ne_u32_e32 vcc, 0, v4
	v_mov_b32_e32 v35, 0
	s_and_saveexec_b64 s[60:61], vcc
	s_cbranch_execz .LBB4_264
; %bb.259:                              ;   in Loop: Header=BB4_124 Depth=2
	v_bfe_u32 v4, v4, 23, 8
	v_sub_u32_e32 v6, 0x79, v4
	v_cmp_gt_u32_e32 vcc, s77, v4
	v_add_u32_e32 v5, 0xffffff81, v4
	v_cndmask_b32_e32 v6, 0, v6, vcc
	v_cmp_eq_u32_e32 vcc, 0, v4
	v_mov_b32_e32 v4, 0xffffff82
	v_cndmask_b32_e32 v26, v5, v4, vcc
	v_mov_b32_e32 v4, 0x78
	v_cndmask_b32_e32 v27, v6, v4, vcc
	v_add_u32_e32 v4, 20, v27
	v_or_b32_e32 v7, 0x800000, v56
	v_lshlrev_b64 v[4:5], v4, -1
	v_cndmask_b32_e32 v56, v7, v56, vcc
	v_not_b32_e32 v4, v4
	v_and_b32_e32 v6, v56, v4
	v_add_u32_e32 v4, 19, v27
	v_lshrrev_b64 v[28:29], v27, v[56:57]
	v_not_b32_e32 v5, v5
	v_lshlrev_b64 v[8:9], v4, 1
	v_lshrrev_b32_e32 v4, 23, v28
	v_and_b32_e32 v7, 0, v5
	v_add3_u32 v26, v27, v26, v4
	v_bfe_u32 v4, v28, 20, 1
	v_add_u32_e32 v4, -1, v4
	v_cmp_eq_u64_e32 vcc, v[6:7], v[8:9]
	v_cndmask_b32_e32 v4, 0, v4, vcc
	v_add_u32_e32 v4, v4, v28
	v_and_b32_e32 v4, 0xfffff, v4
	v_add_co_u32_e32 v54, vcc, v4, v28
	v_add_u32_e32 v5, 6, v26
	v_addc_co_u32_e32 v55, vcc, 0, v29, vcc
	v_cmp_ne_u32_e32 vcc, 0, v5
                                        ; implicit-def: $vgpr4
	s_and_saveexec_b64 s[22:23], vcc
	s_xor_b64 s[22:23], exec, s[22:23]
; %bb.260:                              ;   in Loop: Header=BB4_124 Depth=2
	v_add_u32_e32 v4, 7, v26
	v_cmp_lt_u64_e32 vcc, s[48:49], v[54:55]
	v_cndmask_b32_e32 v4, v5, v4, vcc
	v_cndmask_b32_e64 v5, 0, 1, vcc
	v_lshrrev_b64 v[54:55], v5, v[54:55]
; %bb.261:                              ;   in Loop: Header=BB4_124 Depth=2
	s_andn2_saveexec_b64 s[22:23], s[22:23]
; %bb.262:                              ;   in Loop: Header=BB4_124 Depth=2
	v_bfe_u32 v4, v54, 23, 1
; %bb.263:                              ;   in Loop: Header=BB4_124 Depth=2
	s_or_b64 exec, exec, s[22:23]
	v_lshrrev_b64 v[6:7], 20, v[54:55]
	v_cmp_gt_i32_e32 vcc, 16, v4
	v_cndmask_b32_e32 v7, 0, v7, vcc
	v_cndmask_b32_e32 v6, 7, v6, vcc
	v_cmp_eq_u32_e32 vcc, 0, v4
	v_min_i32_e32 v4, 15, v4
	v_cmp_eq_u64_e64 s[22:23], 0, v[6:7]
	v_lshlrev_b32_e32 v4, 3, v4
	v_and_or_b32 v4, v6, 7, v4
	s_and_b64 s[22:23], vcc, s[22:23]
	v_cndmask_b32_e64 v4, v4, 0, s[22:23]
	v_or_b32_e32 v35, v4, v2
.LBB4_264:                              ;   in Loop: Header=BB4_124 Depth=2
	s_or_b64 exec, exec, s[60:61]
.LBB4_265:                              ;   in Loop: Header=BB4_124 Depth=2
	s_or_b64 exec, exec, s[58:59]
                                        ; implicit-def: $vgpr4
.LBB4_266:                              ;   in Loop: Header=BB4_124 Depth=2
	s_andn2_saveexec_b64 s[22:23], s[56:57]
; %bb.267:                              ;   in Loop: Header=BB4_124 Depth=2
	v_or_b32_sdwa v2, v4, s76 dst_sel:DWORD dst_unused:UNUSED_PAD src0_sel:BYTE_3 src1_sel:DWORD
	v_cmp_eq_u64_e32 vcc, 0, v[56:57]
	v_cndmask_b32_e32 v35, v2, v35, vcc
; %bb.268:                              ;   in Loop: Header=BB4_124 Depth=2
	s_or_b64 exec, exec, s[22:23]
	v_lshrrev_b32_e32 v54, 16, v23
	v_cmp_ne_u16_sdwa vcc, v54, v57 src0_sel:BYTE_0 src1_sel:DWORD
	v_mov_b32_e32 v2, 0
	v_mov_b32_e32 v4, 0
	s_and_saveexec_b64 s[22:23], vcc
	s_cbranch_execz .LBB4_274
; %bb.269:                              ;   in Loop: Header=BB4_124 Depth=2
	v_cmp_ne_u16_sdwa vcc, v54, s75 src0_sel:BYTE_0 src1_sel:DWORD
	v_bfrev_b32_e32 v4, 1
	s_and_saveexec_b64 s[56:57], vcc
	s_cbranch_execz .LBB4_273
; %bb.270:                              ;   in Loop: Header=BB4_124 Depth=2
	v_bfe_u32 v5, v23, 16, 7
	v_cmp_ne_u32_e32 vcc, s76, v5
	v_mov_b32_e32 v4, 0x7f800001
	s_and_saveexec_b64 s[58:59], vcc
	s_cbranch_execz .LBB4_272
; %bb.271:                              ;   in Loop: Header=BB4_124 Depth=2
	v_and_b32_e32 v4, 7, v54
	v_ffbh_u32_e32 v6, v4
	v_min_u32_e32 v9, 32, v6
	v_subrev_u32_e32 v6, 28, v9
	v_lshlrev_b64 v[6:7], v6, v[54:55]
	v_lshrrev_b32_e32 v8, 3, v5
	v_sub_u32_e32 v7, 29, v9
	v_and_b32_e32 v6, 7, v6
	v_cmp_gt_u32_e32 vcc, 8, v5
	v_cndmask_b32_e32 v5, v8, v7, vcc
	v_cndmask_b32_e32 v4, v4, v6, vcc
	v_lshlrev_b32_e32 v6, 24, v54
	v_lshlrev_b32_e32 v4, 20, v4
	v_and_b32_e32 v6, 0x80000000, v6
	v_lshl_add_u32 v5, v5, 23, v51
	v_or3_b32 v4, v6, v5, v4
.LBB4_272:                              ;   in Loop: Header=BB4_124 Depth=2
	s_or_b64 exec, exec, s[58:59]
.LBB4_273:                              ;   in Loop: Header=BB4_124 Depth=2
	s_or_b64 exec, exec, s[56:57]
.LBB4_274:                              ;   in Loop: Header=BB4_124 Depth=2
	s_or_b64 exec, exec, s[22:23]
	v_lshrrev_b32_e32 v54, 16, v19
	v_cmp_ne_u16_sdwa vcc, v54, v57 src0_sel:BYTE_0 src1_sel:DWORD
	s_and_saveexec_b64 s[22:23], vcc
	s_cbranch_execz .LBB4_280
; %bb.275:                              ;   in Loop: Header=BB4_124 Depth=2
	v_cmp_ne_u16_sdwa vcc, v54, s75 src0_sel:BYTE_0 src1_sel:DWORD
	v_bfrev_b32_e32 v2, 1
	s_and_saveexec_b64 s[56:57], vcc
	s_cbranch_execz .LBB4_279
; %bb.276:                              ;   in Loop: Header=BB4_124 Depth=2
	v_bfe_u32 v5, v19, 16, 7
	v_cmp_ne_u32_e32 vcc, s76, v5
	v_mov_b32_e32 v2, 0x7f800001
	s_and_saveexec_b64 s[58:59], vcc
	s_cbranch_execz .LBB4_278
; %bb.277:                              ;   in Loop: Header=BB4_124 Depth=2
	v_and_b32_e32 v2, 7, v54
	v_ffbh_u32_e32 v6, v2
	v_min_u32_e32 v9, 32, v6
	v_subrev_u32_e32 v6, 28, v9
	v_lshlrev_b64 v[6:7], v6, v[54:55]
	v_lshrrev_b32_e32 v8, 3, v5
	v_sub_u32_e32 v7, 29, v9
	v_and_b32_e32 v6, 7, v6
	v_cmp_gt_u32_e32 vcc, 8, v5
	v_cndmask_b32_e32 v5, v8, v7, vcc
	v_cndmask_b32_e32 v2, v2, v6, vcc
	v_lshlrev_b32_e32 v6, 8, v19
	v_lshlrev_b32_e32 v2, 20, v2
	v_and_b32_e32 v6, 0x80000000, v6
	v_lshl_add_u32 v5, v5, 23, v51
	v_or3_b32 v2, v6, v5, v2
.LBB4_278:                              ;   in Loop: Header=BB4_124 Depth=2
	s_or_b64 exec, exec, s[58:59]
.LBB4_279:                              ;   in Loop: Header=BB4_124 Depth=2
	s_or_b64 exec, exec, s[56:57]
.LBB4_280:                              ;   in Loop: Header=BB4_124 Depth=2
	s_or_b64 exec, exec, s[22:23]
	v_add_f32_e32 v4, v4, v2
	v_and_b32_sdwa v2, v4, s75 dst_sel:DWORD dst_unused:UNUSED_PAD src0_sel:BYTE_3 src1_sel:DWORD
	v_and_b32_e32 v6, 0x7f800000, v4
	v_mov_b32_e32 v7, v57
	v_and_b32_e32 v56, 0x7fffff, v4
	v_or_b32_e32 v54, 0x7e, v2
	v_cmp_ne_u64_e32 vcc, s[42:43], v[6:7]
	s_and_saveexec_b64 s[22:23], vcc
	s_xor_b64 s[56:57], exec, s[22:23]
	s_cbranch_execz .LBB4_290
; %bb.281:                              ;   in Loop: Header=BB4_124 Depth=2
	v_and_b32_e32 v6, 0x7fffffff, v4
	v_mov_b32_e32 v7, v57
	v_cmp_gt_u64_e32 vcc, s[44:45], v[6:7]
	s_and_saveexec_b64 s[58:59], vcc
	s_cbranch_execz .LBB4_289
; %bb.282:                              ;   in Loop: Header=BB4_124 Depth=2
	v_cmp_ne_u32_e32 vcc, 0, v4
	v_mov_b32_e32 v54, 0
	s_and_saveexec_b64 s[60:61], vcc
	s_cbranch_execz .LBB4_288
; %bb.283:                              ;   in Loop: Header=BB4_124 Depth=2
	v_bfe_u32 v4, v4, 23, 8
	v_sub_u32_e32 v6, 0x79, v4
	v_cmp_gt_u32_e32 vcc, s77, v4
	v_add_u32_e32 v5, 0xffffff81, v4
	v_cndmask_b32_e32 v6, 0, v6, vcc
	v_cmp_eq_u32_e32 vcc, 0, v4
	v_mov_b32_e32 v4, 0xffffff82
	v_cndmask_b32_e32 v26, v5, v4, vcc
	v_mov_b32_e32 v4, 0x78
	v_cndmask_b32_e32 v27, v6, v4, vcc
	v_add_u32_e32 v4, 20, v27
	v_or_b32_e32 v7, 0x800000, v56
	v_lshlrev_b64 v[4:5], v4, -1
	v_cndmask_b32_e32 v56, v7, v56, vcc
	v_not_b32_e32 v4, v4
	v_and_b32_e32 v6, v56, v4
	v_add_u32_e32 v4, 19, v27
	v_lshrrev_b64 v[28:29], v27, v[56:57]
	v_not_b32_e32 v5, v5
	v_lshlrev_b64 v[8:9], v4, 1
	v_lshrrev_b32_e32 v4, 23, v28
	v_and_b32_e32 v7, 0, v5
	v_add3_u32 v26, v27, v26, v4
	v_bfe_u32 v4, v28, 20, 1
	v_add_u32_e32 v4, -1, v4
	v_cmp_eq_u64_e32 vcc, v[6:7], v[8:9]
	v_cndmask_b32_e32 v4, 0, v4, vcc
	v_add_u32_e32 v4, v4, v28
	v_and_b32_e32 v4, 0xfffff, v4
	v_add_co_u32_e32 v54, vcc, v4, v28
	v_add_u32_e32 v5, 6, v26
	v_addc_co_u32_e32 v55, vcc, 0, v29, vcc
	v_cmp_ne_u32_e32 vcc, 0, v5
                                        ; implicit-def: $vgpr4
	s_and_saveexec_b64 s[22:23], vcc
	s_xor_b64 s[22:23], exec, s[22:23]
; %bb.284:                              ;   in Loop: Header=BB4_124 Depth=2
	v_add_u32_e32 v4, 7, v26
	v_cmp_lt_u64_e32 vcc, s[48:49], v[54:55]
	v_cndmask_b32_e32 v4, v5, v4, vcc
	v_cndmask_b32_e64 v5, 0, 1, vcc
	v_lshrrev_b64 v[54:55], v5, v[54:55]
; %bb.285:                              ;   in Loop: Header=BB4_124 Depth=2
	s_andn2_saveexec_b64 s[22:23], s[22:23]
; %bb.286:                              ;   in Loop: Header=BB4_124 Depth=2
	v_bfe_u32 v4, v54, 23, 1
; %bb.287:                              ;   in Loop: Header=BB4_124 Depth=2
	s_or_b64 exec, exec, s[22:23]
	v_lshrrev_b64 v[6:7], 20, v[54:55]
	v_cmp_gt_i32_e32 vcc, 16, v4
	v_cndmask_b32_e32 v7, 0, v7, vcc
	v_cndmask_b32_e32 v6, 7, v6, vcc
	v_cmp_eq_u32_e32 vcc, 0, v4
	v_min_i32_e32 v4, 15, v4
	v_lshlrev_b32_e32 v4, 3, v4
	v_cmp_eq_u64_e64 s[22:23], 0, v[6:7]
	v_and_b32_e32 v4, 0xf8, v4
	v_and_or_b32 v4, v6, 7, v4
	s_and_b64 s[22:23], vcc, s[22:23]
	v_cndmask_b32_e64 v4, v4, 0, s[22:23]
	v_or_b32_e32 v54, v4, v2
.LBB4_288:                              ;   in Loop: Header=BB4_124 Depth=2
	s_or_b64 exec, exec, s[60:61]
.LBB4_289:                              ;   in Loop: Header=BB4_124 Depth=2
	s_or_b64 exec, exec, s[58:59]
                                        ; implicit-def: $vgpr4
.LBB4_290:                              ;   in Loop: Header=BB4_124 Depth=2
	s_andn2_saveexec_b64 s[22:23], s[56:57]
; %bb.291:                              ;   in Loop: Header=BB4_124 Depth=2
	v_or_b32_sdwa v2, v4, s76 dst_sel:DWORD dst_unused:UNUSED_PAD src0_sel:BYTE_3 src1_sel:DWORD
	v_cmp_eq_u64_e32 vcc, 0, v[56:57]
	v_cndmask_b32_e32 v54, v2, v54, vcc
; %bb.292:                              ;   in Loop: Header=BB4_124 Depth=2
	s_or_b64 exec, exec, s[22:23]
	v_cmp_lt_u64_e32 vcc, s[46:47], v[22:23]
	v_mov_b32_e32 v2, 0
	v_mov_b32_e32 v4, 0
	s_and_saveexec_b64 s[22:23], vcc
	s_cbranch_execz .LBB4_298
; %bb.293:                              ;   in Loop: Header=BB4_124 Depth=2
	v_lshrrev_b32_e32 v22, 24, v23
	v_cmp_ne_u32_e32 vcc, s75, v22
	v_bfrev_b32_e32 v4, 1
	s_and_saveexec_b64 s[56:57], vcc
	s_cbranch_execz .LBB4_297
; %bb.294:                              ;   in Loop: Header=BB4_124 Depth=2
	v_bfe_u32 v5, v23, 24, 7
	v_cmp_ne_u32_e32 vcc, s76, v5
	v_mov_b32_e32 v4, 0x7f800001
	s_and_saveexec_b64 s[58:59], vcc
	s_cbranch_execz .LBB4_296
; %bb.295:                              ;   in Loop: Header=BB4_124 Depth=2
	v_and_b32_e32 v4, 7, v22
	v_ffbh_u32_e32 v6, v4
	v_min_u32_e32 v9, 32, v6
	v_subrev_u32_e32 v6, 28, v9
	v_lshlrev_b64 v[6:7], v6, v[22:23]
	v_lshrrev_b32_e32 v8, 3, v5
	v_sub_u32_e32 v7, 29, v9
	v_and_b32_e32 v6, 7, v6
	v_cmp_gt_u32_e32 vcc, 8, v5
	v_cndmask_b32_e32 v5, v8, v7, vcc
	v_cndmask_b32_e32 v4, v4, v6, vcc
	v_lshlrev_b32_e32 v6, 24, v22
	v_lshlrev_b32_e32 v4, 20, v4
	v_and_b32_e32 v6, 0x80000000, v6
	v_lshl_add_u32 v5, v5, 23, v51
	v_or3_b32 v4, v6, v5, v4
.LBB4_296:                              ;   in Loop: Header=BB4_124 Depth=2
	s_or_b64 exec, exec, s[58:59]
.LBB4_297:                              ;   in Loop: Header=BB4_124 Depth=2
	s_or_b64 exec, exec, s[56:57]
.LBB4_298:                              ;   in Loop: Header=BB4_124 Depth=2
	s_or_b64 exec, exec, s[22:23]
	v_cmp_lt_u64_e32 vcc, s[46:47], v[18:19]
	s_and_saveexec_b64 s[22:23], vcc
	s_cbranch_execz .LBB4_304
; %bb.299:                              ;   in Loop: Header=BB4_124 Depth=2
	v_lshrrev_b32_e32 v18, 24, v19
	v_cmp_ne_u32_e32 vcc, s75, v18
	v_bfrev_b32_e32 v2, 1
	s_and_saveexec_b64 s[56:57], vcc
	s_cbranch_execz .LBB4_303
; %bb.300:                              ;   in Loop: Header=BB4_124 Depth=2
	v_bfe_u32 v5, v19, 24, 7
	v_cmp_ne_u32_e32 vcc, s76, v5
	v_mov_b32_e32 v2, 0x7f800001
	s_and_saveexec_b64 s[58:59], vcc
	s_cbranch_execz .LBB4_302
; %bb.301:                              ;   in Loop: Header=BB4_124 Depth=2
	v_and_b32_e32 v2, 7, v18
	v_ffbh_u32_e32 v6, v2
	v_min_u32_e32 v9, 32, v6
	v_subrev_u32_e32 v6, 28, v9
	v_lshlrev_b64 v[6:7], v6, v[18:19]
	v_lshrrev_b32_e32 v8, 3, v5
	v_sub_u32_e32 v7, 29, v9
	v_and_b32_e32 v6, 7, v6
	v_cmp_gt_u32_e32 vcc, 8, v5
	v_cndmask_b32_e32 v5, v8, v7, vcc
	v_cndmask_b32_e32 v2, v2, v6, vcc
	v_lshlrev_b32_e32 v6, 24, v18
	v_lshlrev_b32_e32 v2, 20, v2
	v_and_b32_e32 v6, 0x80000000, v6
	v_lshl_add_u32 v5, v5, 23, v51
	v_or3_b32 v2, v6, v5, v2
.LBB4_302:                              ;   in Loop: Header=BB4_124 Depth=2
	s_or_b64 exec, exec, s[58:59]
.LBB4_303:                              ;   in Loop: Header=BB4_124 Depth=2
	s_or_b64 exec, exec, s[56:57]
.LBB4_304:                              ;   in Loop: Header=BB4_124 Depth=2
	s_or_b64 exec, exec, s[22:23]
	v_add_f32_e32 v4, v4, v2
	v_and_b32_sdwa v2, v4, s75 dst_sel:DWORD dst_unused:UNUSED_PAD src0_sel:BYTE_3 src1_sel:DWORD
	v_and_b32_e32 v6, 0x7f800000, v4
	v_mov_b32_e32 v7, v57
	v_and_b32_e32 v56, 0x7fffff, v4
	v_or_b32_e32 v23, 0x7e, v2
	v_cmp_ne_u64_e32 vcc, s[42:43], v[6:7]
	s_and_saveexec_b64 s[22:23], vcc
	s_xor_b64 s[56:57], exec, s[22:23]
	s_cbranch_execz .LBB4_314
; %bb.305:                              ;   in Loop: Header=BB4_124 Depth=2
	v_and_b32_e32 v6, 0x7fffffff, v4
	v_mov_b32_e32 v7, v57
	v_cmp_gt_u64_e32 vcc, s[44:45], v[6:7]
	s_and_saveexec_b64 s[58:59], vcc
	s_cbranch_execz .LBB4_313
; %bb.306:                              ;   in Loop: Header=BB4_124 Depth=2
	v_cmp_ne_u32_e32 vcc, 0, v4
	v_mov_b32_e32 v23, 0
	s_and_saveexec_b64 s[60:61], vcc
	s_cbranch_execz .LBB4_312
; %bb.307:                              ;   in Loop: Header=BB4_124 Depth=2
	v_bfe_u32 v4, v4, 23, 8
	v_sub_u32_e32 v6, 0x79, v4
	v_cmp_gt_u32_e32 vcc, s77, v4
	v_add_u32_e32 v5, 0xffffff81, v4
	v_cndmask_b32_e32 v6, 0, v6, vcc
	v_cmp_eq_u32_e32 vcc, 0, v4
	v_mov_b32_e32 v4, 0xffffff82
	v_cndmask_b32_e32 v22, v5, v4, vcc
	v_mov_b32_e32 v4, 0x78
	v_cndmask_b32_e32 v23, v6, v4, vcc
	v_add_u32_e32 v4, 20, v23
	v_or_b32_e32 v7, 0x800000, v56
	v_lshlrev_b64 v[4:5], v4, -1
	v_cndmask_b32_e32 v56, v7, v56, vcc
	v_not_b32_e32 v4, v4
	v_and_b32_e32 v6, v56, v4
	v_add_u32_e32 v4, 19, v23
	v_lshrrev_b64 v[18:19], v23, v[56:57]
	v_not_b32_e32 v5, v5
	v_lshlrev_b64 v[8:9], v4, 1
	v_lshrrev_b32_e32 v4, 23, v18
	v_and_b32_e32 v7, 0, v5
	v_add3_u32 v22, v23, v22, v4
	v_bfe_u32 v4, v18, 20, 1
	v_add_u32_e32 v4, -1, v4
	v_cmp_eq_u64_e32 vcc, v[6:7], v[8:9]
	v_cndmask_b32_e32 v4, 0, v4, vcc
	v_add_u32_e32 v4, v4, v18
	v_and_b32_e32 v4, 0xfffff, v4
	v_add_co_u32_e32 v18, vcc, v4, v18
	v_add_u32_e32 v5, 6, v22
	v_addc_co_u32_e32 v19, vcc, 0, v19, vcc
	v_cmp_ne_u32_e32 vcc, 0, v5
                                        ; implicit-def: $vgpr4
	s_and_saveexec_b64 s[22:23], vcc
	s_xor_b64 s[22:23], exec, s[22:23]
; %bb.308:                              ;   in Loop: Header=BB4_124 Depth=2
	v_add_u32_e32 v4, 7, v22
	v_cmp_lt_u64_e32 vcc, s[48:49], v[18:19]
	v_cndmask_b32_e32 v4, v5, v4, vcc
	v_cndmask_b32_e64 v5, 0, 1, vcc
	v_lshrrev_b64 v[18:19], v5, v[18:19]
; %bb.309:                              ;   in Loop: Header=BB4_124 Depth=2
	s_andn2_saveexec_b64 s[22:23], s[22:23]
; %bb.310:                              ;   in Loop: Header=BB4_124 Depth=2
	v_bfe_u32 v4, v18, 23, 1
; %bb.311:                              ;   in Loop: Header=BB4_124 Depth=2
	s_or_b64 exec, exec, s[22:23]
	v_lshrrev_b64 v[6:7], 20, v[18:19]
	v_cmp_gt_i32_e32 vcc, 16, v4
	v_cndmask_b32_e32 v7, 0, v7, vcc
	v_cndmask_b32_e32 v6, 7, v6, vcc
	v_cmp_eq_u32_e32 vcc, 0, v4
	v_min_i32_e32 v4, 15, v4
	v_lshlrev_b32_e32 v4, 3, v4
	v_cmp_eq_u64_e64 s[22:23], 0, v[6:7]
	v_and_b32_e32 v4, 0xf8, v4
	v_and_or_b32 v4, v6, 7, v4
	s_and_b64 s[22:23], vcc, s[22:23]
	v_cndmask_b32_e64 v4, v4, 0, s[22:23]
	v_or_b32_e32 v23, v4, v2
.LBB4_312:                              ;   in Loop: Header=BB4_124 Depth=2
	s_or_b64 exec, exec, s[60:61]
.LBB4_313:                              ;   in Loop: Header=BB4_124 Depth=2
	s_or_b64 exec, exec, s[58:59]
                                        ; implicit-def: $vgpr4
.LBB4_314:                              ;   in Loop: Header=BB4_124 Depth=2
	s_andn2_saveexec_b64 s[22:23], s[56:57]
; %bb.315:                              ;   in Loop: Header=BB4_124 Depth=2
	v_or_b32_sdwa v2, v4, s76 dst_sel:DWORD dst_unused:UNUSED_PAD src0_sel:BYTE_3 src1_sel:DWORD
	v_cmp_eq_u64_e32 vcc, 0, v[56:57]
	v_cndmask_b32_e32 v23, v2, v23, vcc
; %bb.316:                              ;   in Loop: Header=BB4_124 Depth=2
	s_or_b64 exec, exec, s[22:23]
	v_cmp_ne_u16_sdwa vcc, v24, v57 src0_sel:BYTE_0 src1_sel:DWORD
	v_mov_b32_e32 v2, 0
	v_mov_b32_e32 v4, 0
	s_and_saveexec_b64 s[22:23], vcc
	s_cbranch_execz .LBB4_322
; %bb.317:                              ;   in Loop: Header=BB4_124 Depth=2
	v_cmp_ne_u16_sdwa vcc, v24, s75 src0_sel:BYTE_0 src1_sel:DWORD
	v_bfrev_b32_e32 v4, 1
	s_and_saveexec_b64 s[56:57], vcc
	s_cbranch_execz .LBB4_321
; %bb.318:                              ;   in Loop: Header=BB4_124 Depth=2
	v_and_b32_e32 v5, 0x7f, v24
	v_cmp_ne_u32_e32 vcc, s76, v5
	v_mov_b32_e32 v4, 0x7f800001
	s_and_saveexec_b64 s[58:59], vcc
	s_cbranch_execz .LBB4_320
; %bb.319:                              ;   in Loop: Header=BB4_124 Depth=2
	v_and_b32_e32 v4, 7, v24
	v_ffbh_u32_e32 v4, v4
	v_min_u32_e32 v4, 32, v4
	v_lshrrev_b32_e32 v6, 3, v5
	v_subrev_u32_e32 v7, 28, v4
	v_sub_u32_e32 v4, 29, v4
	v_cmp_gt_u32_e32 vcc, 8, v5
	v_cndmask_b32_e32 v6, v6, v4, vcc
	v_cndmask_b32_e32 v4, 0, v7, vcc
	v_lshlrev_b64 v[4:5], v4, v[24:25]
	v_lshlrev_b32_e32 v4, 20, v4
	v_lshlrev_b32_e32 v5, 24, v24
	v_and_b32_e32 v4, 0x700000, v4
	v_and_b32_e32 v5, 0x80000000, v5
	v_lshl_add_u32 v6, v6, 23, v51
	v_or3_b32 v4, v5, v6, v4
.LBB4_320:                              ;   in Loop: Header=BB4_124 Depth=2
	s_or_b64 exec, exec, s[58:59]
.LBB4_321:                              ;   in Loop: Header=BB4_124 Depth=2
	s_or_b64 exec, exec, s[56:57]
.LBB4_322:                              ;   in Loop: Header=BB4_124 Depth=2
	s_or_b64 exec, exec, s[22:23]
	v_cmp_ne_u16_sdwa vcc, v20, v57 src0_sel:BYTE_0 src1_sel:DWORD
	s_and_saveexec_b64 s[22:23], vcc
	s_cbranch_execz .LBB4_328
; %bb.323:                              ;   in Loop: Header=BB4_124 Depth=2
	v_cmp_ne_u16_sdwa vcc, v20, s75 src0_sel:BYTE_0 src1_sel:DWORD
	v_bfrev_b32_e32 v2, 1
	s_and_saveexec_b64 s[56:57], vcc
	s_cbranch_execz .LBB4_327
; %bb.324:                              ;   in Loop: Header=BB4_124 Depth=2
	v_and_b32_e32 v5, 0x7f, v20
	v_cmp_ne_u32_e32 vcc, s76, v5
	v_mov_b32_e32 v2, 0x7f800001
	s_and_saveexec_b64 s[58:59], vcc
	s_cbranch_execz .LBB4_326
; %bb.325:                              ;   in Loop: Header=BB4_124 Depth=2
	v_and_b32_e32 v2, 7, v20
	v_ffbh_u32_e32 v2, v2
	v_min_u32_e32 v2, 32, v2
	v_subrev_u32_e32 v7, 28, v2
	v_cmp_gt_u32_e32 vcc, 8, v5
	v_lshrrev_b32_e32 v6, 3, v5
	v_sub_u32_e32 v2, 29, v2
	v_cndmask_b32_e32 v5, 0, v7, vcc
	v_cndmask_b32_e32 v2, v6, v2, vcc
	v_lshlrev_b64 v[6:7], v5, v[20:21]
	v_lshlrev_b32_e32 v5, 20, v6
	v_lshlrev_b32_e32 v6, 24, v20
	v_and_b32_e32 v5, 0x700000, v5
	v_and_b32_e32 v6, 0x80000000, v6
	v_lshl_add_u32 v2, v2, 23, v51
	v_or3_b32 v2, v6, v2, v5
.LBB4_326:                              ;   in Loop: Header=BB4_124 Depth=2
	s_or_b64 exec, exec, s[58:59]
.LBB4_327:                              ;   in Loop: Header=BB4_124 Depth=2
	s_or_b64 exec, exec, s[56:57]
.LBB4_328:                              ;   in Loop: Header=BB4_124 Depth=2
	s_or_b64 exec, exec, s[22:23]
	v_add_f32_e32 v4, v4, v2
	v_and_b32_sdwa v2, v4, s75 dst_sel:DWORD dst_unused:UNUSED_PAD src0_sel:BYTE_3 src1_sel:DWORD
	v_and_b32_e32 v6, 0x7f800000, v4
	v_mov_b32_e32 v7, v57
	v_and_b32_e32 v56, 0x7fffff, v4
	v_or_b32_e32 v55, 0x7e, v2
	v_cmp_ne_u64_e32 vcc, s[42:43], v[6:7]
	s_and_saveexec_b64 s[22:23], vcc
	s_xor_b64 s[56:57], exec, s[22:23]
	s_cbranch_execz .LBB4_338
; %bb.329:                              ;   in Loop: Header=BB4_124 Depth=2
	v_and_b32_e32 v6, 0x7fffffff, v4
	v_mov_b32_e32 v7, v57
	v_cmp_gt_u64_e32 vcc, s[44:45], v[6:7]
	s_and_saveexec_b64 s[58:59], vcc
	s_cbranch_execz .LBB4_337
; %bb.330:                              ;   in Loop: Header=BB4_124 Depth=2
	v_cmp_ne_u32_e32 vcc, 0, v4
	v_mov_b32_e32 v55, 0
	s_and_saveexec_b64 s[60:61], vcc
	s_cbranch_execz .LBB4_336
; %bb.331:                              ;   in Loop: Header=BB4_124 Depth=2
	v_bfe_u32 v4, v4, 23, 8
	v_sub_u32_e32 v6, 0x79, v4
	v_cmp_gt_u32_e32 vcc, s77, v4
	v_add_u32_e32 v5, 0xffffff81, v4
	v_cndmask_b32_e32 v6, 0, v6, vcc
	v_cmp_eq_u32_e32 vcc, 0, v4
	v_mov_b32_e32 v4, 0xffffff82
	v_cndmask_b32_e32 v22, v5, v4, vcc
	v_mov_b32_e32 v4, 0x78
	v_cndmask_b32_e32 v26, v6, v4, vcc
	v_add_u32_e32 v4, 20, v26
	v_or_b32_e32 v7, 0x800000, v56
	v_lshlrev_b64 v[4:5], v4, -1
	v_cndmask_b32_e32 v56, v7, v56, vcc
	v_not_b32_e32 v4, v4
	v_and_b32_e32 v6, v56, v4
	v_add_u32_e32 v4, 19, v26
	v_lshrrev_b64 v[18:19], v26, v[56:57]
	v_not_b32_e32 v5, v5
	v_lshlrev_b64 v[8:9], v4, 1
	v_lshrrev_b32_e32 v4, 23, v18
	v_and_b32_e32 v7, 0, v5
	v_add3_u32 v22, v26, v22, v4
	v_bfe_u32 v4, v18, 20, 1
	v_add_u32_e32 v4, -1, v4
	v_cmp_eq_u64_e32 vcc, v[6:7], v[8:9]
	v_cndmask_b32_e32 v4, 0, v4, vcc
	v_add_u32_e32 v4, v4, v18
	v_and_b32_e32 v4, 0xfffff, v4
	v_add_co_u32_e32 v18, vcc, v4, v18
	v_add_u32_e32 v5, 6, v22
	v_addc_co_u32_e32 v19, vcc, 0, v19, vcc
	v_cmp_ne_u32_e32 vcc, 0, v5
                                        ; implicit-def: $vgpr4
	s_and_saveexec_b64 s[22:23], vcc
	s_xor_b64 s[22:23], exec, s[22:23]
; %bb.332:                              ;   in Loop: Header=BB4_124 Depth=2
	v_add_u32_e32 v4, 7, v22
	v_cmp_lt_u64_e32 vcc, s[48:49], v[18:19]
	v_cndmask_b32_e32 v4, v5, v4, vcc
	v_cndmask_b32_e64 v5, 0, 1, vcc
	v_lshrrev_b64 v[18:19], v5, v[18:19]
; %bb.333:                              ;   in Loop: Header=BB4_124 Depth=2
	s_andn2_saveexec_b64 s[22:23], s[22:23]
; %bb.334:                              ;   in Loop: Header=BB4_124 Depth=2
	v_bfe_u32 v4, v18, 23, 1
; %bb.335:                              ;   in Loop: Header=BB4_124 Depth=2
	s_or_b64 exec, exec, s[22:23]
	v_lshrrev_b64 v[6:7], 20, v[18:19]
	v_cmp_gt_i32_e32 vcc, 16, v4
	v_cndmask_b32_e32 v7, 0, v7, vcc
	v_cndmask_b32_e32 v6, 7, v6, vcc
	v_cmp_eq_u32_e32 vcc, 0, v4
	v_min_i32_e32 v4, 15, v4
	v_cmp_eq_u64_e64 s[22:23], 0, v[6:7]
	v_lshlrev_b32_e32 v4, 3, v4
	v_and_or_b32 v4, v6, 7, v4
	s_and_b64 s[22:23], vcc, s[22:23]
	v_cndmask_b32_e64 v4, v4, 0, s[22:23]
	v_or_b32_e32 v55, v4, v2
.LBB4_336:                              ;   in Loop: Header=BB4_124 Depth=2
	s_or_b64 exec, exec, s[60:61]
.LBB4_337:                              ;   in Loop: Header=BB4_124 Depth=2
	s_or_b64 exec, exec, s[58:59]
                                        ; implicit-def: $vgpr4
.LBB4_338:                              ;   in Loop: Header=BB4_124 Depth=2
	s_andn2_saveexec_b64 s[22:23], s[56:57]
; %bb.339:                              ;   in Loop: Header=BB4_124 Depth=2
	v_or_b32_sdwa v2, v4, s76 dst_sel:DWORD dst_unused:UNUSED_PAD src0_sel:BYTE_3 src1_sel:DWORD
	v_cmp_eq_u64_e32 vcc, 0, v[56:57]
	v_cndmask_b32_e32 v55, v2, v55, vcc
; %bb.340:                              ;   in Loop: Header=BB4_124 Depth=2
	s_or_b64 exec, exec, s[22:23]
	v_lshrrev_b16_e32 v18, 8, v24
	v_cmp_ne_u16_e32 vcc, 0, v18
	v_mov_b32_e32 v2, 0
	v_mov_b32_e32 v4, 0
	s_and_saveexec_b64 s[22:23], vcc
	s_cbranch_execz .LBB4_346
; %bb.341:                              ;   in Loop: Header=BB4_124 Depth=2
	v_cmp_ne_u16_e32 vcc, s75, v18
	v_bfrev_b32_e32 v4, 1
	s_and_saveexec_b64 s[56:57], vcc
	s_cbranch_execz .LBB4_345
; %bb.342:                              ;   in Loop: Header=BB4_124 Depth=2
	v_and_b32_e32 v5, 0x7f, v18
	v_cmp_ne_u32_e32 vcc, s76, v5
	v_mov_b32_e32 v4, 0x7f800001
	s_and_saveexec_b64 s[58:59], vcc
	s_cbranch_execz .LBB4_344
; %bb.343:                              ;   in Loop: Header=BB4_124 Depth=2
	v_and_b32_e32 v4, 7, v18
	v_ffbh_u32_e32 v6, v4
	v_min_u32_e32 v9, 32, v6
	v_subrev_u32_e32 v6, 28, v9
	v_lshlrev_b64 v[6:7], v6, v[18:19]
	v_lshrrev_b32_e32 v8, 3, v5
	v_sub_u32_e32 v7, 29, v9
	v_and_b32_e32 v6, 7, v6
	v_cmp_gt_u32_e32 vcc, 8, v5
	v_cndmask_b32_e32 v5, v8, v7, vcc
	v_cndmask_b32_e32 v4, v4, v6, vcc
	v_lshlrev_b32_e32 v6, 16, v24
	v_lshlrev_b32_e32 v4, 20, v4
	v_and_b32_e32 v6, 0x80000000, v6
	v_lshl_add_u32 v5, v5, 23, v51
	v_or3_b32 v4, v6, v5, v4
.LBB4_344:                              ;   in Loop: Header=BB4_124 Depth=2
	s_or_b64 exec, exec, s[58:59]
.LBB4_345:                              ;   in Loop: Header=BB4_124 Depth=2
	s_or_b64 exec, exec, s[56:57]
.LBB4_346:                              ;   in Loop: Header=BB4_124 Depth=2
	s_or_b64 exec, exec, s[22:23]
	v_lshrrev_b16_e32 v18, 8, v20
	v_cmp_ne_u16_e32 vcc, 0, v18
	s_and_saveexec_b64 s[22:23], vcc
	s_cbranch_execz .LBB4_352
; %bb.347:                              ;   in Loop: Header=BB4_124 Depth=2
	v_cmp_ne_u16_e32 vcc, s75, v18
	v_bfrev_b32_e32 v2, 1
	s_and_saveexec_b64 s[56:57], vcc
	s_cbranch_execz .LBB4_351
; %bb.348:                              ;   in Loop: Header=BB4_124 Depth=2
	v_and_b32_e32 v5, 0x7f, v18
	v_cmp_ne_u32_e32 vcc, s76, v5
	v_mov_b32_e32 v2, 0x7f800001
	s_and_saveexec_b64 s[58:59], vcc
	s_cbranch_execz .LBB4_350
; %bb.349:                              ;   in Loop: Header=BB4_124 Depth=2
	v_and_b32_e32 v2, 7, v18
	v_ffbh_u32_e32 v6, v2
	v_min_u32_e32 v9, 32, v6
	v_subrev_u32_e32 v6, 28, v9
	v_lshlrev_b64 v[6:7], v6, v[18:19]
	v_lshrrev_b32_e32 v8, 3, v5
	v_sub_u32_e32 v7, 29, v9
	v_and_b32_e32 v6, 7, v6
	v_cmp_gt_u32_e32 vcc, 8, v5
	v_cndmask_b32_e32 v5, v8, v7, vcc
	v_cndmask_b32_e32 v2, v2, v6, vcc
	v_lshlrev_b32_e32 v6, 16, v20
	v_lshlrev_b32_e32 v2, 20, v2
	v_and_b32_e32 v6, 0x80000000, v6
	v_lshl_add_u32 v5, v5, 23, v51
	v_or3_b32 v2, v6, v5, v2
.LBB4_350:                              ;   in Loop: Header=BB4_124 Depth=2
	s_or_b64 exec, exec, s[58:59]
.LBB4_351:                              ;   in Loop: Header=BB4_124 Depth=2
	s_or_b64 exec, exec, s[56:57]
.LBB4_352:                              ;   in Loop: Header=BB4_124 Depth=2
	s_or_b64 exec, exec, s[22:23]
	v_add_f32_e32 v4, v4, v2
	v_and_b32_sdwa v2, v4, s75 dst_sel:DWORD dst_unused:UNUSED_PAD src0_sel:BYTE_3 src1_sel:DWORD
	v_and_b32_e32 v6, 0x7f800000, v4
	v_mov_b32_e32 v7, v57
	v_and_b32_e32 v56, 0x7fffff, v4
	v_or_b32_e32 v42, 0x7e, v2
	v_cmp_ne_u64_e32 vcc, s[42:43], v[6:7]
	s_and_saveexec_b64 s[22:23], vcc
	s_xor_b64 s[56:57], exec, s[22:23]
	s_cbranch_execz .LBB4_362
; %bb.353:                              ;   in Loop: Header=BB4_124 Depth=2
	v_and_b32_e32 v6, 0x7fffffff, v4
	v_mov_b32_e32 v7, v57
	v_cmp_gt_u64_e32 vcc, s[44:45], v[6:7]
	s_and_saveexec_b64 s[58:59], vcc
	s_cbranch_execz .LBB4_361
; %bb.354:                              ;   in Loop: Header=BB4_124 Depth=2
	v_cmp_ne_u32_e32 vcc, 0, v4
	v_mov_b32_e32 v42, 0
	s_and_saveexec_b64 s[60:61], vcc
	s_cbranch_execz .LBB4_360
; %bb.355:                              ;   in Loop: Header=BB4_124 Depth=2
	v_bfe_u32 v4, v4, 23, 8
	v_sub_u32_e32 v6, 0x79, v4
	v_cmp_gt_u32_e32 vcc, s77, v4
	v_add_u32_e32 v5, 0xffffff81, v4
	v_cndmask_b32_e32 v6, 0, v6, vcc
	v_cmp_eq_u32_e32 vcc, 0, v4
	v_mov_b32_e32 v4, 0xffffff82
	v_cndmask_b32_e32 v22, v5, v4, vcc
	v_mov_b32_e32 v4, 0x78
	v_cndmask_b32_e32 v26, v6, v4, vcc
	v_add_u32_e32 v4, 20, v26
	v_or_b32_e32 v7, 0x800000, v56
	v_lshlrev_b64 v[4:5], v4, -1
	v_cndmask_b32_e32 v56, v7, v56, vcc
	v_not_b32_e32 v4, v4
	v_and_b32_e32 v6, v56, v4
	v_add_u32_e32 v4, 19, v26
	v_lshrrev_b64 v[18:19], v26, v[56:57]
	v_not_b32_e32 v5, v5
	v_lshlrev_b64 v[8:9], v4, 1
	v_lshrrev_b32_e32 v4, 23, v18
	v_and_b32_e32 v7, 0, v5
	v_add3_u32 v22, v26, v22, v4
	v_bfe_u32 v4, v18, 20, 1
	v_add_u32_e32 v4, -1, v4
	v_cmp_eq_u64_e32 vcc, v[6:7], v[8:9]
	v_cndmask_b32_e32 v4, 0, v4, vcc
	v_add_u32_e32 v4, v4, v18
	v_and_b32_e32 v4, 0xfffff, v4
	v_add_co_u32_e32 v18, vcc, v4, v18
	v_add_u32_e32 v5, 6, v22
	v_addc_co_u32_e32 v19, vcc, 0, v19, vcc
	v_cmp_ne_u32_e32 vcc, 0, v5
                                        ; implicit-def: $vgpr4
	s_and_saveexec_b64 s[22:23], vcc
	s_xor_b64 s[22:23], exec, s[22:23]
; %bb.356:                              ;   in Loop: Header=BB4_124 Depth=2
	v_add_u32_e32 v4, 7, v22
	v_cmp_lt_u64_e32 vcc, s[48:49], v[18:19]
	v_cndmask_b32_e32 v4, v5, v4, vcc
	v_cndmask_b32_e64 v5, 0, 1, vcc
	v_lshrrev_b64 v[18:19], v5, v[18:19]
; %bb.357:                              ;   in Loop: Header=BB4_124 Depth=2
	s_andn2_saveexec_b64 s[22:23], s[22:23]
; %bb.358:                              ;   in Loop: Header=BB4_124 Depth=2
	v_bfe_u32 v4, v18, 23, 1
; %bb.359:                              ;   in Loop: Header=BB4_124 Depth=2
	s_or_b64 exec, exec, s[22:23]
	v_lshrrev_b64 v[6:7], 20, v[18:19]
	v_cmp_gt_i32_e32 vcc, 16, v4
	v_cndmask_b32_e32 v7, 0, v7, vcc
	v_cndmask_b32_e32 v6, 7, v6, vcc
	v_cmp_eq_u32_e32 vcc, 0, v4
	v_min_i32_e32 v4, 15, v4
	v_cmp_eq_u64_e64 s[22:23], 0, v[6:7]
	v_lshlrev_b32_e32 v4, 3, v4
	v_and_or_b32 v4, v6, 7, v4
	s_and_b64 s[22:23], vcc, s[22:23]
	v_cndmask_b32_e64 v4, v4, 0, s[22:23]
	v_or_b32_e32 v42, v4, v2
.LBB4_360:                              ;   in Loop: Header=BB4_124 Depth=2
	s_or_b64 exec, exec, s[60:61]
.LBB4_361:                              ;   in Loop: Header=BB4_124 Depth=2
	s_or_b64 exec, exec, s[58:59]
                                        ; implicit-def: $vgpr4
.LBB4_362:                              ;   in Loop: Header=BB4_124 Depth=2
	s_andn2_saveexec_b64 s[22:23], s[56:57]
; %bb.363:                              ;   in Loop: Header=BB4_124 Depth=2
	v_or_b32_sdwa v2, v4, s76 dst_sel:DWORD dst_unused:UNUSED_PAD src0_sel:BYTE_3 src1_sel:DWORD
	v_cmp_eq_u64_e32 vcc, 0, v[56:57]
	v_cndmask_b32_e32 v42, v2, v42, vcc
; %bb.364:                              ;   in Loop: Header=BB4_124 Depth=2
	s_or_b64 exec, exec, s[22:23]
	v_lshrrev_b32_e32 v18, 16, v24
	v_cmp_ne_u16_sdwa vcc, v18, v57 src0_sel:BYTE_0 src1_sel:DWORD
	v_mov_b32_e32 v2, 0
	v_mov_b32_e32 v4, 0
	s_and_saveexec_b64 s[22:23], vcc
	s_cbranch_execz .LBB4_370
; %bb.365:                              ;   in Loop: Header=BB4_124 Depth=2
	v_cmp_ne_u16_sdwa vcc, v18, s75 src0_sel:BYTE_0 src1_sel:DWORD
	v_bfrev_b32_e32 v4, 1
	s_and_saveexec_b64 s[56:57], vcc
	s_cbranch_execz .LBB4_369
; %bb.366:                              ;   in Loop: Header=BB4_124 Depth=2
	v_bfe_u32 v5, v24, 16, 7
	v_cmp_ne_u32_e32 vcc, s76, v5
	v_mov_b32_e32 v4, 0x7f800001
	s_and_saveexec_b64 s[58:59], vcc
	s_cbranch_execz .LBB4_368
; %bb.367:                              ;   in Loop: Header=BB4_124 Depth=2
	v_and_b32_e32 v4, 7, v18
	v_ffbh_u32_e32 v6, v4
	v_min_u32_e32 v9, 32, v6
	v_subrev_u32_e32 v6, 28, v9
	v_lshlrev_b64 v[6:7], v6, v[18:19]
	v_lshrrev_b32_e32 v8, 3, v5
	v_sub_u32_e32 v7, 29, v9
	v_and_b32_e32 v6, 7, v6
	v_cmp_gt_u32_e32 vcc, 8, v5
	v_cndmask_b32_e32 v5, v8, v7, vcc
	v_cndmask_b32_e32 v4, v4, v6, vcc
	v_lshlrev_b32_e32 v6, 24, v18
	v_lshlrev_b32_e32 v4, 20, v4
	v_and_b32_e32 v6, 0x80000000, v6
	v_lshl_add_u32 v5, v5, 23, v51
	v_or3_b32 v4, v6, v5, v4
.LBB4_368:                              ;   in Loop: Header=BB4_124 Depth=2
	s_or_b64 exec, exec, s[58:59]
.LBB4_369:                              ;   in Loop: Header=BB4_124 Depth=2
	s_or_b64 exec, exec, s[56:57]
.LBB4_370:                              ;   in Loop: Header=BB4_124 Depth=2
	s_or_b64 exec, exec, s[22:23]
	v_lshrrev_b32_e32 v18, 16, v20
	v_cmp_ne_u16_sdwa vcc, v18, v57 src0_sel:BYTE_0 src1_sel:DWORD
	s_and_saveexec_b64 s[22:23], vcc
	s_cbranch_execz .LBB4_376
; %bb.371:                              ;   in Loop: Header=BB4_124 Depth=2
	v_cmp_ne_u16_sdwa vcc, v18, s75 src0_sel:BYTE_0 src1_sel:DWORD
	v_bfrev_b32_e32 v2, 1
	s_and_saveexec_b64 s[56:57], vcc
	s_cbranch_execz .LBB4_375
; %bb.372:                              ;   in Loop: Header=BB4_124 Depth=2
	v_bfe_u32 v5, v20, 16, 7
	v_cmp_ne_u32_e32 vcc, s76, v5
	v_mov_b32_e32 v2, 0x7f800001
	s_and_saveexec_b64 s[58:59], vcc
	s_cbranch_execz .LBB4_374
; %bb.373:                              ;   in Loop: Header=BB4_124 Depth=2
	v_and_b32_e32 v2, 7, v18
	v_ffbh_u32_e32 v6, v2
	v_min_u32_e32 v9, 32, v6
	v_subrev_u32_e32 v6, 28, v9
	v_lshlrev_b64 v[6:7], v6, v[18:19]
	v_lshrrev_b32_e32 v8, 3, v5
	v_sub_u32_e32 v7, 29, v9
	v_and_b32_e32 v6, 7, v6
	v_cmp_gt_u32_e32 vcc, 8, v5
	v_cndmask_b32_e32 v5, v8, v7, vcc
	v_cndmask_b32_e32 v2, v2, v6, vcc
	v_lshlrev_b32_e32 v6, 8, v20
	v_lshlrev_b32_e32 v2, 20, v2
	v_and_b32_e32 v6, 0x80000000, v6
	v_lshl_add_u32 v5, v5, 23, v51
	v_or3_b32 v2, v6, v5, v2
.LBB4_374:                              ;   in Loop: Header=BB4_124 Depth=2
	s_or_b64 exec, exec, s[58:59]
.LBB4_375:                              ;   in Loop: Header=BB4_124 Depth=2
	s_or_b64 exec, exec, s[56:57]
.LBB4_376:                              ;   in Loop: Header=BB4_124 Depth=2
	s_or_b64 exec, exec, s[22:23]
	v_add_f32_e32 v4, v4, v2
	v_and_b32_sdwa v2, v4, s75 dst_sel:DWORD dst_unused:UNUSED_PAD src0_sel:BYTE_3 src1_sel:DWORD
	v_and_b32_e32 v6, 0x7f800000, v4
	v_mov_b32_e32 v7, v57
	v_and_b32_e32 v56, 0x7fffff, v4
	v_or_b32_e32 v31, 0x7e, v2
	v_cmp_ne_u64_e32 vcc, s[42:43], v[6:7]
	s_and_saveexec_b64 s[22:23], vcc
	s_xor_b64 s[56:57], exec, s[22:23]
	s_cbranch_execz .LBB4_386
; %bb.377:                              ;   in Loop: Header=BB4_124 Depth=2
	v_and_b32_e32 v6, 0x7fffffff, v4
	v_mov_b32_e32 v7, v57
	v_cmp_gt_u64_e32 vcc, s[44:45], v[6:7]
	s_and_saveexec_b64 s[58:59], vcc
	s_cbranch_execz .LBB4_385
; %bb.378:                              ;   in Loop: Header=BB4_124 Depth=2
	v_cmp_ne_u32_e32 vcc, 0, v4
	v_mov_b32_e32 v31, 0
	s_and_saveexec_b64 s[60:61], vcc
	s_cbranch_execz .LBB4_384
; %bb.379:                              ;   in Loop: Header=BB4_124 Depth=2
	v_bfe_u32 v4, v4, 23, 8
	v_sub_u32_e32 v6, 0x79, v4
	v_cmp_gt_u32_e32 vcc, s77, v4
	v_add_u32_e32 v5, 0xffffff81, v4
	v_cndmask_b32_e32 v6, 0, v6, vcc
	v_cmp_eq_u32_e32 vcc, 0, v4
	v_mov_b32_e32 v4, 0xffffff82
	v_cndmask_b32_e32 v22, v5, v4, vcc
	v_mov_b32_e32 v4, 0x78
	v_cndmask_b32_e32 v26, v6, v4, vcc
	v_add_u32_e32 v4, 20, v26
	v_or_b32_e32 v7, 0x800000, v56
	v_lshlrev_b64 v[4:5], v4, -1
	v_cndmask_b32_e32 v56, v7, v56, vcc
	v_not_b32_e32 v4, v4
	v_and_b32_e32 v6, v56, v4
	v_add_u32_e32 v4, 19, v26
	v_lshrrev_b64 v[18:19], v26, v[56:57]
	v_not_b32_e32 v5, v5
	v_lshlrev_b64 v[8:9], v4, 1
	v_lshrrev_b32_e32 v4, 23, v18
	v_and_b32_e32 v7, 0, v5
	v_add3_u32 v22, v26, v22, v4
	v_bfe_u32 v4, v18, 20, 1
	v_add_u32_e32 v4, -1, v4
	v_cmp_eq_u64_e32 vcc, v[6:7], v[8:9]
	v_cndmask_b32_e32 v4, 0, v4, vcc
	v_add_u32_e32 v4, v4, v18
	v_and_b32_e32 v4, 0xfffff, v4
	v_add_co_u32_e32 v18, vcc, v4, v18
	v_add_u32_e32 v5, 6, v22
	v_addc_co_u32_e32 v19, vcc, 0, v19, vcc
	v_cmp_ne_u32_e32 vcc, 0, v5
                                        ; implicit-def: $vgpr4
	s_and_saveexec_b64 s[22:23], vcc
	s_xor_b64 s[22:23], exec, s[22:23]
; %bb.380:                              ;   in Loop: Header=BB4_124 Depth=2
	v_add_u32_e32 v4, 7, v22
	v_cmp_lt_u64_e32 vcc, s[48:49], v[18:19]
	v_cndmask_b32_e32 v4, v5, v4, vcc
	v_cndmask_b32_e64 v5, 0, 1, vcc
	v_lshrrev_b64 v[18:19], v5, v[18:19]
; %bb.381:                              ;   in Loop: Header=BB4_124 Depth=2
	s_andn2_saveexec_b64 s[22:23], s[22:23]
; %bb.382:                              ;   in Loop: Header=BB4_124 Depth=2
	v_bfe_u32 v4, v18, 23, 1
; %bb.383:                              ;   in Loop: Header=BB4_124 Depth=2
	s_or_b64 exec, exec, s[22:23]
	v_lshrrev_b64 v[6:7], 20, v[18:19]
	v_cmp_gt_i32_e32 vcc, 16, v4
	v_cndmask_b32_e32 v7, 0, v7, vcc
	v_cndmask_b32_e32 v6, 7, v6, vcc
	v_cmp_eq_u32_e32 vcc, 0, v4
	v_min_i32_e32 v4, 15, v4
	v_cmp_eq_u64_e64 s[22:23], 0, v[6:7]
	v_lshlrev_b32_e32 v4, 3, v4
	v_and_or_b32 v4, v6, 7, v4
	s_and_b64 s[22:23], vcc, s[22:23]
	v_cndmask_b32_e64 v4, v4, 0, s[22:23]
	v_or_b32_e32 v31, v4, v2
.LBB4_384:                              ;   in Loop: Header=BB4_124 Depth=2
	s_or_b64 exec, exec, s[60:61]
.LBB4_385:                              ;   in Loop: Header=BB4_124 Depth=2
	s_or_b64 exec, exec, s[58:59]
                                        ; implicit-def: $vgpr4
.LBB4_386:                              ;   in Loop: Header=BB4_124 Depth=2
	s_andn2_saveexec_b64 s[22:23], s[56:57]
; %bb.387:                              ;   in Loop: Header=BB4_124 Depth=2
	v_or_b32_sdwa v2, v4, s76 dst_sel:DWORD dst_unused:UNUSED_PAD src0_sel:BYTE_3 src1_sel:DWORD
	v_cmp_eq_u64_e32 vcc, 0, v[56:57]
	v_cndmask_b32_e32 v31, v2, v31, vcc
; %bb.388:                              ;   in Loop: Header=BB4_124 Depth=2
	s_or_b64 exec, exec, s[22:23]
	v_cmp_lt_u32_e32 vcc, s47, v24
	v_mov_b32_e32 v2, 0
	v_mov_b32_e32 v4, 0
	s_and_saveexec_b64 s[22:23], vcc
	s_cbranch_execz .LBB4_394
; %bb.389:                              ;   in Loop: Header=BB4_124 Depth=2
	v_lshrrev_b32_e32 v18, 24, v24
	v_cmp_ne_u32_e32 vcc, s75, v18
	v_bfrev_b32_e32 v4, 1
	s_and_saveexec_b64 s[56:57], vcc
	s_cbranch_execz .LBB4_393
; %bb.390:                              ;   in Loop: Header=BB4_124 Depth=2
	v_bfe_u32 v5, v24, 24, 7
	v_cmp_ne_u32_e32 vcc, s76, v5
	v_mov_b32_e32 v4, 0x7f800001
	s_and_saveexec_b64 s[58:59], vcc
	s_cbranch_execz .LBB4_392
; %bb.391:                              ;   in Loop: Header=BB4_124 Depth=2
	v_and_b32_e32 v4, 7, v18
	v_ffbh_u32_e32 v6, v4
	v_min_u32_e32 v9, 32, v6
	v_subrev_u32_e32 v6, 28, v9
	v_lshlrev_b64 v[6:7], v6, v[18:19]
	v_lshrrev_b32_e32 v8, 3, v5
	v_sub_u32_e32 v7, 29, v9
	v_and_b32_e32 v6, 7, v6
	v_cmp_gt_u32_e32 vcc, 8, v5
	v_cndmask_b32_e32 v5, v8, v7, vcc
	v_cndmask_b32_e32 v4, v4, v6, vcc
	v_lshlrev_b32_e32 v6, 24, v18
	v_lshlrev_b32_e32 v4, 20, v4
	v_and_b32_e32 v6, 0x80000000, v6
	v_lshl_add_u32 v5, v5, 23, v51
	v_or3_b32 v4, v6, v5, v4
.LBB4_392:                              ;   in Loop: Header=BB4_124 Depth=2
	s_or_b64 exec, exec, s[58:59]
.LBB4_393:                              ;   in Loop: Header=BB4_124 Depth=2
	s_or_b64 exec, exec, s[56:57]
.LBB4_394:                              ;   in Loop: Header=BB4_124 Depth=2
	s_or_b64 exec, exec, s[22:23]
	v_cmp_lt_u32_e32 vcc, s47, v20
	s_and_saveexec_b64 s[22:23], vcc
	s_cbranch_execz .LBB4_400
; %bb.395:                              ;   in Loop: Header=BB4_124 Depth=2
	v_lshrrev_b32_e32 v18, 24, v20
	v_cmp_ne_u32_e32 vcc, s75, v18
	v_bfrev_b32_e32 v2, 1
	s_and_saveexec_b64 s[56:57], vcc
	s_cbranch_execz .LBB4_399
; %bb.396:                              ;   in Loop: Header=BB4_124 Depth=2
	v_bfe_u32 v5, v20, 24, 7
	v_cmp_ne_u32_e32 vcc, s76, v5
	v_mov_b32_e32 v2, 0x7f800001
	s_and_saveexec_b64 s[58:59], vcc
	s_cbranch_execz .LBB4_398
; %bb.397:                              ;   in Loop: Header=BB4_124 Depth=2
	v_and_b32_e32 v2, 7, v18
	v_ffbh_u32_e32 v6, v2
	v_min_u32_e32 v9, 32, v6
	v_subrev_u32_e32 v6, 28, v9
	v_lshlrev_b64 v[6:7], v6, v[18:19]
	v_lshrrev_b32_e32 v8, 3, v5
	v_sub_u32_e32 v7, 29, v9
	v_and_b32_e32 v6, 7, v6
	v_cmp_gt_u32_e32 vcc, 8, v5
	v_cndmask_b32_e32 v5, v8, v7, vcc
	v_cndmask_b32_e32 v2, v2, v6, vcc
	v_lshlrev_b32_e32 v6, 24, v18
	v_lshlrev_b32_e32 v2, 20, v2
	v_and_b32_e32 v6, 0x80000000, v6
	v_lshl_add_u32 v5, v5, 23, v51
	v_or3_b32 v2, v6, v5, v2
.LBB4_398:                              ;   in Loop: Header=BB4_124 Depth=2
	s_or_b64 exec, exec, s[58:59]
.LBB4_399:                              ;   in Loop: Header=BB4_124 Depth=2
	s_or_b64 exec, exec, s[56:57]
.LBB4_400:                              ;   in Loop: Header=BB4_124 Depth=2
	s_or_b64 exec, exec, s[22:23]
	v_add_f32_e32 v4, v4, v2
	v_and_b32_sdwa v2, v4, s75 dst_sel:DWORD dst_unused:UNUSED_PAD src0_sel:BYTE_3 src1_sel:DWORD
	v_and_b32_e32 v6, 0x7f800000, v4
	v_mov_b32_e32 v7, v57
	v_and_b32_e32 v56, 0x7fffff, v4
	v_or_b32_e32 v28, 0x7e, v2
	v_cmp_ne_u64_e32 vcc, s[42:43], v[6:7]
	s_and_saveexec_b64 s[22:23], vcc
	s_xor_b64 s[56:57], exec, s[22:23]
	s_cbranch_execz .LBB4_410
; %bb.401:                              ;   in Loop: Header=BB4_124 Depth=2
	v_and_b32_e32 v6, 0x7fffffff, v4
	v_mov_b32_e32 v7, v57
	v_cmp_gt_u64_e32 vcc, s[44:45], v[6:7]
	s_and_saveexec_b64 s[58:59], vcc
	s_cbranch_execz .LBB4_409
; %bb.402:                              ;   in Loop: Header=BB4_124 Depth=2
	v_cmp_ne_u32_e32 vcc, 0, v4
	v_mov_b32_e32 v28, 0
	s_and_saveexec_b64 s[60:61], vcc
	s_cbranch_execz .LBB4_408
; %bb.403:                              ;   in Loop: Header=BB4_124 Depth=2
	v_bfe_u32 v4, v4, 23, 8
	v_sub_u32_e32 v6, 0x79, v4
	v_cmp_gt_u32_e32 vcc, s77, v4
	v_add_u32_e32 v5, 0xffffff81, v4
	v_cndmask_b32_e32 v6, 0, v6, vcc
	v_cmp_eq_u32_e32 vcc, 0, v4
	v_mov_b32_e32 v4, 0xffffff82
	v_cndmask_b32_e32 v22, v5, v4, vcc
	v_mov_b32_e32 v4, 0x78
	v_cndmask_b32_e32 v26, v6, v4, vcc
	v_add_u32_e32 v4, 20, v26
	v_or_b32_e32 v7, 0x800000, v56
	v_lshlrev_b64 v[4:5], v4, -1
	v_cndmask_b32_e32 v56, v7, v56, vcc
	v_not_b32_e32 v4, v4
	v_and_b32_e32 v6, v56, v4
	v_add_u32_e32 v4, 19, v26
	v_lshrrev_b64 v[18:19], v26, v[56:57]
	v_not_b32_e32 v5, v5
	v_lshlrev_b64 v[8:9], v4, 1
	v_lshrrev_b32_e32 v4, 23, v18
	v_and_b32_e32 v7, 0, v5
	v_add3_u32 v22, v26, v22, v4
	v_bfe_u32 v4, v18, 20, 1
	v_add_u32_e32 v4, -1, v4
	v_cmp_eq_u64_e32 vcc, v[6:7], v[8:9]
	v_cndmask_b32_e32 v4, 0, v4, vcc
	v_add_u32_e32 v4, v4, v18
	v_and_b32_e32 v4, 0xfffff, v4
	v_add_co_u32_e32 v18, vcc, v4, v18
	v_add_u32_e32 v5, 6, v22
	v_addc_co_u32_e32 v19, vcc, 0, v19, vcc
	v_cmp_ne_u32_e32 vcc, 0, v5
                                        ; implicit-def: $vgpr4
	s_and_saveexec_b64 s[22:23], vcc
	s_xor_b64 s[22:23], exec, s[22:23]
; %bb.404:                              ;   in Loop: Header=BB4_124 Depth=2
	v_add_u32_e32 v4, 7, v22
	v_cmp_lt_u64_e32 vcc, s[48:49], v[18:19]
	v_cndmask_b32_e32 v4, v5, v4, vcc
	v_cndmask_b32_e64 v5, 0, 1, vcc
	v_lshrrev_b64 v[18:19], v5, v[18:19]
; %bb.405:                              ;   in Loop: Header=BB4_124 Depth=2
	s_andn2_saveexec_b64 s[22:23], s[22:23]
; %bb.406:                              ;   in Loop: Header=BB4_124 Depth=2
	v_bfe_u32 v4, v18, 23, 1
; %bb.407:                              ;   in Loop: Header=BB4_124 Depth=2
	s_or_b64 exec, exec, s[22:23]
	v_lshrrev_b64 v[6:7], 20, v[18:19]
	v_cmp_gt_i32_e32 vcc, 16, v4
	v_cndmask_b32_e32 v7, 0, v7, vcc
	v_cndmask_b32_e32 v6, 7, v6, vcc
	v_cmp_eq_u32_e32 vcc, 0, v4
	v_min_i32_e32 v4, 15, v4
	v_cmp_eq_u64_e64 s[22:23], 0, v[6:7]
	v_lshlrev_b32_e32 v4, 3, v4
	v_and_or_b32 v4, v6, 7, v4
	s_and_b64 s[22:23], vcc, s[22:23]
	v_cndmask_b32_e64 v4, v4, 0, s[22:23]
	v_or_b32_e32 v28, v4, v2
.LBB4_408:                              ;   in Loop: Header=BB4_124 Depth=2
	s_or_b64 exec, exec, s[60:61]
.LBB4_409:                              ;   in Loop: Header=BB4_124 Depth=2
	s_or_b64 exec, exec, s[58:59]
                                        ; implicit-def: $vgpr4
.LBB4_410:                              ;   in Loop: Header=BB4_124 Depth=2
	s_andn2_saveexec_b64 s[22:23], s[56:57]
; %bb.411:                              ;   in Loop: Header=BB4_124 Depth=2
	v_or_b32_sdwa v2, v4, s76 dst_sel:DWORD dst_unused:UNUSED_PAD src0_sel:BYTE_3 src1_sel:DWORD
	v_cmp_eq_u64_e32 vcc, 0, v[56:57]
	v_cndmask_b32_e32 v28, v2, v28, vcc
; %bb.412:                              ;   in Loop: Header=BB4_124 Depth=2
	s_or_b64 exec, exec, s[22:23]
	v_mov_b32_e32 v56, v25
	v_cmp_ne_u16_sdwa vcc, v25, v57 src0_sel:BYTE_0 src1_sel:DWORD
	v_mov_b32_e32 v4, 0
	v_mov_b32_e32 v2, 0
	s_and_saveexec_b64 s[22:23], vcc
	s_cbranch_execz .LBB4_418
; %bb.413:                              ;   in Loop: Header=BB4_124 Depth=2
	v_cmp_ne_u16_sdwa vcc, v25, s75 src0_sel:BYTE_0 src1_sel:DWORD
	v_bfrev_b32_e32 v2, 1
	s_and_saveexec_b64 s[56:57], vcc
	s_cbranch_execz .LBB4_417
; %bb.414:                              ;   in Loop: Header=BB4_124 Depth=2
	v_and_b32_e32 v5, 0x7f, v25
	v_cmp_ne_u32_e32 vcc, s76, v5
	v_mov_b32_e32 v2, 0x7f800001
	s_and_saveexec_b64 s[58:59], vcc
	s_cbranch_execz .LBB4_416
; %bb.415:                              ;   in Loop: Header=BB4_124 Depth=2
	v_and_b32_e32 v2, 7, v25
	v_ffbh_u32_e32 v2, v2
	v_min_u32_e32 v2, 32, v2
	v_subrev_u32_e32 v7, 28, v2
	v_cmp_gt_u32_e32 vcc, 8, v5
	v_lshrrev_b32_e32 v6, 3, v5
	v_sub_u32_e32 v2, 29, v2
	v_cndmask_b32_e32 v5, 0, v7, vcc
	v_cndmask_b32_e32 v2, v6, v2, vcc
	v_lshlrev_b64 v[6:7], v5, v[56:57]
	v_lshlrev_b32_e32 v5, 20, v6
	v_lshlrev_b32_e32 v6, 24, v56
	v_and_b32_e32 v5, 0x700000, v5
	v_and_b32_e32 v6, 0x80000000, v6
	v_lshl_add_u32 v2, v2, 23, v51
	v_or3_b32 v2, v6, v2, v5
.LBB4_416:                              ;   in Loop: Header=BB4_124 Depth=2
	s_or_b64 exec, exec, s[58:59]
.LBB4_417:                              ;   in Loop: Header=BB4_124 Depth=2
	s_or_b64 exec, exec, s[56:57]
.LBB4_418:                              ;   in Loop: Header=BB4_124 Depth=2
	s_or_b64 exec, exec, s[22:23]
	v_cmp_ne_u16_sdwa vcc, v21, v57 src0_sel:BYTE_0 src1_sel:DWORD
	s_and_saveexec_b64 s[22:23], vcc
	s_cbranch_execz .LBB4_424
; %bb.419:                              ;   in Loop: Header=BB4_124 Depth=2
	v_cmp_ne_u16_sdwa vcc, v21, s75 src0_sel:BYTE_0 src1_sel:DWORD
	v_bfrev_b32_e32 v4, 1
	s_and_saveexec_b64 s[56:57], vcc
	s_cbranch_execz .LBB4_423
; %bb.420:                              ;   in Loop: Header=BB4_124 Depth=2
	v_and_b32_e32 v5, 0x7f, v21
	v_cmp_ne_u32_e32 vcc, s76, v5
	v_mov_b32_e32 v4, 0x7f800001
	s_and_saveexec_b64 s[58:59], vcc
	s_cbranch_execz .LBB4_422
; %bb.421:                              ;   in Loop: Header=BB4_124 Depth=2
	v_and_b32_e32 v4, 7, v21
	v_ffbh_u32_e32 v4, v4
	v_min_u32_e32 v4, 32, v4
	v_lshrrev_b32_e32 v8, 3, v5
	v_subrev_u32_e32 v9, 28, v4
	v_sub_u32_e32 v4, 29, v4
	v_cmp_gt_u32_e32 vcc, 8, v5
	v_mov_b32_e32 v6, v21
	v_mov_b32_e32 v7, v57
	v_cndmask_b32_e32 v8, v8, v4, vcc
	v_cndmask_b32_e32 v4, 0, v9, vcc
	v_lshlrev_b64 v[4:5], v4, v[6:7]
	v_lshlrev_b32_e32 v4, 20, v4
	v_lshlrev_b32_e32 v5, 24, v6
	v_and_b32_e32 v4, 0x700000, v4
	v_and_b32_e32 v5, 0x80000000, v5
	v_lshl_add_u32 v6, v8, 23, v51
	v_or3_b32 v4, v5, v6, v4
.LBB4_422:                              ;   in Loop: Header=BB4_124 Depth=2
	s_or_b64 exec, exec, s[58:59]
.LBB4_423:                              ;   in Loop: Header=BB4_124 Depth=2
	s_or_b64 exec, exec, s[56:57]
.LBB4_424:                              ;   in Loop: Header=BB4_124 Depth=2
	s_or_b64 exec, exec, s[22:23]
	v_add_f32_e32 v4, v2, v4
	v_and_b32_sdwa v2, v4, s75 dst_sel:DWORD dst_unused:UNUSED_PAD src0_sel:BYTE_3 src1_sel:DWORD
	v_and_b32_e32 v6, 0x7f800000, v4
	v_mov_b32_e32 v7, v57
	v_and_b32_e32 v18, 0x7fffff, v4
	v_mov_b32_e32 v19, v57
	v_or_b32_e32 v52, 0x7e, v2
	v_cmp_ne_u64_e32 vcc, s[42:43], v[6:7]
	s_and_saveexec_b64 s[22:23], vcc
	s_xor_b64 s[56:57], exec, s[22:23]
	s_cbranch_execz .LBB4_434
; %bb.425:                              ;   in Loop: Header=BB4_124 Depth=2
	v_and_b32_e32 v6, 0x7fffffff, v4
	v_mov_b32_e32 v7, v57
	v_cmp_gt_u64_e32 vcc, s[44:45], v[6:7]
	s_and_saveexec_b64 s[58:59], vcc
	s_cbranch_execz .LBB4_433
; %bb.426:                              ;   in Loop: Header=BB4_124 Depth=2
	v_cmp_ne_u32_e32 vcc, 0, v4
	v_mov_b32_e32 v52, 0
	s_and_saveexec_b64 s[60:61], vcc
	s_cbranch_execz .LBB4_432
; %bb.427:                              ;   in Loop: Header=BB4_124 Depth=2
	v_bfe_u32 v4, v4, 23, 8
	v_sub_u32_e32 v6, 0x79, v4
	v_cmp_gt_u32_e32 vcc, s77, v4
	v_add_u32_e32 v5, 0xffffff81, v4
	v_cndmask_b32_e32 v6, 0, v6, vcc
	v_cmp_eq_u32_e32 vcc, 0, v4
	v_mov_b32_e32 v4, 0xffffff82
	v_cndmask_b32_e32 v22, v5, v4, vcc
	v_mov_b32_e32 v4, 0x78
	v_cndmask_b32_e32 v26, v6, v4, vcc
	v_add_u32_e32 v4, 20, v26
	v_or_b32_e32 v7, 0x800000, v18
	v_lshlrev_b64 v[4:5], v4, -1
	v_cndmask_b32_e32 v18, v7, v18, vcc
	v_not_b32_e32 v4, v4
	v_and_b32_e32 v6, v18, v4
	v_add_u32_e32 v4, 19, v26
	v_lshrrev_b64 v[18:19], v26, v[18:19]
	v_not_b32_e32 v5, v5
	v_lshlrev_b64 v[8:9], v4, 1
	v_lshrrev_b32_e32 v4, 23, v18
	v_and_b32_e32 v7, 0, v5
	v_add3_u32 v22, v26, v22, v4
	v_bfe_u32 v4, v18, 20, 1
	v_add_u32_e32 v4, -1, v4
	v_cmp_eq_u64_e32 vcc, v[6:7], v[8:9]
	v_cndmask_b32_e32 v4, 0, v4, vcc
	v_add_u32_e32 v4, v4, v18
	v_and_b32_e32 v4, 0xfffff, v4
	v_add_co_u32_e32 v18, vcc, v4, v18
	v_add_u32_e32 v5, 6, v22
	v_addc_co_u32_e32 v19, vcc, 0, v19, vcc
	v_cmp_ne_u32_e32 vcc, 0, v5
                                        ; implicit-def: $vgpr4
	s_and_saveexec_b64 s[22:23], vcc
	s_xor_b64 s[22:23], exec, s[22:23]
; %bb.428:                              ;   in Loop: Header=BB4_124 Depth=2
	v_add_u32_e32 v4, 7, v22
	v_cmp_lt_u64_e32 vcc, s[48:49], v[18:19]
	v_cndmask_b32_e32 v4, v5, v4, vcc
	v_cndmask_b32_e64 v5, 0, 1, vcc
	v_lshrrev_b64 v[18:19], v5, v[18:19]
; %bb.429:                              ;   in Loop: Header=BB4_124 Depth=2
	s_andn2_saveexec_b64 s[22:23], s[22:23]
; %bb.430:                              ;   in Loop: Header=BB4_124 Depth=2
	v_bfe_u32 v4, v18, 23, 1
; %bb.431:                              ;   in Loop: Header=BB4_124 Depth=2
	s_or_b64 exec, exec, s[22:23]
	v_lshrrev_b64 v[6:7], 20, v[18:19]
	v_cmp_gt_i32_e32 vcc, 16, v4
	v_cndmask_b32_e32 v7, 0, v7, vcc
	v_cndmask_b32_e32 v6, 7, v6, vcc
	v_cmp_eq_u32_e32 vcc, 0, v4
	v_min_i32_e32 v4, 15, v4
	v_cmp_eq_u64_e64 s[22:23], 0, v[6:7]
	v_lshlrev_b32_e32 v4, 3, v4
	v_and_or_b32 v4, v6, 7, v4
	s_and_b64 s[22:23], vcc, s[22:23]
	v_cndmask_b32_e64 v4, v4, 0, s[22:23]
	v_or_b32_e32 v52, v4, v2
.LBB4_432:                              ;   in Loop: Header=BB4_124 Depth=2
	s_or_b64 exec, exec, s[60:61]
.LBB4_433:                              ;   in Loop: Header=BB4_124 Depth=2
	s_or_b64 exec, exec, s[58:59]
                                        ; implicit-def: $vgpr4
                                        ; implicit-def: $vgpr18_vgpr19
.LBB4_434:                              ;   in Loop: Header=BB4_124 Depth=2
	s_andn2_saveexec_b64 s[22:23], s[56:57]
; %bb.435:                              ;   in Loop: Header=BB4_124 Depth=2
	v_or_b32_sdwa v2, v4, s76 dst_sel:DWORD dst_unused:UNUSED_PAD src0_sel:BYTE_3 src1_sel:DWORD
	v_cmp_eq_u64_e32 vcc, 0, v[18:19]
	v_cndmask_b32_e32 v52, v2, v52, vcc
; %bb.436:                              ;   in Loop: Header=BB4_124 Depth=2
	s_or_b64 exec, exec, s[22:23]
	v_lshrrev_b16_e32 v18, 8, v56
	v_cmp_ne_u16_e32 vcc, 0, v18
	v_mov_b32_e32 v2, 0
	v_mov_b32_e32 v4, 0
	s_and_saveexec_b64 s[22:23], vcc
	s_cbranch_execz .LBB4_442
; %bb.437:                              ;   in Loop: Header=BB4_124 Depth=2
	v_cmp_ne_u16_e32 vcc, s75, v18
	v_bfrev_b32_e32 v4, 1
	s_and_saveexec_b64 s[56:57], vcc
	s_cbranch_execz .LBB4_441
; %bb.438:                              ;   in Loop: Header=BB4_124 Depth=2
	v_and_b32_e32 v5, 0x7f, v18
	v_cmp_ne_u32_e32 vcc, s76, v5
	v_mov_b32_e32 v4, 0x7f800001
	s_and_saveexec_b64 s[58:59], vcc
	s_cbranch_execz .LBB4_440
; %bb.439:                              ;   in Loop: Header=BB4_124 Depth=2
	v_and_b32_e32 v4, 7, v18
	v_ffbh_u32_e32 v6, v4
	v_min_u32_e32 v9, 32, v6
	v_subrev_u32_e32 v6, 28, v9
	v_lshlrev_b64 v[6:7], v6, v[18:19]
	v_lshrrev_b32_e32 v8, 3, v5
	v_sub_u32_e32 v7, 29, v9
	v_and_b32_e32 v6, 7, v6
	v_cmp_gt_u32_e32 vcc, 8, v5
	v_cndmask_b32_e32 v5, v8, v7, vcc
	v_cndmask_b32_e32 v4, v4, v6, vcc
	v_lshlrev_b32_e32 v6, 16, v56
	v_lshlrev_b32_e32 v4, 20, v4
	v_and_b32_e32 v6, 0x80000000, v6
	v_lshl_add_u32 v5, v5, 23, v51
	v_or3_b32 v4, v6, v5, v4
.LBB4_440:                              ;   in Loop: Header=BB4_124 Depth=2
	s_or_b64 exec, exec, s[58:59]
.LBB4_441:                              ;   in Loop: Header=BB4_124 Depth=2
	s_or_b64 exec, exec, s[56:57]
.LBB4_442:                              ;   in Loop: Header=BB4_124 Depth=2
	s_or_b64 exec, exec, s[22:23]
	v_mov_b32_e32 v18, v21
	v_lshrrev_b16_e32 v22, 8, v18
	v_cmp_ne_u16_e32 vcc, 0, v22
	s_and_saveexec_b64 s[22:23], vcc
	s_cbranch_execz .LBB4_448
; %bb.443:                              ;   in Loop: Header=BB4_124 Depth=2
	v_cmp_ne_u16_e32 vcc, s75, v22
	v_bfrev_b32_e32 v2, 1
	s_and_saveexec_b64 s[56:57], vcc
	s_cbranch_execz .LBB4_447
; %bb.444:                              ;   in Loop: Header=BB4_124 Depth=2
	v_and_b32_e32 v5, 0x7f, v22
	v_cmp_ne_u32_e32 vcc, s76, v5
	v_mov_b32_e32 v2, 0x7f800001
	s_and_saveexec_b64 s[58:59], vcc
	s_cbranch_execz .LBB4_446
; %bb.445:                              ;   in Loop: Header=BB4_124 Depth=2
	v_and_b32_e32 v2, 7, v22
	v_ffbh_u32_e32 v6, v2
	v_min_u32_e32 v9, 32, v6
	v_subrev_u32_e32 v6, 28, v9
	v_lshlrev_b64 v[6:7], v6, v[22:23]
	v_lshrrev_b32_e32 v8, 3, v5
	v_sub_u32_e32 v7, 29, v9
	v_and_b32_e32 v6, 7, v6
	v_cmp_gt_u32_e32 vcc, 8, v5
	v_cndmask_b32_e32 v5, v8, v7, vcc
	v_cndmask_b32_e32 v2, v2, v6, vcc
	v_lshlrev_b32_e32 v6, 16, v18
	v_lshlrev_b32_e32 v2, 20, v2
	v_and_b32_e32 v6, 0x80000000, v6
	v_lshl_add_u32 v5, v5, 23, v51
	v_or3_b32 v2, v6, v5, v2
.LBB4_446:                              ;   in Loop: Header=BB4_124 Depth=2
	s_or_b64 exec, exec, s[58:59]
.LBB4_447:                              ;   in Loop: Header=BB4_124 Depth=2
	s_or_b64 exec, exec, s[56:57]
.LBB4_448:                              ;   in Loop: Header=BB4_124 Depth=2
	s_or_b64 exec, exec, s[22:23]
	v_add_f32_e32 v4, v4, v2
	v_and_b32_sdwa v2, v4, s75 dst_sel:DWORD dst_unused:UNUSED_PAD src0_sel:BYTE_3 src1_sel:DWORD
	v_and_b32_e32 v6, 0x7f800000, v4
	v_mov_b32_e32 v7, v57
	v_and_b32_e32 v56, 0x7fffff, v4
	v_or_b32_e32 v22, 0x7e, v2
	v_cmp_ne_u64_e32 vcc, s[42:43], v[6:7]
	s_and_saveexec_b64 s[22:23], vcc
	s_xor_b64 s[56:57], exec, s[22:23]
	s_cbranch_execz .LBB4_458
; %bb.449:                              ;   in Loop: Header=BB4_124 Depth=2
	v_and_b32_e32 v6, 0x7fffffff, v4
	v_mov_b32_e32 v7, v57
	v_cmp_gt_u64_e32 vcc, s[44:45], v[6:7]
	s_and_saveexec_b64 s[58:59], vcc
	s_cbranch_execz .LBB4_457
; %bb.450:                              ;   in Loop: Header=BB4_124 Depth=2
	v_cmp_ne_u32_e32 vcc, 0, v4
	v_mov_b32_e32 v22, 0
	s_and_saveexec_b64 s[60:61], vcc
	s_cbranch_execz .LBB4_456
; %bb.451:                              ;   in Loop: Header=BB4_124 Depth=2
	v_bfe_u32 v4, v4, 23, 8
	v_sub_u32_e32 v6, 0x79, v4
	v_cmp_gt_u32_e32 vcc, s77, v4
	v_add_u32_e32 v5, 0xffffff81, v4
	v_cndmask_b32_e32 v6, 0, v6, vcc
	v_cmp_eq_u32_e32 vcc, 0, v4
	v_mov_b32_e32 v4, 0xffffff82
	v_cndmask_b32_e32 v22, v5, v4, vcc
	v_mov_b32_e32 v4, 0x78
	v_cndmask_b32_e32 v26, v6, v4, vcc
	v_add_u32_e32 v4, 20, v26
	v_or_b32_e32 v7, 0x800000, v56
	v_lshlrev_b64 v[4:5], v4, -1
	v_cndmask_b32_e32 v56, v7, v56, vcc
	v_not_b32_e32 v4, v4
	v_and_b32_e32 v6, v56, v4
	v_add_u32_e32 v4, 19, v26
	v_lshrrev_b64 v[18:19], v26, v[56:57]
	v_not_b32_e32 v5, v5
	v_lshlrev_b64 v[8:9], v4, 1
	v_lshrrev_b32_e32 v4, 23, v18
	v_and_b32_e32 v7, 0, v5
	v_add3_u32 v22, v26, v22, v4
	v_bfe_u32 v4, v18, 20, 1
	v_add_u32_e32 v4, -1, v4
	v_cmp_eq_u64_e32 vcc, v[6:7], v[8:9]
	v_cndmask_b32_e32 v4, 0, v4, vcc
	v_add_u32_e32 v4, v4, v18
	v_and_b32_e32 v4, 0xfffff, v4
	v_add_co_u32_e32 v18, vcc, v4, v18
	v_add_u32_e32 v5, 6, v22
	v_addc_co_u32_e32 v19, vcc, 0, v19, vcc
	v_cmp_ne_u32_e32 vcc, 0, v5
                                        ; implicit-def: $vgpr4
	s_and_saveexec_b64 s[22:23], vcc
	s_xor_b64 s[22:23], exec, s[22:23]
; %bb.452:                              ;   in Loop: Header=BB4_124 Depth=2
	v_add_u32_e32 v4, 7, v22
	v_cmp_lt_u64_e32 vcc, s[48:49], v[18:19]
	v_cndmask_b32_e32 v4, v5, v4, vcc
	v_cndmask_b32_e64 v5, 0, 1, vcc
	v_lshrrev_b64 v[18:19], v5, v[18:19]
; %bb.453:                              ;   in Loop: Header=BB4_124 Depth=2
	s_andn2_saveexec_b64 s[22:23], s[22:23]
; %bb.454:                              ;   in Loop: Header=BB4_124 Depth=2
	v_bfe_u32 v4, v18, 23, 1
; %bb.455:                              ;   in Loop: Header=BB4_124 Depth=2
	s_or_b64 exec, exec, s[22:23]
	v_lshrrev_b64 v[6:7], 20, v[18:19]
	v_cmp_gt_i32_e32 vcc, 16, v4
	v_cndmask_b32_e32 v7, 0, v7, vcc
	v_cndmask_b32_e32 v6, 7, v6, vcc
	v_cmp_eq_u32_e32 vcc, 0, v4
	v_min_i32_e32 v4, 15, v4
	v_cmp_eq_u64_e64 s[22:23], 0, v[6:7]
	v_lshlrev_b32_e32 v4, 3, v4
	v_and_or_b32 v4, v6, 7, v4
	s_and_b64 s[22:23], vcc, s[22:23]
	v_cndmask_b32_e64 v4, v4, 0, s[22:23]
	v_or_b32_e32 v22, v4, v2
.LBB4_456:                              ;   in Loop: Header=BB4_124 Depth=2
	s_or_b64 exec, exec, s[60:61]
.LBB4_457:                              ;   in Loop: Header=BB4_124 Depth=2
	s_or_b64 exec, exec, s[58:59]
                                        ; implicit-def: $vgpr4
.LBB4_458:                              ;   in Loop: Header=BB4_124 Depth=2
	s_andn2_saveexec_b64 s[22:23], s[56:57]
; %bb.459:                              ;   in Loop: Header=BB4_124 Depth=2
	v_or_b32_sdwa v2, v4, s76 dst_sel:DWORD dst_unused:UNUSED_PAD src0_sel:BYTE_3 src1_sel:DWORD
	v_cmp_eq_u64_e32 vcc, 0, v[56:57]
	v_cndmask_b32_e32 v22, v2, v22, vcc
; %bb.460:                              ;   in Loop: Header=BB4_124 Depth=2
	s_or_b64 exec, exec, s[22:23]
	v_lshrrev_b32_e32 v18, 16, v25
	v_cmp_ne_u16_sdwa vcc, v18, v57 src0_sel:BYTE_0 src1_sel:DWORD
	v_mov_b32_e32 v2, 0
	v_mov_b32_e32 v4, 0
	s_and_saveexec_b64 s[22:23], vcc
	s_cbranch_execz .LBB4_466
; %bb.461:                              ;   in Loop: Header=BB4_124 Depth=2
	v_cmp_ne_u16_sdwa vcc, v18, s75 src0_sel:BYTE_0 src1_sel:DWORD
	v_bfrev_b32_e32 v4, 1
	s_and_saveexec_b64 s[56:57], vcc
	s_cbranch_execz .LBB4_465
; %bb.462:                              ;   in Loop: Header=BB4_124 Depth=2
	v_bfe_u32 v5, v25, 16, 7
	v_cmp_ne_u32_e32 vcc, s76, v5
	v_mov_b32_e32 v4, 0x7f800001
	s_and_saveexec_b64 s[58:59], vcc
	s_cbranch_execz .LBB4_464
; %bb.463:                              ;   in Loop: Header=BB4_124 Depth=2
	v_and_b32_e32 v4, 7, v18
	v_ffbh_u32_e32 v6, v4
	v_min_u32_e32 v9, 32, v6
	v_subrev_u32_e32 v6, 28, v9
	v_lshlrev_b64 v[6:7], v6, v[18:19]
	v_lshrrev_b32_e32 v8, 3, v5
	v_sub_u32_e32 v7, 29, v9
	v_and_b32_e32 v6, 7, v6
	v_cmp_gt_u32_e32 vcc, 8, v5
	v_cndmask_b32_e32 v5, v8, v7, vcc
	v_cndmask_b32_e32 v4, v4, v6, vcc
	v_lshlrev_b32_e32 v6, 24, v18
	v_lshlrev_b32_e32 v4, 20, v4
	v_and_b32_e32 v6, 0x80000000, v6
	v_lshl_add_u32 v5, v5, 23, v51
	v_or3_b32 v4, v6, v5, v4
.LBB4_464:                              ;   in Loop: Header=BB4_124 Depth=2
	s_or_b64 exec, exec, s[58:59]
.LBB4_465:                              ;   in Loop: Header=BB4_124 Depth=2
	s_or_b64 exec, exec, s[56:57]
.LBB4_466:                              ;   in Loop: Header=BB4_124 Depth=2
	s_or_b64 exec, exec, s[22:23]
	v_lshrrev_b32_e32 v18, 16, v21
	v_cmp_ne_u16_sdwa vcc, v18, v57 src0_sel:BYTE_0 src1_sel:DWORD
	s_and_saveexec_b64 s[22:23], vcc
	s_cbranch_execz .LBB4_472
; %bb.467:                              ;   in Loop: Header=BB4_124 Depth=2
	v_cmp_ne_u16_sdwa vcc, v18, s75 src0_sel:BYTE_0 src1_sel:DWORD
	v_bfrev_b32_e32 v2, 1
	s_and_saveexec_b64 s[56:57], vcc
	s_cbranch_execz .LBB4_471
; %bb.468:                              ;   in Loop: Header=BB4_124 Depth=2
	v_bfe_u32 v5, v21, 16, 7
	v_cmp_ne_u32_e32 vcc, s76, v5
	v_mov_b32_e32 v2, 0x7f800001
	s_and_saveexec_b64 s[58:59], vcc
	s_cbranch_execz .LBB4_470
; %bb.469:                              ;   in Loop: Header=BB4_124 Depth=2
	v_and_b32_e32 v2, 7, v18
	v_ffbh_u32_e32 v6, v2
	v_min_u32_e32 v9, 32, v6
	v_subrev_u32_e32 v6, 28, v9
	v_lshlrev_b64 v[6:7], v6, v[18:19]
	v_lshrrev_b32_e32 v8, 3, v5
	v_sub_u32_e32 v7, 29, v9
	v_and_b32_e32 v6, 7, v6
	v_cmp_gt_u32_e32 vcc, 8, v5
	v_cndmask_b32_e32 v5, v8, v7, vcc
	v_cndmask_b32_e32 v2, v2, v6, vcc
	v_lshlrev_b32_e32 v6, 8, v21
	v_lshlrev_b32_e32 v2, 20, v2
	v_and_b32_e32 v6, 0x80000000, v6
	v_lshl_add_u32 v5, v5, 23, v51
	v_or3_b32 v2, v6, v5, v2
.LBB4_470:                              ;   in Loop: Header=BB4_124 Depth=2
	s_or_b64 exec, exec, s[58:59]
.LBB4_471:                              ;   in Loop: Header=BB4_124 Depth=2
	s_or_b64 exec, exec, s[56:57]
.LBB4_472:                              ;   in Loop: Header=BB4_124 Depth=2
	s_or_b64 exec, exec, s[22:23]
	v_add_f32_e32 v4, v4, v2
	v_and_b32_sdwa v2, v4, s75 dst_sel:DWORD dst_unused:UNUSED_PAD src0_sel:BYTE_3 src1_sel:DWORD
	v_and_b32_e32 v6, 0x7f800000, v4
	v_mov_b32_e32 v7, v57
	v_and_b32_e32 v56, 0x7fffff, v4
	v_or_b32_e32 v46, 0x7e, v2
	v_cmp_ne_u64_e32 vcc, s[42:43], v[6:7]
	s_and_saveexec_b64 s[22:23], vcc
	s_xor_b64 s[56:57], exec, s[22:23]
	s_cbranch_execz .LBB4_482
; %bb.473:                              ;   in Loop: Header=BB4_124 Depth=2
	v_and_b32_e32 v6, 0x7fffffff, v4
	v_mov_b32_e32 v7, v57
	v_cmp_gt_u64_e32 vcc, s[44:45], v[6:7]
	s_and_saveexec_b64 s[58:59], vcc
	s_cbranch_execz .LBB4_481
; %bb.474:                              ;   in Loop: Header=BB4_124 Depth=2
	v_cmp_ne_u32_e32 vcc, 0, v4
	v_mov_b32_e32 v46, 0
	s_and_saveexec_b64 s[60:61], vcc
	s_cbranch_execz .LBB4_480
; %bb.475:                              ;   in Loop: Header=BB4_124 Depth=2
	v_bfe_u32 v4, v4, 23, 8
	v_sub_u32_e32 v6, 0x79, v4
	v_cmp_gt_u32_e32 vcc, s77, v4
	v_add_u32_e32 v5, 0xffffff81, v4
	v_cndmask_b32_e32 v6, 0, v6, vcc
	v_cmp_eq_u32_e32 vcc, 0, v4
	v_mov_b32_e32 v4, 0xffffff82
	v_cndmask_b32_e32 v26, v5, v4, vcc
	v_mov_b32_e32 v4, 0x78
	v_cndmask_b32_e32 v27, v6, v4, vcc
	v_add_u32_e32 v4, 20, v27
	v_or_b32_e32 v7, 0x800000, v56
	v_lshlrev_b64 v[4:5], v4, -1
	v_cndmask_b32_e32 v56, v7, v56, vcc
	v_not_b32_e32 v4, v4
	v_and_b32_e32 v6, v56, v4
	v_add_u32_e32 v4, 19, v27
	v_lshrrev_b64 v[18:19], v27, v[56:57]
	v_not_b32_e32 v5, v5
	v_lshlrev_b64 v[8:9], v4, 1
	v_lshrrev_b32_e32 v4, 23, v18
	v_and_b32_e32 v7, 0, v5
	v_add3_u32 v26, v27, v26, v4
	v_bfe_u32 v4, v18, 20, 1
	v_add_u32_e32 v4, -1, v4
	v_cmp_eq_u64_e32 vcc, v[6:7], v[8:9]
	v_cndmask_b32_e32 v4, 0, v4, vcc
	v_add_u32_e32 v4, v4, v18
	v_and_b32_e32 v4, 0xfffff, v4
	v_add_co_u32_e32 v18, vcc, v4, v18
	v_add_u32_e32 v5, 6, v26
	v_addc_co_u32_e32 v19, vcc, 0, v19, vcc
	v_cmp_ne_u32_e32 vcc, 0, v5
                                        ; implicit-def: $vgpr4
	s_and_saveexec_b64 s[22:23], vcc
	s_xor_b64 s[22:23], exec, s[22:23]
; %bb.476:                              ;   in Loop: Header=BB4_124 Depth=2
	v_add_u32_e32 v4, 7, v26
	v_cmp_lt_u64_e32 vcc, s[48:49], v[18:19]
	v_cndmask_b32_e32 v4, v5, v4, vcc
	v_cndmask_b32_e64 v5, 0, 1, vcc
	v_lshrrev_b64 v[18:19], v5, v[18:19]
; %bb.477:                              ;   in Loop: Header=BB4_124 Depth=2
	s_andn2_saveexec_b64 s[22:23], s[22:23]
; %bb.478:                              ;   in Loop: Header=BB4_124 Depth=2
	v_bfe_u32 v4, v18, 23, 1
; %bb.479:                              ;   in Loop: Header=BB4_124 Depth=2
	s_or_b64 exec, exec, s[22:23]
	v_lshrrev_b64 v[6:7], 20, v[18:19]
	v_cmp_gt_i32_e32 vcc, 16, v4
	v_cndmask_b32_e32 v7, 0, v7, vcc
	v_cndmask_b32_e32 v6, 7, v6, vcc
	v_cmp_eq_u32_e32 vcc, 0, v4
	v_min_i32_e32 v4, 15, v4
	v_lshlrev_b32_e32 v4, 3, v4
	v_cmp_eq_u64_e64 s[22:23], 0, v[6:7]
	v_and_b32_e32 v4, 0xf8, v4
	v_and_or_b32 v4, v6, 7, v4
	s_and_b64 s[22:23], vcc, s[22:23]
	v_cndmask_b32_e64 v4, v4, 0, s[22:23]
	v_or_b32_e32 v46, v4, v2
.LBB4_480:                              ;   in Loop: Header=BB4_124 Depth=2
	s_or_b64 exec, exec, s[60:61]
.LBB4_481:                              ;   in Loop: Header=BB4_124 Depth=2
	s_or_b64 exec, exec, s[58:59]
                                        ; implicit-def: $vgpr4
.LBB4_482:                              ;   in Loop: Header=BB4_124 Depth=2
	s_andn2_saveexec_b64 s[22:23], s[56:57]
; %bb.483:                              ;   in Loop: Header=BB4_124 Depth=2
	v_or_b32_sdwa v2, v4, s76 dst_sel:DWORD dst_unused:UNUSED_PAD src0_sel:BYTE_3 src1_sel:DWORD
	v_cmp_eq_u64_e32 vcc, 0, v[56:57]
	v_cndmask_b32_e32 v46, v2, v46, vcc
; %bb.484:                              ;   in Loop: Header=BB4_124 Depth=2
	s_or_b64 exec, exec, s[22:23]
	v_cmp_lt_u64_e32 vcc, s[46:47], v[24:25]
	v_mov_b32_e32 v2, 0
	v_mov_b32_e32 v4, 0
	s_and_saveexec_b64 s[22:23], vcc
	s_cbranch_execz .LBB4_490
; %bb.485:                              ;   in Loop: Header=BB4_124 Depth=2
	v_lshrrev_b32_e32 v18, 24, v25
	v_cmp_ne_u32_e32 vcc, s75, v18
	v_bfrev_b32_e32 v4, 1
	s_and_saveexec_b64 s[56:57], vcc
	s_cbranch_execz .LBB4_489
; %bb.486:                              ;   in Loop: Header=BB4_124 Depth=2
	v_bfe_u32 v5, v25, 24, 7
	v_cmp_ne_u32_e32 vcc, s76, v5
	v_mov_b32_e32 v4, 0x7f800001
	s_and_saveexec_b64 s[58:59], vcc
	s_cbranch_execz .LBB4_488
; %bb.487:                              ;   in Loop: Header=BB4_124 Depth=2
	v_and_b32_e32 v4, 7, v18
	v_ffbh_u32_e32 v6, v4
	v_min_u32_e32 v9, 32, v6
	v_subrev_u32_e32 v6, 28, v9
	v_lshlrev_b64 v[6:7], v6, v[18:19]
	v_lshrrev_b32_e32 v8, 3, v5
	v_sub_u32_e32 v7, 29, v9
	v_and_b32_e32 v6, 7, v6
	v_cmp_gt_u32_e32 vcc, 8, v5
	v_cndmask_b32_e32 v5, v8, v7, vcc
	v_cndmask_b32_e32 v4, v4, v6, vcc
	v_lshlrev_b32_e32 v6, 24, v18
	v_lshlrev_b32_e32 v4, 20, v4
	v_and_b32_e32 v6, 0x80000000, v6
	v_lshl_add_u32 v5, v5, 23, v51
	v_or3_b32 v4, v6, v5, v4
.LBB4_488:                              ;   in Loop: Header=BB4_124 Depth=2
	s_or_b64 exec, exec, s[58:59]
.LBB4_489:                              ;   in Loop: Header=BB4_124 Depth=2
	s_or_b64 exec, exec, s[56:57]
.LBB4_490:                              ;   in Loop: Header=BB4_124 Depth=2
	s_or_b64 exec, exec, s[22:23]
	v_cmp_lt_u64_e32 vcc, s[46:47], v[20:21]
	s_and_saveexec_b64 s[22:23], vcc
	s_cbranch_execz .LBB4_496
; %bb.491:                              ;   in Loop: Header=BB4_124 Depth=2
	v_lshrrev_b32_e32 v18, 24, v21
	v_cmp_ne_u32_e32 vcc, s75, v18
	v_bfrev_b32_e32 v2, 1
	s_and_saveexec_b64 s[56:57], vcc
	s_cbranch_execz .LBB4_495
; %bb.492:                              ;   in Loop: Header=BB4_124 Depth=2
	v_bfe_u32 v5, v21, 24, 7
	v_cmp_ne_u32_e32 vcc, s76, v5
	v_mov_b32_e32 v2, 0x7f800001
	s_and_saveexec_b64 s[58:59], vcc
	s_cbranch_execz .LBB4_494
; %bb.493:                              ;   in Loop: Header=BB4_124 Depth=2
	v_and_b32_e32 v2, 7, v18
	v_ffbh_u32_e32 v6, v2
	v_min_u32_e32 v9, 32, v6
	v_subrev_u32_e32 v6, 28, v9
	v_lshlrev_b64 v[6:7], v6, v[18:19]
	v_lshrrev_b32_e32 v8, 3, v5
	v_sub_u32_e32 v7, 29, v9
	v_and_b32_e32 v6, 7, v6
	v_cmp_gt_u32_e32 vcc, 8, v5
	v_cndmask_b32_e32 v5, v8, v7, vcc
	v_cndmask_b32_e32 v2, v2, v6, vcc
	v_lshlrev_b32_e32 v6, 24, v18
	v_lshlrev_b32_e32 v2, 20, v2
	v_and_b32_e32 v6, 0x80000000, v6
	v_lshl_add_u32 v5, v5, 23, v51
	v_or3_b32 v2, v6, v5, v2
.LBB4_494:                              ;   in Loop: Header=BB4_124 Depth=2
	s_or_b64 exec, exec, s[58:59]
.LBB4_495:                              ;   in Loop: Header=BB4_124 Depth=2
	s_or_b64 exec, exec, s[56:57]
.LBB4_496:                              ;   in Loop: Header=BB4_124 Depth=2
	s_or_b64 exec, exec, s[22:23]
	v_add_f32_e32 v4, v4, v2
	v_and_b32_sdwa v2, v4, s75 dst_sel:DWORD dst_unused:UNUSED_PAD src0_sel:BYTE_3 src1_sel:DWORD
	v_and_b32_e32 v6, 0x7f800000, v4
	v_mov_b32_e32 v7, v57
	v_and_b32_e32 v56, 0x7fffff, v4
	v_or_b32_e32 v21, 0x7e, v2
	v_cmp_ne_u64_e32 vcc, s[42:43], v[6:7]
	s_and_saveexec_b64 s[22:23], vcc
	s_xor_b64 s[56:57], exec, s[22:23]
	s_cbranch_execz .LBB4_506
; %bb.497:                              ;   in Loop: Header=BB4_124 Depth=2
	v_and_b32_e32 v6, 0x7fffffff, v4
	v_mov_b32_e32 v7, v57
	v_cmp_gt_u64_e32 vcc, s[44:45], v[6:7]
	s_and_saveexec_b64 s[58:59], vcc
	s_cbranch_execz .LBB4_505
; %bb.498:                              ;   in Loop: Header=BB4_124 Depth=2
	v_cmp_ne_u32_e32 vcc, 0, v4
	v_mov_b32_e32 v21, 0
	s_and_saveexec_b64 s[60:61], vcc
	s_cbranch_execz .LBB4_504
; %bb.499:                              ;   in Loop: Header=BB4_124 Depth=2
	v_bfe_u32 v4, v4, 23, 8
	v_sub_u32_e32 v6, 0x79, v4
	v_cmp_gt_u32_e32 vcc, s77, v4
	v_add_u32_e32 v5, 0xffffff81, v4
	v_cndmask_b32_e32 v6, 0, v6, vcc
	v_cmp_eq_u32_e32 vcc, 0, v4
	v_mov_b32_e32 v4, 0xffffff82
	v_cndmask_b32_e32 v20, v5, v4, vcc
	v_mov_b32_e32 v4, 0x78
	v_cndmask_b32_e32 v21, v6, v4, vcc
	v_add_u32_e32 v4, 20, v21
	v_or_b32_e32 v7, 0x800000, v56
	v_lshlrev_b64 v[4:5], v4, -1
	v_cndmask_b32_e32 v56, v7, v56, vcc
	v_not_b32_e32 v4, v4
	v_and_b32_e32 v6, v56, v4
	v_add_u32_e32 v4, 19, v21
	v_lshrrev_b64 v[18:19], v21, v[56:57]
	v_not_b32_e32 v5, v5
	v_lshlrev_b64 v[8:9], v4, 1
	v_lshrrev_b32_e32 v4, 23, v18
	v_and_b32_e32 v7, 0, v5
	v_add3_u32 v20, v21, v20, v4
	v_bfe_u32 v4, v18, 20, 1
	v_add_u32_e32 v4, -1, v4
	v_cmp_eq_u64_e32 vcc, v[6:7], v[8:9]
	v_cndmask_b32_e32 v4, 0, v4, vcc
	v_add_u32_e32 v4, v4, v18
	v_and_b32_e32 v4, 0xfffff, v4
	v_add_co_u32_e32 v18, vcc, v4, v18
	v_add_u32_e32 v5, 6, v20
	v_addc_co_u32_e32 v19, vcc, 0, v19, vcc
	v_cmp_ne_u32_e32 vcc, 0, v5
                                        ; implicit-def: $vgpr4
	s_and_saveexec_b64 s[22:23], vcc
	s_xor_b64 s[22:23], exec, s[22:23]
; %bb.500:                              ;   in Loop: Header=BB4_124 Depth=2
	v_add_u32_e32 v4, 7, v20
	v_cmp_lt_u64_e32 vcc, s[48:49], v[18:19]
	v_cndmask_b32_e32 v4, v5, v4, vcc
	v_cndmask_b32_e64 v5, 0, 1, vcc
	v_lshrrev_b64 v[18:19], v5, v[18:19]
; %bb.501:                              ;   in Loop: Header=BB4_124 Depth=2
	s_andn2_saveexec_b64 s[22:23], s[22:23]
; %bb.502:                              ;   in Loop: Header=BB4_124 Depth=2
	v_bfe_u32 v4, v18, 23, 1
; %bb.503:                              ;   in Loop: Header=BB4_124 Depth=2
	s_or_b64 exec, exec, s[22:23]
	v_lshrrev_b64 v[6:7], 20, v[18:19]
	v_cmp_gt_i32_e32 vcc, 16, v4
	v_cndmask_b32_e32 v7, 0, v7, vcc
	v_cndmask_b32_e32 v6, 7, v6, vcc
	v_cmp_eq_u32_e32 vcc, 0, v4
	v_min_i32_e32 v4, 15, v4
	v_lshlrev_b32_e32 v4, 3, v4
	v_cmp_eq_u64_e64 s[22:23], 0, v[6:7]
	v_and_b32_e32 v4, 0xf8, v4
	v_and_or_b32 v4, v6, 7, v4
	s_and_b64 s[22:23], vcc, s[22:23]
	v_cndmask_b32_e64 v4, v4, 0, s[22:23]
	v_or_b32_e32 v21, v4, v2
.LBB4_504:                              ;   in Loop: Header=BB4_124 Depth=2
	s_or_b64 exec, exec, s[60:61]
.LBB4_505:                              ;   in Loop: Header=BB4_124 Depth=2
	s_or_b64 exec, exec, s[58:59]
                                        ; implicit-def: $vgpr4
.LBB4_506:                              ;   in Loop: Header=BB4_124 Depth=2
	s_andn2_saveexec_b64 s[22:23], s[56:57]
; %bb.507:                              ;   in Loop: Header=BB4_124 Depth=2
	v_or_b32_sdwa v2, v4, s76 dst_sel:DWORD dst_unused:UNUSED_PAD src0_sel:BYTE_3 src1_sel:DWORD
	v_cmp_eq_u64_e32 vcc, 0, v[56:57]
	v_cndmask_b32_e32 v21, v2, v21, vcc
; %bb.508:                              ;   in Loop: Header=BB4_124 Depth=2
	s_or_b64 exec, exec, s[22:23]
	v_cmp_ne_u16_sdwa vcc, v14, v57 src0_sel:BYTE_0 src1_sel:DWORD
	v_mov_b32_e32 v2, 0
	v_mov_b32_e32 v4, 0
	s_and_saveexec_b64 s[22:23], vcc
	s_cbranch_execz .LBB4_514
; %bb.509:                              ;   in Loop: Header=BB4_124 Depth=2
	v_cmp_ne_u16_sdwa vcc, v14, s75 src0_sel:BYTE_0 src1_sel:DWORD
	v_bfrev_b32_e32 v4, 1
	s_and_saveexec_b64 s[56:57], vcc
	s_cbranch_execz .LBB4_513
; %bb.510:                              ;   in Loop: Header=BB4_124 Depth=2
	v_and_b32_e32 v5, 0x7f, v14
	v_cmp_ne_u32_e32 vcc, s76, v5
	v_mov_b32_e32 v4, 0x7f800001
	s_and_saveexec_b64 s[58:59], vcc
	s_cbranch_execz .LBB4_512
; %bb.511:                              ;   in Loop: Header=BB4_124 Depth=2
	v_and_b32_e32 v4, 7, v14
	v_ffbh_u32_e32 v4, v4
	v_min_u32_e32 v4, 32, v4
	v_lshrrev_b32_e32 v6, 3, v5
	v_subrev_u32_e32 v7, 28, v4
	v_sub_u32_e32 v4, 29, v4
	v_cmp_gt_u32_e32 vcc, 8, v5
	v_cndmask_b32_e32 v6, v6, v4, vcc
	v_cndmask_b32_e32 v4, 0, v7, vcc
	v_lshlrev_b64 v[4:5], v4, v[14:15]
	v_lshlrev_b32_e32 v4, 20, v4
	v_lshlrev_b32_e32 v5, 24, v14
	v_and_b32_e32 v4, 0x700000, v4
	v_and_b32_e32 v5, 0x80000000, v5
	v_lshl_add_u32 v6, v6, 23, v51
	v_or3_b32 v4, v5, v6, v4
.LBB4_512:                              ;   in Loop: Header=BB4_124 Depth=2
	s_or_b64 exec, exec, s[58:59]
.LBB4_513:                              ;   in Loop: Header=BB4_124 Depth=2
	s_or_b64 exec, exec, s[56:57]
.LBB4_514:                              ;   in Loop: Header=BB4_124 Depth=2
	s_or_b64 exec, exec, s[22:23]
	v_cmp_ne_u16_sdwa vcc, v10, v57 src0_sel:BYTE_0 src1_sel:DWORD
	s_and_saveexec_b64 s[22:23], vcc
	s_cbranch_execz .LBB4_520
; %bb.515:                              ;   in Loop: Header=BB4_124 Depth=2
	v_cmp_ne_u16_sdwa vcc, v10, s75 src0_sel:BYTE_0 src1_sel:DWORD
	v_bfrev_b32_e32 v2, 1
	s_and_saveexec_b64 s[56:57], vcc
	s_cbranch_execz .LBB4_519
; %bb.516:                              ;   in Loop: Header=BB4_124 Depth=2
	v_and_b32_e32 v5, 0x7f, v10
	v_cmp_ne_u32_e32 vcc, s76, v5
	v_mov_b32_e32 v2, 0x7f800001
	s_and_saveexec_b64 s[58:59], vcc
	s_cbranch_execz .LBB4_518
; %bb.517:                              ;   in Loop: Header=BB4_124 Depth=2
	v_and_b32_e32 v2, 7, v10
	v_ffbh_u32_e32 v2, v2
	v_min_u32_e32 v2, 32, v2
	v_subrev_u32_e32 v7, 28, v2
	v_cmp_gt_u32_e32 vcc, 8, v5
	v_lshrrev_b32_e32 v6, 3, v5
	v_sub_u32_e32 v2, 29, v2
	v_cndmask_b32_e32 v5, 0, v7, vcc
	v_cndmask_b32_e32 v2, v6, v2, vcc
	v_lshlrev_b64 v[6:7], v5, v[10:11]
	v_lshlrev_b32_e32 v5, 20, v6
	v_lshlrev_b32_e32 v6, 24, v10
	v_and_b32_e32 v5, 0x700000, v5
	v_and_b32_e32 v6, 0x80000000, v6
	v_lshl_add_u32 v2, v2, 23, v51
	v_or3_b32 v2, v6, v2, v5
.LBB4_518:                              ;   in Loop: Header=BB4_124 Depth=2
	s_or_b64 exec, exec, s[58:59]
.LBB4_519:                              ;   in Loop: Header=BB4_124 Depth=2
	s_or_b64 exec, exec, s[56:57]
.LBB4_520:                              ;   in Loop: Header=BB4_124 Depth=2
	s_or_b64 exec, exec, s[22:23]
	v_add_f32_e32 v4, v4, v2
	v_and_b32_sdwa v2, v4, s75 dst_sel:DWORD dst_unused:UNUSED_PAD src0_sel:BYTE_3 src1_sel:DWORD
	v_and_b32_e32 v6, 0x7f800000, v4
	v_mov_b32_e32 v7, v57
	v_and_b32_e32 v56, 0x7fffff, v4
	v_or_b32_e32 v24, 0x7e, v2
	v_cmp_ne_u64_e32 vcc, s[42:43], v[6:7]
	s_and_saveexec_b64 s[22:23], vcc
	s_xor_b64 s[56:57], exec, s[22:23]
	s_cbranch_execz .LBB4_530
; %bb.521:                              ;   in Loop: Header=BB4_124 Depth=2
	v_and_b32_e32 v6, 0x7fffffff, v4
	v_mov_b32_e32 v7, v57
	v_cmp_gt_u64_e32 vcc, s[44:45], v[6:7]
	s_and_saveexec_b64 s[58:59], vcc
	s_cbranch_execz .LBB4_529
; %bb.522:                              ;   in Loop: Header=BB4_124 Depth=2
	v_cmp_ne_u32_e32 vcc, 0, v4
	v_mov_b32_e32 v24, 0
	s_and_saveexec_b64 s[60:61], vcc
	s_cbranch_execz .LBB4_528
; %bb.523:                              ;   in Loop: Header=BB4_124 Depth=2
	v_bfe_u32 v4, v4, 23, 8
	v_sub_u32_e32 v6, 0x79, v4
	v_cmp_gt_u32_e32 vcc, s77, v4
	v_add_u32_e32 v5, 0xffffff81, v4
	v_cndmask_b32_e32 v6, 0, v6, vcc
	v_cmp_eq_u32_e32 vcc, 0, v4
	v_mov_b32_e32 v4, 0xffffff82
	v_cndmask_b32_e32 v20, v5, v4, vcc
	v_mov_b32_e32 v4, 0x78
	v_cndmask_b32_e32 v24, v6, v4, vcc
	v_add_u32_e32 v4, 20, v24
	v_or_b32_e32 v7, 0x800000, v56
	v_lshlrev_b64 v[4:5], v4, -1
	v_cndmask_b32_e32 v56, v7, v56, vcc
	v_not_b32_e32 v4, v4
	v_and_b32_e32 v6, v56, v4
	v_add_u32_e32 v4, 19, v24
	v_lshrrev_b64 v[18:19], v24, v[56:57]
	v_not_b32_e32 v5, v5
	v_lshlrev_b64 v[8:9], v4, 1
	v_lshrrev_b32_e32 v4, 23, v18
	v_and_b32_e32 v7, 0, v5
	v_add3_u32 v20, v24, v20, v4
	v_bfe_u32 v4, v18, 20, 1
	v_add_u32_e32 v4, -1, v4
	v_cmp_eq_u64_e32 vcc, v[6:7], v[8:9]
	v_cndmask_b32_e32 v4, 0, v4, vcc
	v_add_u32_e32 v4, v4, v18
	v_and_b32_e32 v4, 0xfffff, v4
	v_add_co_u32_e32 v18, vcc, v4, v18
	v_add_u32_e32 v5, 6, v20
	v_addc_co_u32_e32 v19, vcc, 0, v19, vcc
	v_cmp_ne_u32_e32 vcc, 0, v5
                                        ; implicit-def: $vgpr4
	s_and_saveexec_b64 s[22:23], vcc
	s_xor_b64 s[22:23], exec, s[22:23]
; %bb.524:                              ;   in Loop: Header=BB4_124 Depth=2
	v_add_u32_e32 v4, 7, v20
	v_cmp_lt_u64_e32 vcc, s[48:49], v[18:19]
	v_cndmask_b32_e32 v4, v5, v4, vcc
	v_cndmask_b32_e64 v5, 0, 1, vcc
	v_lshrrev_b64 v[18:19], v5, v[18:19]
; %bb.525:                              ;   in Loop: Header=BB4_124 Depth=2
	s_andn2_saveexec_b64 s[22:23], s[22:23]
; %bb.526:                              ;   in Loop: Header=BB4_124 Depth=2
	v_bfe_u32 v4, v18, 23, 1
; %bb.527:                              ;   in Loop: Header=BB4_124 Depth=2
	s_or_b64 exec, exec, s[22:23]
	v_lshrrev_b64 v[6:7], 20, v[18:19]
	v_cmp_gt_i32_e32 vcc, 16, v4
	v_cndmask_b32_e32 v7, 0, v7, vcc
	v_cndmask_b32_e32 v6, 7, v6, vcc
	v_cmp_eq_u32_e32 vcc, 0, v4
	v_min_i32_e32 v4, 15, v4
	v_cmp_eq_u64_e64 s[22:23], 0, v[6:7]
	v_lshlrev_b32_e32 v4, 3, v4
	v_and_or_b32 v4, v6, 7, v4
	s_and_b64 s[22:23], vcc, s[22:23]
	v_cndmask_b32_e64 v4, v4, 0, s[22:23]
	v_or_b32_e32 v24, v4, v2
.LBB4_528:                              ;   in Loop: Header=BB4_124 Depth=2
	s_or_b64 exec, exec, s[60:61]
.LBB4_529:                              ;   in Loop: Header=BB4_124 Depth=2
	s_or_b64 exec, exec, s[58:59]
                                        ; implicit-def: $vgpr4
.LBB4_530:                              ;   in Loop: Header=BB4_124 Depth=2
	s_andn2_saveexec_b64 s[22:23], s[56:57]
; %bb.531:                              ;   in Loop: Header=BB4_124 Depth=2
	v_or_b32_sdwa v2, v4, s76 dst_sel:DWORD dst_unused:UNUSED_PAD src0_sel:BYTE_3 src1_sel:DWORD
	v_cmp_eq_u64_e32 vcc, 0, v[56:57]
	v_cndmask_b32_e32 v24, v2, v24, vcc
; %bb.532:                              ;   in Loop: Header=BB4_124 Depth=2
	s_or_b64 exec, exec, s[22:23]
	v_lshrrev_b16_e32 v18, 8, v14
	v_cmp_ne_u16_e32 vcc, 0, v18
	v_mov_b32_e32 v2, 0
	v_mov_b32_e32 v4, 0
	s_and_saveexec_b64 s[22:23], vcc
	s_cbranch_execz .LBB4_538
; %bb.533:                              ;   in Loop: Header=BB4_124 Depth=2
	v_cmp_ne_u16_e32 vcc, s75, v18
	v_bfrev_b32_e32 v4, 1
	s_and_saveexec_b64 s[56:57], vcc
	s_cbranch_execz .LBB4_537
; %bb.534:                              ;   in Loop: Header=BB4_124 Depth=2
	v_and_b32_e32 v5, 0x7f, v18
	v_cmp_ne_u32_e32 vcc, s76, v5
	v_mov_b32_e32 v4, 0x7f800001
	s_and_saveexec_b64 s[58:59], vcc
	s_cbranch_execz .LBB4_536
; %bb.535:                              ;   in Loop: Header=BB4_124 Depth=2
	v_and_b32_e32 v4, 7, v18
	v_ffbh_u32_e32 v6, v4
	v_min_u32_e32 v9, 32, v6
	v_subrev_u32_e32 v6, 28, v9
	v_lshlrev_b64 v[6:7], v6, v[18:19]
	v_lshrrev_b32_e32 v8, 3, v5
	v_sub_u32_e32 v7, 29, v9
	v_and_b32_e32 v6, 7, v6
	v_cmp_gt_u32_e32 vcc, 8, v5
	v_cndmask_b32_e32 v5, v8, v7, vcc
	v_cndmask_b32_e32 v4, v4, v6, vcc
	v_lshlrev_b32_e32 v6, 16, v14
	v_lshlrev_b32_e32 v4, 20, v4
	v_and_b32_e32 v6, 0x80000000, v6
	v_lshl_add_u32 v5, v5, 23, v51
	v_or3_b32 v4, v6, v5, v4
.LBB4_536:                              ;   in Loop: Header=BB4_124 Depth=2
	s_or_b64 exec, exec, s[58:59]
.LBB4_537:                              ;   in Loop: Header=BB4_124 Depth=2
	s_or_b64 exec, exec, s[56:57]
.LBB4_538:                              ;   in Loop: Header=BB4_124 Depth=2
	s_or_b64 exec, exec, s[22:23]
	v_lshrrev_b16_e32 v18, 8, v10
	v_cmp_ne_u16_e32 vcc, 0, v18
	s_and_saveexec_b64 s[22:23], vcc
	s_cbranch_execz .LBB4_544
; %bb.539:                              ;   in Loop: Header=BB4_124 Depth=2
	v_cmp_ne_u16_e32 vcc, s75, v18
	v_bfrev_b32_e32 v2, 1
	s_and_saveexec_b64 s[56:57], vcc
	s_cbranch_execz .LBB4_543
; %bb.540:                              ;   in Loop: Header=BB4_124 Depth=2
	v_and_b32_e32 v5, 0x7f, v18
	v_cmp_ne_u32_e32 vcc, s76, v5
	v_mov_b32_e32 v2, 0x7f800001
	s_and_saveexec_b64 s[58:59], vcc
	s_cbranch_execz .LBB4_542
; %bb.541:                              ;   in Loop: Header=BB4_124 Depth=2
	v_and_b32_e32 v2, 7, v18
	v_ffbh_u32_e32 v6, v2
	v_min_u32_e32 v9, 32, v6
	v_subrev_u32_e32 v6, 28, v9
	v_lshlrev_b64 v[6:7], v6, v[18:19]
	v_lshrrev_b32_e32 v8, 3, v5
	v_sub_u32_e32 v7, 29, v9
	v_and_b32_e32 v6, 7, v6
	v_cmp_gt_u32_e32 vcc, 8, v5
	v_cndmask_b32_e32 v5, v8, v7, vcc
	v_cndmask_b32_e32 v2, v2, v6, vcc
	v_lshlrev_b32_e32 v6, 16, v10
	v_lshlrev_b32_e32 v2, 20, v2
	v_and_b32_e32 v6, 0x80000000, v6
	v_lshl_add_u32 v5, v5, 23, v51
	v_or3_b32 v2, v6, v5, v2
.LBB4_542:                              ;   in Loop: Header=BB4_124 Depth=2
	s_or_b64 exec, exec, s[58:59]
.LBB4_543:                              ;   in Loop: Header=BB4_124 Depth=2
	s_or_b64 exec, exec, s[56:57]
.LBB4_544:                              ;   in Loop: Header=BB4_124 Depth=2
	s_or_b64 exec, exec, s[22:23]
	v_add_f32_e32 v4, v4, v2
	v_and_b32_sdwa v2, v4, s75 dst_sel:DWORD dst_unused:UNUSED_PAD src0_sel:BYTE_3 src1_sel:DWORD
	v_and_b32_e32 v6, 0x7f800000, v4
	v_mov_b32_e32 v7, v57
	v_and_b32_e32 v56, 0x7fffff, v4
	v_or_b32_e32 v25, 0x7e, v2
	v_cmp_ne_u64_e32 vcc, s[42:43], v[6:7]
	s_and_saveexec_b64 s[22:23], vcc
	s_xor_b64 s[56:57], exec, s[22:23]
	s_cbranch_execz .LBB4_554
; %bb.545:                              ;   in Loop: Header=BB4_124 Depth=2
	v_and_b32_e32 v6, 0x7fffffff, v4
	v_mov_b32_e32 v7, v57
	v_cmp_gt_u64_e32 vcc, s[44:45], v[6:7]
	s_and_saveexec_b64 s[58:59], vcc
	s_cbranch_execz .LBB4_553
; %bb.546:                              ;   in Loop: Header=BB4_124 Depth=2
	v_cmp_ne_u32_e32 vcc, 0, v4
	v_mov_b32_e32 v25, 0
	s_and_saveexec_b64 s[60:61], vcc
	s_cbranch_execz .LBB4_552
; %bb.547:                              ;   in Loop: Header=BB4_124 Depth=2
	v_bfe_u32 v4, v4, 23, 8
	v_sub_u32_e32 v6, 0x79, v4
	v_cmp_gt_u32_e32 vcc, s77, v4
	v_add_u32_e32 v5, 0xffffff81, v4
	v_cndmask_b32_e32 v6, 0, v6, vcc
	v_cmp_eq_u32_e32 vcc, 0, v4
	v_mov_b32_e32 v4, 0xffffff82
	v_cndmask_b32_e32 v20, v5, v4, vcc
	v_mov_b32_e32 v4, 0x78
	v_cndmask_b32_e32 v25, v6, v4, vcc
	v_add_u32_e32 v4, 20, v25
	v_or_b32_e32 v7, 0x800000, v56
	v_lshlrev_b64 v[4:5], v4, -1
	v_cndmask_b32_e32 v56, v7, v56, vcc
	v_not_b32_e32 v4, v4
	v_and_b32_e32 v6, v56, v4
	v_add_u32_e32 v4, 19, v25
	v_lshrrev_b64 v[18:19], v25, v[56:57]
	v_not_b32_e32 v5, v5
	v_lshlrev_b64 v[8:9], v4, 1
	v_lshrrev_b32_e32 v4, 23, v18
	v_and_b32_e32 v7, 0, v5
	v_add3_u32 v20, v25, v20, v4
	v_bfe_u32 v4, v18, 20, 1
	v_add_u32_e32 v4, -1, v4
	v_cmp_eq_u64_e32 vcc, v[6:7], v[8:9]
	v_cndmask_b32_e32 v4, 0, v4, vcc
	v_add_u32_e32 v4, v4, v18
	v_and_b32_e32 v4, 0xfffff, v4
	v_add_co_u32_e32 v18, vcc, v4, v18
	v_add_u32_e32 v5, 6, v20
	v_addc_co_u32_e32 v19, vcc, 0, v19, vcc
	v_cmp_ne_u32_e32 vcc, 0, v5
                                        ; implicit-def: $vgpr4
	s_and_saveexec_b64 s[22:23], vcc
	s_xor_b64 s[22:23], exec, s[22:23]
; %bb.548:                              ;   in Loop: Header=BB4_124 Depth=2
	v_add_u32_e32 v4, 7, v20
	v_cmp_lt_u64_e32 vcc, s[48:49], v[18:19]
	v_cndmask_b32_e32 v4, v5, v4, vcc
	v_cndmask_b32_e64 v5, 0, 1, vcc
	v_lshrrev_b64 v[18:19], v5, v[18:19]
; %bb.549:                              ;   in Loop: Header=BB4_124 Depth=2
	s_andn2_saveexec_b64 s[22:23], s[22:23]
; %bb.550:                              ;   in Loop: Header=BB4_124 Depth=2
	v_bfe_u32 v4, v18, 23, 1
; %bb.551:                              ;   in Loop: Header=BB4_124 Depth=2
	s_or_b64 exec, exec, s[22:23]
	v_lshrrev_b64 v[6:7], 20, v[18:19]
	v_cmp_gt_i32_e32 vcc, 16, v4
	v_cndmask_b32_e32 v7, 0, v7, vcc
	v_cndmask_b32_e32 v6, 7, v6, vcc
	v_cmp_eq_u32_e32 vcc, 0, v4
	v_min_i32_e32 v4, 15, v4
	v_cmp_eq_u64_e64 s[22:23], 0, v[6:7]
	v_lshlrev_b32_e32 v4, 3, v4
	v_and_or_b32 v4, v6, 7, v4
	s_and_b64 s[22:23], vcc, s[22:23]
	v_cndmask_b32_e64 v4, v4, 0, s[22:23]
	v_or_b32_e32 v25, v4, v2
.LBB4_552:                              ;   in Loop: Header=BB4_124 Depth=2
	s_or_b64 exec, exec, s[60:61]
.LBB4_553:                              ;   in Loop: Header=BB4_124 Depth=2
	s_or_b64 exec, exec, s[58:59]
                                        ; implicit-def: $vgpr4
.LBB4_554:                              ;   in Loop: Header=BB4_124 Depth=2
	s_andn2_saveexec_b64 s[22:23], s[56:57]
; %bb.555:                              ;   in Loop: Header=BB4_124 Depth=2
	v_or_b32_sdwa v2, v4, s76 dst_sel:DWORD dst_unused:UNUSED_PAD src0_sel:BYTE_3 src1_sel:DWORD
	v_cmp_eq_u64_e32 vcc, 0, v[56:57]
	v_cndmask_b32_e32 v25, v2, v25, vcc
; %bb.556:                              ;   in Loop: Header=BB4_124 Depth=2
	s_or_b64 exec, exec, s[22:23]
	v_lshrrev_b32_e32 v18, 16, v14
	v_cmp_ne_u16_sdwa vcc, v18, v57 src0_sel:BYTE_0 src1_sel:DWORD
	v_mov_b32_e32 v2, 0
	v_mov_b32_e32 v4, 0
	s_and_saveexec_b64 s[22:23], vcc
	s_cbranch_execz .LBB4_562
; %bb.557:                              ;   in Loop: Header=BB4_124 Depth=2
	v_cmp_ne_u16_sdwa vcc, v18, s75 src0_sel:BYTE_0 src1_sel:DWORD
	v_bfrev_b32_e32 v4, 1
	s_and_saveexec_b64 s[56:57], vcc
	s_cbranch_execz .LBB4_561
; %bb.558:                              ;   in Loop: Header=BB4_124 Depth=2
	v_bfe_u32 v5, v14, 16, 7
	v_cmp_ne_u32_e32 vcc, s76, v5
	v_mov_b32_e32 v4, 0x7f800001
	s_and_saveexec_b64 s[58:59], vcc
	s_cbranch_execz .LBB4_560
; %bb.559:                              ;   in Loop: Header=BB4_124 Depth=2
	v_and_b32_e32 v4, 7, v18
	v_ffbh_u32_e32 v6, v4
	v_min_u32_e32 v9, 32, v6
	v_subrev_u32_e32 v6, 28, v9
	v_lshlrev_b64 v[6:7], v6, v[18:19]
	v_lshrrev_b32_e32 v8, 3, v5
	v_sub_u32_e32 v7, 29, v9
	v_and_b32_e32 v6, 7, v6
	v_cmp_gt_u32_e32 vcc, 8, v5
	v_cndmask_b32_e32 v5, v8, v7, vcc
	v_cndmask_b32_e32 v4, v4, v6, vcc
	v_lshlrev_b32_e32 v6, 24, v18
	v_lshlrev_b32_e32 v4, 20, v4
	v_and_b32_e32 v6, 0x80000000, v6
	v_lshl_add_u32 v5, v5, 23, v51
	v_or3_b32 v4, v6, v5, v4
.LBB4_560:                              ;   in Loop: Header=BB4_124 Depth=2
	s_or_b64 exec, exec, s[58:59]
.LBB4_561:                              ;   in Loop: Header=BB4_124 Depth=2
	s_or_b64 exec, exec, s[56:57]
.LBB4_562:                              ;   in Loop: Header=BB4_124 Depth=2
	s_or_b64 exec, exec, s[22:23]
	v_lshrrev_b32_e32 v18, 16, v10
	v_cmp_ne_u16_sdwa vcc, v18, v57 src0_sel:BYTE_0 src1_sel:DWORD
	s_and_saveexec_b64 s[22:23], vcc
	s_cbranch_execz .LBB4_568
; %bb.563:                              ;   in Loop: Header=BB4_124 Depth=2
	v_cmp_ne_u16_sdwa vcc, v18, s75 src0_sel:BYTE_0 src1_sel:DWORD
	v_bfrev_b32_e32 v2, 1
	s_and_saveexec_b64 s[56:57], vcc
	s_cbranch_execz .LBB4_567
; %bb.564:                              ;   in Loop: Header=BB4_124 Depth=2
	v_bfe_u32 v5, v10, 16, 7
	v_cmp_ne_u32_e32 vcc, s76, v5
	v_mov_b32_e32 v2, 0x7f800001
	s_and_saveexec_b64 s[58:59], vcc
	s_cbranch_execz .LBB4_566
; %bb.565:                              ;   in Loop: Header=BB4_124 Depth=2
	v_and_b32_e32 v2, 7, v18
	v_ffbh_u32_e32 v6, v2
	v_min_u32_e32 v9, 32, v6
	v_subrev_u32_e32 v6, 28, v9
	v_lshlrev_b64 v[6:7], v6, v[18:19]
	v_lshrrev_b32_e32 v8, 3, v5
	v_sub_u32_e32 v7, 29, v9
	v_and_b32_e32 v6, 7, v6
	v_cmp_gt_u32_e32 vcc, 8, v5
	v_cndmask_b32_e32 v5, v8, v7, vcc
	v_cndmask_b32_e32 v2, v2, v6, vcc
	v_lshlrev_b32_e32 v6, 8, v10
	v_lshlrev_b32_e32 v2, 20, v2
	v_and_b32_e32 v6, 0x80000000, v6
	v_lshl_add_u32 v5, v5, 23, v51
	v_or3_b32 v2, v6, v5, v2
.LBB4_566:                              ;   in Loop: Header=BB4_124 Depth=2
	s_or_b64 exec, exec, s[58:59]
.LBB4_567:                              ;   in Loop: Header=BB4_124 Depth=2
	s_or_b64 exec, exec, s[56:57]
.LBB4_568:                              ;   in Loop: Header=BB4_124 Depth=2
	s_or_b64 exec, exec, s[22:23]
	v_add_f32_e32 v5, v4, v2
	v_and_b32_sdwa v4, v5, s75 dst_sel:DWORD dst_unused:UNUSED_PAD src0_sel:BYTE_3 src1_sel:DWORD
	v_and_b32_e32 v6, 0x7f800000, v5
	v_mov_b32_e32 v7, v57
	v_and_b32_e32 v56, 0x7fffff, v5
	v_or_b32_e32 v2, 0x7e, v4
	v_cmp_ne_u64_e32 vcc, s[42:43], v[6:7]
	s_and_saveexec_b64 s[22:23], vcc
	s_xor_b64 s[56:57], exec, s[22:23]
	s_cbranch_execz .LBB4_578
; %bb.569:                              ;   in Loop: Header=BB4_124 Depth=2
	v_and_b32_e32 v6, 0x7fffffff, v5
	v_mov_b32_e32 v7, v57
	v_cmp_gt_u64_e32 vcc, s[44:45], v[6:7]
	s_and_saveexec_b64 s[58:59], vcc
	s_cbranch_execz .LBB4_577
; %bb.570:                              ;   in Loop: Header=BB4_124 Depth=2
	v_cmp_ne_u32_e32 vcc, 0, v5
	v_mov_b32_e32 v2, 0
	s_and_saveexec_b64 s[60:61], vcc
	s_cbranch_execz .LBB4_576
; %bb.571:                              ;   in Loop: Header=BB4_124 Depth=2
	v_bfe_u32 v2, v5, 23, 8
	v_sub_u32_e32 v6, 0x79, v2
	v_cmp_gt_u32_e32 vcc, s77, v2
	v_add_u32_e32 v5, 0xffffff81, v2
	v_cndmask_b32_e32 v6, 0, v6, vcc
	v_cmp_eq_u32_e32 vcc, 0, v2
	v_mov_b32_e32 v2, 0xffffff82
	v_cndmask_b32_e32 v2, v5, v2, vcc
	v_mov_b32_e32 v5, 0x78
	v_or_b32_e32 v7, 0x800000, v56
	v_cndmask_b32_e32 v5, v6, v5, vcc
	v_cndmask_b32_e32 v56, v7, v56, vcc
	v_add_u32_e32 v6, 20, v5
	v_lshlrev_b64 v[6:7], v6, -1
	v_lshrrev_b64 v[18:19], v5, v[56:57]
	v_not_b32_e32 v7, v7
	v_not_b32_e32 v6, v6
	v_add_u32_e32 v8, 19, v5
	v_lshrrev_b32_e32 v20, 23, v18
	v_and_b32_e32 v7, 0, v7
	v_and_b32_e32 v6, v56, v6
	v_lshlrev_b64 v[8:9], v8, 1
	v_add3_u32 v20, v5, v2, v20
	v_bfe_u32 v2, v18, 20, 1
	v_add_u32_e32 v2, -1, v2
	v_cmp_eq_u64_e32 vcc, v[6:7], v[8:9]
	v_cndmask_b32_e32 v2, 0, v2, vcc
	v_add_u32_e32 v2, v2, v18
	v_and_b32_e32 v2, 0xfffff, v2
	v_add_co_u32_e32 v18, vcc, v2, v18
	v_add_u32_e32 v5, 6, v20
	v_addc_co_u32_e32 v19, vcc, 0, v19, vcc
	v_cmp_ne_u32_e32 vcc, 0, v5
                                        ; implicit-def: $vgpr2
	s_and_saveexec_b64 s[22:23], vcc
	s_xor_b64 s[22:23], exec, s[22:23]
; %bb.572:                              ;   in Loop: Header=BB4_124 Depth=2
	v_add_u32_e32 v2, 7, v20
	v_cmp_lt_u64_e32 vcc, s[48:49], v[18:19]
	v_cndmask_b32_e32 v2, v5, v2, vcc
	v_cndmask_b32_e64 v5, 0, 1, vcc
	v_lshrrev_b64 v[18:19], v5, v[18:19]
; %bb.573:                              ;   in Loop: Header=BB4_124 Depth=2
	s_andn2_saveexec_b64 s[22:23], s[22:23]
; %bb.574:                              ;   in Loop: Header=BB4_124 Depth=2
	v_bfe_u32 v2, v18, 23, 1
; %bb.575:                              ;   in Loop: Header=BB4_124 Depth=2
	s_or_b64 exec, exec, s[22:23]
	v_lshrrev_b64 v[6:7], 20, v[18:19]
	v_cmp_gt_i32_e32 vcc, 16, v2
	v_cndmask_b32_e32 v7, 0, v7, vcc
	v_cndmask_b32_e32 v6, 7, v6, vcc
	v_cmp_eq_u32_e32 vcc, 0, v2
	v_min_i32_e32 v2, 15, v2
	v_cmp_eq_u64_e64 s[22:23], 0, v[6:7]
	v_lshlrev_b32_e32 v2, 3, v2
	v_and_or_b32 v2, v6, 7, v2
	s_and_b64 s[22:23], vcc, s[22:23]
	v_cndmask_b32_e64 v2, v2, 0, s[22:23]
	v_or_b32_e32 v2, v2, v4
.LBB4_576:                              ;   in Loop: Header=BB4_124 Depth=2
	s_or_b64 exec, exec, s[60:61]
.LBB4_577:                              ;   in Loop: Header=BB4_124 Depth=2
	s_or_b64 exec, exec, s[58:59]
                                        ; implicit-def: $vgpr5
.LBB4_578:                              ;   in Loop: Header=BB4_124 Depth=2
	s_andn2_saveexec_b64 s[22:23], s[56:57]
; %bb.579:                              ;   in Loop: Header=BB4_124 Depth=2
	v_or_b32_sdwa v4, v5, s76 dst_sel:DWORD dst_unused:UNUSED_PAD src0_sel:BYTE_3 src1_sel:DWORD
	v_cmp_eq_u64_e32 vcc, 0, v[56:57]
	v_cndmask_b32_e32 v2, v4, v2, vcc
; %bb.580:                              ;   in Loop: Header=BB4_124 Depth=2
	s_or_b64 exec, exec, s[22:23]
	v_cmp_lt_u32_e32 vcc, s47, v14
	v_mov_b32_e32 v4, 0
	v_mov_b32_e32 v5, 0
	s_and_saveexec_b64 s[22:23], vcc
	s_cbranch_execz .LBB4_586
; %bb.581:                              ;   in Loop: Header=BB4_124 Depth=2
	v_lshrrev_b32_e32 v18, 24, v14
	v_cmp_ne_u32_e32 vcc, s75, v18
	v_bfrev_b32_e32 v5, 1
	s_and_saveexec_b64 s[56:57], vcc
	s_cbranch_execz .LBB4_585
; %bb.582:                              ;   in Loop: Header=BB4_124 Depth=2
	v_bfe_u32 v19, v14, 24, 7
	v_cmp_ne_u32_e32 vcc, s76, v19
	v_mov_b32_e32 v5, 0x7f800001
	s_and_saveexec_b64 s[58:59], vcc
	s_cbranch_execz .LBB4_584
; %bb.583:                              ;   in Loop: Header=BB4_124 Depth=2
	v_and_b32_e32 v5, 7, v18
	v_ffbh_u32_e32 v6, v5
	v_min_u32_e32 v9, 32, v6
	v_subrev_u32_e32 v6, 28, v9
	v_lshlrev_b64 v[6:7], v6, v[18:19]
	v_lshrrev_b32_e32 v8, 3, v19
	v_sub_u32_e32 v7, 29, v9
	v_and_b32_e32 v6, 7, v6
	v_cmp_gt_u32_e32 vcc, 8, v19
	v_cndmask_b32_e32 v7, v8, v7, vcc
	v_cndmask_b32_e32 v5, v5, v6, vcc
	v_lshlrev_b32_e32 v6, 24, v18
	v_lshlrev_b32_e32 v5, 20, v5
	v_and_b32_e32 v6, 0x80000000, v6
	v_lshl_add_u32 v7, v7, 23, v51
	v_or3_b32 v5, v6, v7, v5
.LBB4_584:                              ;   in Loop: Header=BB4_124 Depth=2
	s_or_b64 exec, exec, s[58:59]
.LBB4_585:                              ;   in Loop: Header=BB4_124 Depth=2
	s_or_b64 exec, exec, s[56:57]
.LBB4_586:                              ;   in Loop: Header=BB4_124 Depth=2
	s_or_b64 exec, exec, s[22:23]
	v_cmp_lt_u32_e32 vcc, s47, v10
	s_and_saveexec_b64 s[22:23], vcc
	s_cbranch_execz .LBB4_592
; %bb.587:                              ;   in Loop: Header=BB4_124 Depth=2
	v_lshrrev_b32_e32 v18, 24, v10
	v_cmp_ne_u32_e32 vcc, s75, v18
	v_bfrev_b32_e32 v4, 1
	s_and_saveexec_b64 s[56:57], vcc
	s_cbranch_execz .LBB4_591
; %bb.588:                              ;   in Loop: Header=BB4_124 Depth=2
	v_bfe_u32 v19, v10, 24, 7
	v_cmp_ne_u32_e32 vcc, s76, v19
	v_mov_b32_e32 v4, 0x7f800001
	s_and_saveexec_b64 s[58:59], vcc
	s_cbranch_execz .LBB4_590
; %bb.589:                              ;   in Loop: Header=BB4_124 Depth=2
	v_and_b32_e32 v4, 7, v18
	v_ffbh_u32_e32 v6, v4
	v_min_u32_e32 v9, 32, v6
	v_subrev_u32_e32 v6, 28, v9
	v_lshlrev_b64 v[6:7], v6, v[18:19]
	v_lshrrev_b32_e32 v8, 3, v19
	v_sub_u32_e32 v7, 29, v9
	v_and_b32_e32 v6, 7, v6
	v_cmp_gt_u32_e32 vcc, 8, v19
	v_cndmask_b32_e32 v7, v8, v7, vcc
	v_cndmask_b32_e32 v4, v4, v6, vcc
	v_lshlrev_b32_e32 v6, 24, v18
	v_lshlrev_b32_e32 v4, 20, v4
	v_and_b32_e32 v6, 0x80000000, v6
	v_lshl_add_u32 v7, v7, 23, v51
	v_or3_b32 v4, v6, v7, v4
.LBB4_590:                              ;   in Loop: Header=BB4_124 Depth=2
	s_or_b64 exec, exec, s[58:59]
.LBB4_591:                              ;   in Loop: Header=BB4_124 Depth=2
	s_or_b64 exec, exec, s[56:57]
.LBB4_592:                              ;   in Loop: Header=BB4_124 Depth=2
	s_or_b64 exec, exec, s[22:23]
	v_add_f32_e32 v5, v5, v4
	v_and_b32_sdwa v4, v5, s75 dst_sel:DWORD dst_unused:UNUSED_PAD src0_sel:BYTE_3 src1_sel:DWORD
	v_and_b32_e32 v6, 0x7f800000, v5
	v_mov_b32_e32 v7, v57
	v_and_b32_e32 v56, 0x7fffff, v5
	v_or_b32_e32 v53, 0x7e, v4
	v_cmp_ne_u64_e32 vcc, s[42:43], v[6:7]
	s_and_saveexec_b64 s[22:23], vcc
	s_xor_b64 s[56:57], exec, s[22:23]
	s_cbranch_execz .LBB4_602
; %bb.593:                              ;   in Loop: Header=BB4_124 Depth=2
	v_and_b32_e32 v6, 0x7fffffff, v5
	v_mov_b32_e32 v7, v57
	v_cmp_gt_u64_e32 vcc, s[44:45], v[6:7]
	s_and_saveexec_b64 s[58:59], vcc
	s_cbranch_execz .LBB4_601
; %bb.594:                              ;   in Loop: Header=BB4_124 Depth=2
	v_cmp_ne_u32_e32 vcc, 0, v5
	v_mov_b32_e32 v53, 0
	s_and_saveexec_b64 s[60:61], vcc
	s_cbranch_execz .LBB4_600
; %bb.595:                              ;   in Loop: Header=BB4_124 Depth=2
	v_bfe_u32 v5, v5, 23, 8
	v_sub_u32_e32 v7, 0x79, v5
	v_cmp_gt_u32_e32 vcc, s77, v5
	v_add_u32_e32 v6, 0xffffff81, v5
	v_cndmask_b32_e32 v7, 0, v7, vcc
	v_cmp_eq_u32_e32 vcc, 0, v5
	v_mov_b32_e32 v5, 0xffffff82
	v_cndmask_b32_e32 v5, v6, v5, vcc
	v_mov_b32_e32 v6, 0x78
	v_or_b32_e32 v8, 0x800000, v56
	v_cndmask_b32_e32 v20, v7, v6, vcc
	v_cndmask_b32_e32 v56, v8, v56, vcc
	v_add_u32_e32 v6, 20, v20
	v_lshlrev_b64 v[6:7], v6, -1
	v_lshrrev_b64 v[18:19], v20, v[56:57]
	v_not_b32_e32 v7, v7
	v_not_b32_e32 v6, v6
	v_add_u32_e32 v8, 19, v20
	v_lshrrev_b32_e32 v26, 23, v18
	v_and_b32_e32 v7, 0, v7
	v_and_b32_e32 v6, v56, v6
	v_lshlrev_b64 v[8:9], v8, 1
	v_add3_u32 v26, v20, v5, v26
	v_bfe_u32 v5, v18, 20, 1
	v_add_u32_e32 v5, -1, v5
	v_cmp_eq_u64_e32 vcc, v[6:7], v[8:9]
	v_cndmask_b32_e32 v5, 0, v5, vcc
	v_add_u32_e32 v5, v5, v18
	v_and_b32_e32 v5, 0xfffff, v5
	v_add_co_u32_e32 v18, vcc, v5, v18
	v_add_u32_e32 v20, 6, v26
	v_addc_co_u32_e32 v19, vcc, 0, v19, vcc
	v_cmp_ne_u32_e32 vcc, 0, v20
                                        ; implicit-def: $vgpr5
	s_and_saveexec_b64 s[22:23], vcc
	s_xor_b64 s[22:23], exec, s[22:23]
; %bb.596:                              ;   in Loop: Header=BB4_124 Depth=2
	v_cmp_lt_u64_e32 vcc, s[48:49], v[18:19]
	v_add_u32_e32 v5, 7, v26
	v_cndmask_b32_e64 v6, 0, 1, vcc
	v_cndmask_b32_e32 v5, v20, v5, vcc
	v_lshrrev_b64 v[18:19], v6, v[18:19]
; %bb.597:                              ;   in Loop: Header=BB4_124 Depth=2
	s_andn2_saveexec_b64 s[22:23], s[22:23]
; %bb.598:                              ;   in Loop: Header=BB4_124 Depth=2
	v_bfe_u32 v5, v18, 23, 1
; %bb.599:                              ;   in Loop: Header=BB4_124 Depth=2
	s_or_b64 exec, exec, s[22:23]
	v_lshrrev_b64 v[6:7], 20, v[18:19]
	v_cmp_gt_i32_e32 vcc, 16, v5
	v_cndmask_b32_e32 v7, 0, v7, vcc
	v_cndmask_b32_e32 v6, 7, v6, vcc
	v_cmp_eq_u32_e32 vcc, 0, v5
	v_min_i32_e32 v5, 15, v5
	v_cmp_eq_u64_e64 s[22:23], 0, v[6:7]
	v_lshlrev_b32_e32 v5, 3, v5
	v_and_or_b32 v5, v6, 7, v5
	s_and_b64 s[22:23], vcc, s[22:23]
	v_cndmask_b32_e64 v5, v5, 0, s[22:23]
	v_or_b32_e32 v53, v5, v4
.LBB4_600:                              ;   in Loop: Header=BB4_124 Depth=2
	s_or_b64 exec, exec, s[60:61]
.LBB4_601:                              ;   in Loop: Header=BB4_124 Depth=2
	s_or_b64 exec, exec, s[58:59]
                                        ; implicit-def: $vgpr5
.LBB4_602:                              ;   in Loop: Header=BB4_124 Depth=2
	s_andn2_saveexec_b64 s[22:23], s[56:57]
; %bb.603:                              ;   in Loop: Header=BB4_124 Depth=2
	v_or_b32_sdwa v4, v5, s76 dst_sel:DWORD dst_unused:UNUSED_PAD src0_sel:BYTE_3 src1_sel:DWORD
	v_cmp_eq_u64_e32 vcc, 0, v[56:57]
	v_cndmask_b32_e32 v53, v4, v53, vcc
; %bb.604:                              ;   in Loop: Header=BB4_124 Depth=2
	s_or_b64 exec, exec, s[22:23]
	v_mov_b32_e32 v56, v15
	v_cmp_ne_u16_sdwa vcc, v15, v57 src0_sel:BYTE_0 src1_sel:DWORD
	v_mov_b32_e32 v5, 0
	v_mov_b32_e32 v4, 0
	s_and_saveexec_b64 s[22:23], vcc
	s_cbranch_execz .LBB4_610
; %bb.605:                              ;   in Loop: Header=BB4_124 Depth=2
	v_cmp_ne_u16_sdwa vcc, v15, s75 src0_sel:BYTE_0 src1_sel:DWORD
	v_bfrev_b32_e32 v4, 1
	s_and_saveexec_b64 s[56:57], vcc
	s_cbranch_execz .LBB4_609
; %bb.606:                              ;   in Loop: Header=BB4_124 Depth=2
	v_and_b32_e32 v18, 0x7f, v15
	v_cmp_ne_u32_e32 vcc, s76, v18
	v_mov_b32_e32 v4, 0x7f800001
	s_and_saveexec_b64 s[58:59], vcc
	s_cbranch_execz .LBB4_608
; %bb.607:                              ;   in Loop: Header=BB4_124 Depth=2
	v_and_b32_e32 v4, 7, v15
	v_ffbh_u32_e32 v4, v4
	v_min_u32_e32 v4, 32, v4
	v_lshrrev_b32_e32 v6, 3, v18
	v_subrev_u32_e32 v7, 28, v4
	v_sub_u32_e32 v4, 29, v4
	v_cmp_gt_u32_e32 vcc, 8, v18
	v_cndmask_b32_e32 v4, v6, v4, vcc
	v_cndmask_b32_e32 v6, 0, v7, vcc
	v_lshlrev_b64 v[6:7], v6, v[56:57]
	v_lshlrev_b32_e32 v6, 20, v6
	v_lshlrev_b32_e32 v7, 24, v56
	v_and_b32_e32 v6, 0x700000, v6
	v_and_b32_e32 v7, 0x80000000, v7
	v_lshl_add_u32 v4, v4, 23, v51
	v_or3_b32 v4, v7, v4, v6
.LBB4_608:                              ;   in Loop: Header=BB4_124 Depth=2
	s_or_b64 exec, exec, s[58:59]
.LBB4_609:                              ;   in Loop: Header=BB4_124 Depth=2
	s_or_b64 exec, exec, s[56:57]
.LBB4_610:                              ;   in Loop: Header=BB4_124 Depth=2
	s_or_b64 exec, exec, s[22:23]
	v_cmp_ne_u16_sdwa vcc, v11, v57 src0_sel:BYTE_0 src1_sel:DWORD
	s_and_saveexec_b64 s[22:23], vcc
	s_cbranch_execz .LBB4_616
; %bb.611:                              ;   in Loop: Header=BB4_124 Depth=2
	v_cmp_ne_u16_sdwa vcc, v11, s75 src0_sel:BYTE_0 src1_sel:DWORD
	v_bfrev_b32_e32 v5, 1
	s_and_saveexec_b64 s[56:57], vcc
	s_cbranch_execz .LBB4_615
; %bb.612:                              ;   in Loop: Header=BB4_124 Depth=2
	v_and_b32_e32 v18, 0x7f, v11
	v_cmp_ne_u32_e32 vcc, s76, v18
	v_mov_b32_e32 v5, 0x7f800001
	s_and_saveexec_b64 s[58:59], vcc
	s_cbranch_execz .LBB4_614
; %bb.613:                              ;   in Loop: Header=BB4_124 Depth=2
	v_and_b32_e32 v5, 7, v11
	v_ffbh_u32_e32 v5, v5
	v_min_u32_e32 v5, 32, v5
	v_lshrrev_b32_e32 v8, 3, v18
	v_subrev_u32_e32 v9, 28, v5
	v_sub_u32_e32 v5, 29, v5
	v_cmp_gt_u32_e32 vcc, 8, v18
	v_mov_b32_e32 v6, v11
	v_mov_b32_e32 v7, v57
	v_cndmask_b32_e32 v5, v8, v5, vcc
	v_cndmask_b32_e32 v8, 0, v9, vcc
	v_lshlrev_b64 v[8:9], v8, v[6:7]
	v_lshlrev_b32_e32 v7, 20, v8
	v_lshlrev_b32_e32 v6, 24, v6
	v_and_b32_e32 v7, 0x700000, v7
	v_and_b32_e32 v6, 0x80000000, v6
	v_lshl_add_u32 v5, v5, 23, v51
	v_or3_b32 v5, v6, v5, v7
.LBB4_614:                              ;   in Loop: Header=BB4_124 Depth=2
	s_or_b64 exec, exec, s[58:59]
.LBB4_615:                              ;   in Loop: Header=BB4_124 Depth=2
	s_or_b64 exec, exec, s[56:57]
.LBB4_616:                              ;   in Loop: Header=BB4_124 Depth=2
	s_or_b64 exec, exec, s[22:23]
	v_add_f32_e32 v5, v4, v5
	v_and_b32_sdwa v4, v5, s75 dst_sel:DWORD dst_unused:UNUSED_PAD src0_sel:BYTE_3 src1_sel:DWORD
	v_and_b32_e32 v6, 0x7f800000, v5
	v_mov_b32_e32 v7, v57
	v_and_b32_e32 v18, 0x7fffff, v5
	v_mov_b32_e32 v19, v57
	v_or_b32_e32 v30, 0x7e, v4
	v_cmp_ne_u64_e32 vcc, s[42:43], v[6:7]
	s_and_saveexec_b64 s[22:23], vcc
	s_xor_b64 s[56:57], exec, s[22:23]
	s_cbranch_execz .LBB4_626
; %bb.617:                              ;   in Loop: Header=BB4_124 Depth=2
	v_and_b32_e32 v6, 0x7fffffff, v5
	v_mov_b32_e32 v7, v57
	v_cmp_gt_u64_e32 vcc, s[44:45], v[6:7]
	s_and_saveexec_b64 s[58:59], vcc
	s_cbranch_execz .LBB4_625
; %bb.618:                              ;   in Loop: Header=BB4_124 Depth=2
	v_cmp_ne_u32_e32 vcc, 0, v5
	v_mov_b32_e32 v30, 0
	s_and_saveexec_b64 s[60:61], vcc
	s_cbranch_execz .LBB4_624
; %bb.619:                              ;   in Loop: Header=BB4_124 Depth=2
	v_bfe_u32 v5, v5, 23, 8
	v_sub_u32_e32 v7, 0x79, v5
	v_cmp_gt_u32_e32 vcc, s77, v5
	v_add_u32_e32 v6, 0xffffff81, v5
	v_cndmask_b32_e32 v7, 0, v7, vcc
	v_cmp_eq_u32_e32 vcc, 0, v5
	v_mov_b32_e32 v5, 0xffffff82
	v_cndmask_b32_e32 v5, v6, v5, vcc
	v_mov_b32_e32 v6, 0x78
	v_cndmask_b32_e32 v20, v7, v6, vcc
	v_add_u32_e32 v6, 20, v20
	v_or_b32_e32 v8, 0x800000, v18
	v_lshlrev_b64 v[6:7], v6, -1
	v_cndmask_b32_e32 v18, v8, v18, vcc
	v_not_b32_e32 v6, v6
	v_and_b32_e32 v6, v18, v6
	v_lshrrev_b64 v[18:19], v20, v[18:19]
	v_not_b32_e32 v7, v7
	v_add_u32_e32 v8, 19, v20
	v_lshrrev_b32_e32 v26, 23, v18
	v_and_b32_e32 v7, 0, v7
	v_lshlrev_b64 v[8:9], v8, 1
	v_add3_u32 v26, v20, v5, v26
	v_bfe_u32 v5, v18, 20, 1
	v_add_u32_e32 v5, -1, v5
	v_cmp_eq_u64_e32 vcc, v[6:7], v[8:9]
	v_cndmask_b32_e32 v5, 0, v5, vcc
	v_add_u32_e32 v5, v5, v18
	v_and_b32_e32 v5, 0xfffff, v5
	v_add_co_u32_e32 v18, vcc, v5, v18
	v_add_u32_e32 v20, 6, v26
	v_addc_co_u32_e32 v19, vcc, 0, v19, vcc
	v_cmp_ne_u32_e32 vcc, 0, v20
                                        ; implicit-def: $vgpr5
	s_and_saveexec_b64 s[22:23], vcc
	s_xor_b64 s[22:23], exec, s[22:23]
; %bb.620:                              ;   in Loop: Header=BB4_124 Depth=2
	v_cmp_lt_u64_e32 vcc, s[48:49], v[18:19]
	v_add_u32_e32 v5, 7, v26
	v_cndmask_b32_e64 v6, 0, 1, vcc
	v_cndmask_b32_e32 v5, v20, v5, vcc
	v_lshrrev_b64 v[18:19], v6, v[18:19]
; %bb.621:                              ;   in Loop: Header=BB4_124 Depth=2
	s_andn2_saveexec_b64 s[22:23], s[22:23]
; %bb.622:                              ;   in Loop: Header=BB4_124 Depth=2
	v_bfe_u32 v5, v18, 23, 1
; %bb.623:                              ;   in Loop: Header=BB4_124 Depth=2
	s_or_b64 exec, exec, s[22:23]
	v_lshrrev_b64 v[6:7], 20, v[18:19]
	v_cmp_gt_i32_e32 vcc, 16, v5
	v_cndmask_b32_e32 v7, 0, v7, vcc
	v_cndmask_b32_e32 v6, 7, v6, vcc
	v_cmp_eq_u32_e32 vcc, 0, v5
	v_min_i32_e32 v5, 15, v5
	v_cmp_eq_u64_e64 s[22:23], 0, v[6:7]
	v_lshlrev_b32_e32 v5, 3, v5
	v_and_or_b32 v5, v6, 7, v5
	s_and_b64 s[22:23], vcc, s[22:23]
	v_cndmask_b32_e64 v5, v5, 0, s[22:23]
	v_or_b32_e32 v30, v5, v4
.LBB4_624:                              ;   in Loop: Header=BB4_124 Depth=2
	s_or_b64 exec, exec, s[60:61]
.LBB4_625:                              ;   in Loop: Header=BB4_124 Depth=2
	s_or_b64 exec, exec, s[58:59]
                                        ; implicit-def: $vgpr5
                                        ; implicit-def: $vgpr18_vgpr19
.LBB4_626:                              ;   in Loop: Header=BB4_124 Depth=2
	s_andn2_saveexec_b64 s[22:23], s[56:57]
; %bb.627:                              ;   in Loop: Header=BB4_124 Depth=2
	v_or_b32_sdwa v4, v5, s76 dst_sel:DWORD dst_unused:UNUSED_PAD src0_sel:BYTE_3 src1_sel:DWORD
	v_cmp_eq_u64_e32 vcc, 0, v[18:19]
	v_cndmask_b32_e32 v30, v4, v30, vcc
; %bb.628:                              ;   in Loop: Header=BB4_124 Depth=2
	s_or_b64 exec, exec, s[22:23]
	v_lshrrev_b16_e32 v18, 8, v56
	v_cmp_ne_u16_e32 vcc, 0, v18
	v_mov_b32_e32 v4, 0
	v_mov_b32_e32 v5, 0
	s_and_saveexec_b64 s[22:23], vcc
	s_cbranch_execz .LBB4_634
; %bb.629:                              ;   in Loop: Header=BB4_124 Depth=2
	v_cmp_ne_u16_e32 vcc, s75, v18
	v_bfrev_b32_e32 v5, 1
	s_and_saveexec_b64 s[56:57], vcc
	s_cbranch_execz .LBB4_633
; %bb.630:                              ;   in Loop: Header=BB4_124 Depth=2
	v_and_b32_e32 v19, 0x7f, v18
	v_cmp_ne_u32_e32 vcc, s76, v19
	v_mov_b32_e32 v5, 0x7f800001
	s_and_saveexec_b64 s[58:59], vcc
	s_cbranch_execz .LBB4_632
; %bb.631:                              ;   in Loop: Header=BB4_124 Depth=2
	v_and_b32_e32 v5, 7, v18
	v_ffbh_u32_e32 v6, v5
	v_min_u32_e32 v9, 32, v6
	v_subrev_u32_e32 v6, 28, v9
	v_lshlrev_b64 v[6:7], v6, v[18:19]
	v_lshrrev_b32_e32 v8, 3, v19
	v_sub_u32_e32 v7, 29, v9
	v_and_b32_e32 v6, 7, v6
	v_cmp_gt_u32_e32 vcc, 8, v19
	v_cndmask_b32_e32 v7, v8, v7, vcc
	v_cndmask_b32_e32 v5, v5, v6, vcc
	v_lshlrev_b32_e32 v6, 16, v56
	v_lshlrev_b32_e32 v5, 20, v5
	v_and_b32_e32 v6, 0x80000000, v6
	v_lshl_add_u32 v7, v7, 23, v51
	v_or3_b32 v5, v6, v7, v5
.LBB4_632:                              ;   in Loop: Header=BB4_124 Depth=2
	s_or_b64 exec, exec, s[58:59]
.LBB4_633:                              ;   in Loop: Header=BB4_124 Depth=2
	s_or_b64 exec, exec, s[56:57]
.LBB4_634:                              ;   in Loop: Header=BB4_124 Depth=2
	s_or_b64 exec, exec, s[22:23]
	v_mov_b32_e32 v18, v11
	v_lshrrev_b16_e32 v20, 8, v18
	v_cmp_ne_u16_e32 vcc, 0, v20
	s_and_saveexec_b64 s[22:23], vcc
	s_cbranch_execz .LBB4_640
; %bb.635:                              ;   in Loop: Header=BB4_124 Depth=2
	v_cmp_ne_u16_e32 vcc, s75, v20
	v_bfrev_b32_e32 v4, 1
	s_and_saveexec_b64 s[56:57], vcc
	s_cbranch_execz .LBB4_639
; %bb.636:                              ;   in Loop: Header=BB4_124 Depth=2
	v_and_b32_e32 v19, 0x7f, v20
	v_cmp_ne_u32_e32 vcc, s76, v19
	v_mov_b32_e32 v4, 0x7f800001
	s_and_saveexec_b64 s[58:59], vcc
	s_cbranch_execz .LBB4_638
; %bb.637:                              ;   in Loop: Header=BB4_124 Depth=2
	v_and_b32_e32 v4, 7, v20
	v_ffbh_u32_e32 v6, v4
	v_min_u32_e32 v9, 32, v6
	v_subrev_u32_e32 v6, 28, v9
	v_lshlrev_b64 v[6:7], v6, v[20:21]
	v_lshrrev_b32_e32 v8, 3, v19
	v_sub_u32_e32 v7, 29, v9
	v_and_b32_e32 v6, 7, v6
	v_cmp_gt_u32_e32 vcc, 8, v19
	v_cndmask_b32_e32 v7, v8, v7, vcc
	v_cndmask_b32_e32 v4, v4, v6, vcc
	v_lshlrev_b32_e32 v6, 16, v18
	v_lshlrev_b32_e32 v4, 20, v4
	v_and_b32_e32 v6, 0x80000000, v6
	v_lshl_add_u32 v7, v7, 23, v51
	v_or3_b32 v4, v6, v7, v4
.LBB4_638:                              ;   in Loop: Header=BB4_124 Depth=2
	s_or_b64 exec, exec, s[58:59]
.LBB4_639:                              ;   in Loop: Header=BB4_124 Depth=2
	s_or_b64 exec, exec, s[56:57]
.LBB4_640:                              ;   in Loop: Header=BB4_124 Depth=2
	s_or_b64 exec, exec, s[22:23]
	v_add_f32_e32 v5, v5, v4
	v_and_b32_sdwa v4, v5, s75 dst_sel:DWORD dst_unused:UNUSED_PAD src0_sel:BYTE_3 src1_sel:DWORD
	v_and_b32_e32 v6, 0x7f800000, v5
	v_mov_b32_e32 v7, v57
	v_and_b32_e32 v56, 0x7fffff, v5
	v_or_b32_e32 v20, 0x7e, v4
	v_cmp_ne_u64_e32 vcc, s[42:43], v[6:7]
	s_and_saveexec_b64 s[22:23], vcc
	s_xor_b64 s[56:57], exec, s[22:23]
	s_cbranch_execz .LBB4_650
; %bb.641:                              ;   in Loop: Header=BB4_124 Depth=2
	v_and_b32_e32 v6, 0x7fffffff, v5
	v_mov_b32_e32 v7, v57
	v_cmp_gt_u64_e32 vcc, s[44:45], v[6:7]
	s_and_saveexec_b64 s[58:59], vcc
	s_cbranch_execz .LBB4_649
; %bb.642:                              ;   in Loop: Header=BB4_124 Depth=2
	v_cmp_ne_u32_e32 vcc, 0, v5
	v_mov_b32_e32 v20, 0
	s_and_saveexec_b64 s[60:61], vcc
	s_cbranch_execz .LBB4_648
; %bb.643:                              ;   in Loop: Header=BB4_124 Depth=2
	v_bfe_u32 v5, v5, 23, 8
	v_sub_u32_e32 v7, 0x79, v5
	v_cmp_gt_u32_e32 vcc, s77, v5
	v_add_u32_e32 v6, 0xffffff81, v5
	v_cndmask_b32_e32 v7, 0, v7, vcc
	v_cmp_eq_u32_e32 vcc, 0, v5
	v_mov_b32_e32 v5, 0xffffff82
	v_cndmask_b32_e32 v5, v6, v5, vcc
	v_mov_b32_e32 v6, 0x78
	v_or_b32_e32 v8, 0x800000, v56
	v_cndmask_b32_e32 v20, v7, v6, vcc
	v_cndmask_b32_e32 v56, v8, v56, vcc
	v_add_u32_e32 v6, 20, v20
	v_lshlrev_b64 v[6:7], v6, -1
	v_lshrrev_b64 v[18:19], v20, v[56:57]
	v_not_b32_e32 v7, v7
	v_not_b32_e32 v6, v6
	v_add_u32_e32 v8, 19, v20
	v_lshrrev_b32_e32 v26, 23, v18
	v_and_b32_e32 v7, 0, v7
	v_and_b32_e32 v6, v56, v6
	v_lshlrev_b64 v[8:9], v8, 1
	v_add3_u32 v26, v20, v5, v26
	v_bfe_u32 v5, v18, 20, 1
	v_add_u32_e32 v5, -1, v5
	v_cmp_eq_u64_e32 vcc, v[6:7], v[8:9]
	v_cndmask_b32_e32 v5, 0, v5, vcc
	v_add_u32_e32 v5, v5, v18
	v_and_b32_e32 v5, 0xfffff, v5
	v_add_co_u32_e32 v18, vcc, v5, v18
	v_add_u32_e32 v20, 6, v26
	v_addc_co_u32_e32 v19, vcc, 0, v19, vcc
	v_cmp_ne_u32_e32 vcc, 0, v20
                                        ; implicit-def: $vgpr5
	s_and_saveexec_b64 s[22:23], vcc
	s_xor_b64 s[22:23], exec, s[22:23]
; %bb.644:                              ;   in Loop: Header=BB4_124 Depth=2
	v_cmp_lt_u64_e32 vcc, s[48:49], v[18:19]
	v_add_u32_e32 v5, 7, v26
	v_cndmask_b32_e64 v6, 0, 1, vcc
	v_cndmask_b32_e32 v5, v20, v5, vcc
	v_lshrrev_b64 v[18:19], v6, v[18:19]
; %bb.645:                              ;   in Loop: Header=BB4_124 Depth=2
	s_andn2_saveexec_b64 s[22:23], s[22:23]
; %bb.646:                              ;   in Loop: Header=BB4_124 Depth=2
	v_bfe_u32 v5, v18, 23, 1
; %bb.647:                              ;   in Loop: Header=BB4_124 Depth=2
	s_or_b64 exec, exec, s[22:23]
	v_lshrrev_b64 v[6:7], 20, v[18:19]
	v_cmp_gt_i32_e32 vcc, 16, v5
	v_cndmask_b32_e32 v7, 0, v7, vcc
	v_cndmask_b32_e32 v6, 7, v6, vcc
	v_cmp_eq_u32_e32 vcc, 0, v5
	v_min_i32_e32 v5, 15, v5
	v_cmp_eq_u64_e64 s[22:23], 0, v[6:7]
	v_lshlrev_b32_e32 v5, 3, v5
	v_and_or_b32 v5, v6, 7, v5
	s_and_b64 s[22:23], vcc, s[22:23]
	v_cndmask_b32_e64 v5, v5, 0, s[22:23]
	v_or_b32_e32 v20, v5, v4
.LBB4_648:                              ;   in Loop: Header=BB4_124 Depth=2
	s_or_b64 exec, exec, s[60:61]
.LBB4_649:                              ;   in Loop: Header=BB4_124 Depth=2
	s_or_b64 exec, exec, s[58:59]
                                        ; implicit-def: $vgpr5
.LBB4_650:                              ;   in Loop: Header=BB4_124 Depth=2
	s_andn2_saveexec_b64 s[22:23], s[56:57]
; %bb.651:                              ;   in Loop: Header=BB4_124 Depth=2
	v_or_b32_sdwa v4, v5, s76 dst_sel:DWORD dst_unused:UNUSED_PAD src0_sel:BYTE_3 src1_sel:DWORD
	v_cmp_eq_u64_e32 vcc, 0, v[56:57]
	v_cndmask_b32_e32 v20, v4, v20, vcc
; %bb.652:                              ;   in Loop: Header=BB4_124 Depth=2
	s_or_b64 exec, exec, s[22:23]
	v_lshrrev_b32_e32 v18, 16, v15
	v_cmp_ne_u16_sdwa vcc, v18, v57 src0_sel:BYTE_0 src1_sel:DWORD
	v_mov_b32_e32 v4, 0
	v_mov_b32_e32 v5, 0
	s_and_saveexec_b64 s[22:23], vcc
	s_cbranch_execz .LBB4_658
; %bb.653:                              ;   in Loop: Header=BB4_124 Depth=2
	v_cmp_ne_u16_sdwa vcc, v18, s75 src0_sel:BYTE_0 src1_sel:DWORD
	v_bfrev_b32_e32 v5, 1
	s_and_saveexec_b64 s[56:57], vcc
	s_cbranch_execz .LBB4_657
; %bb.654:                              ;   in Loop: Header=BB4_124 Depth=2
	v_bfe_u32 v19, v15, 16, 7
	v_cmp_ne_u32_e32 vcc, s76, v19
	v_mov_b32_e32 v5, 0x7f800001
	s_and_saveexec_b64 s[58:59], vcc
	s_cbranch_execz .LBB4_656
; %bb.655:                              ;   in Loop: Header=BB4_124 Depth=2
	v_and_b32_e32 v5, 7, v18
	v_ffbh_u32_e32 v6, v5
	v_min_u32_e32 v9, 32, v6
	v_subrev_u32_e32 v6, 28, v9
	v_lshlrev_b64 v[6:7], v6, v[18:19]
	v_lshrrev_b32_e32 v8, 3, v19
	v_sub_u32_e32 v7, 29, v9
	v_and_b32_e32 v6, 7, v6
	v_cmp_gt_u32_e32 vcc, 8, v19
	v_cndmask_b32_e32 v7, v8, v7, vcc
	v_cndmask_b32_e32 v5, v5, v6, vcc
	v_lshlrev_b32_e32 v6, 24, v18
	v_lshlrev_b32_e32 v5, 20, v5
	v_and_b32_e32 v6, 0x80000000, v6
	v_lshl_add_u32 v7, v7, 23, v51
	v_or3_b32 v5, v6, v7, v5
.LBB4_656:                              ;   in Loop: Header=BB4_124 Depth=2
	s_or_b64 exec, exec, s[58:59]
.LBB4_657:                              ;   in Loop: Header=BB4_124 Depth=2
	s_or_b64 exec, exec, s[56:57]
.LBB4_658:                              ;   in Loop: Header=BB4_124 Depth=2
	s_or_b64 exec, exec, s[22:23]
	v_lshrrev_b32_e32 v18, 16, v11
	v_cmp_ne_u16_sdwa vcc, v18, v57 src0_sel:BYTE_0 src1_sel:DWORD
	s_and_saveexec_b64 s[22:23], vcc
	s_cbranch_execz .LBB4_664
; %bb.659:                              ;   in Loop: Header=BB4_124 Depth=2
	v_cmp_ne_u16_sdwa vcc, v18, s75 src0_sel:BYTE_0 src1_sel:DWORD
	v_bfrev_b32_e32 v4, 1
	s_and_saveexec_b64 s[56:57], vcc
	s_cbranch_execz .LBB4_663
; %bb.660:                              ;   in Loop: Header=BB4_124 Depth=2
	v_bfe_u32 v19, v11, 16, 7
	v_cmp_ne_u32_e32 vcc, s76, v19
	v_mov_b32_e32 v4, 0x7f800001
	s_and_saveexec_b64 s[58:59], vcc
	s_cbranch_execz .LBB4_662
; %bb.661:                              ;   in Loop: Header=BB4_124 Depth=2
	v_and_b32_e32 v4, 7, v18
	v_ffbh_u32_e32 v6, v4
	v_min_u32_e32 v9, 32, v6
	v_subrev_u32_e32 v6, 28, v9
	v_lshlrev_b64 v[6:7], v6, v[18:19]
	v_lshrrev_b32_e32 v8, 3, v19
	v_sub_u32_e32 v7, 29, v9
	v_and_b32_e32 v6, 7, v6
	v_cmp_gt_u32_e32 vcc, 8, v19
	v_cndmask_b32_e32 v7, v8, v7, vcc
	v_cndmask_b32_e32 v4, v4, v6, vcc
	v_lshlrev_b32_e32 v6, 8, v11
	v_lshlrev_b32_e32 v4, 20, v4
	v_and_b32_e32 v6, 0x80000000, v6
	v_lshl_add_u32 v7, v7, 23, v51
	v_or3_b32 v4, v6, v7, v4
.LBB4_662:                              ;   in Loop: Header=BB4_124 Depth=2
	s_or_b64 exec, exec, s[58:59]
.LBB4_663:                              ;   in Loop: Header=BB4_124 Depth=2
	s_or_b64 exec, exec, s[56:57]
.LBB4_664:                              ;   in Loop: Header=BB4_124 Depth=2
	s_or_b64 exec, exec, s[22:23]
	v_add_f32_e32 v5, v5, v4
	v_and_b32_sdwa v4, v5, s75 dst_sel:DWORD dst_unused:UNUSED_PAD src0_sel:BYTE_3 src1_sel:DWORD
	v_and_b32_e32 v6, 0x7f800000, v5
	v_mov_b32_e32 v7, v57
	v_and_b32_e32 v56, 0x7fffff, v5
	v_or_b32_e32 v18, 0x7e, v4
	v_cmp_ne_u64_e32 vcc, s[42:43], v[6:7]
	s_and_saveexec_b64 s[22:23], vcc
	s_xor_b64 s[56:57], exec, s[22:23]
	s_cbranch_execz .LBB4_674
; %bb.665:                              ;   in Loop: Header=BB4_124 Depth=2
	v_and_b32_e32 v6, 0x7fffffff, v5
	v_mov_b32_e32 v7, v57
	v_cmp_gt_u64_e32 vcc, s[44:45], v[6:7]
	s_and_saveexec_b64 s[58:59], vcc
	s_cbranch_execz .LBB4_673
; %bb.666:                              ;   in Loop: Header=BB4_124 Depth=2
	v_cmp_ne_u32_e32 vcc, 0, v5
	v_mov_b32_e32 v18, 0
	s_and_saveexec_b64 s[60:61], vcc
	s_cbranch_execz .LBB4_672
; %bb.667:                              ;   in Loop: Header=BB4_124 Depth=2
	v_bfe_u32 v5, v5, 23, 8
	v_sub_u32_e32 v7, 0x79, v5
	v_cmp_gt_u32_e32 vcc, s77, v5
	v_add_u32_e32 v6, 0xffffff81, v5
	v_cndmask_b32_e32 v7, 0, v7, vcc
	v_cmp_eq_u32_e32 vcc, 0, v5
	v_mov_b32_e32 v5, 0xffffff82
	v_cndmask_b32_e32 v5, v6, v5, vcc
	v_mov_b32_e32 v6, 0x78
	v_or_b32_e32 v8, 0x800000, v56
	v_cndmask_b32_e32 v26, v7, v6, vcc
	v_cndmask_b32_e32 v56, v8, v56, vcc
	v_add_u32_e32 v6, 20, v26
	v_lshlrev_b64 v[6:7], v6, -1
	v_lshrrev_b64 v[18:19], v26, v[56:57]
	v_not_b32_e32 v7, v7
	v_not_b32_e32 v6, v6
	v_add_u32_e32 v8, 19, v26
	v_lshrrev_b32_e32 v27, 23, v18
	v_and_b32_e32 v7, 0, v7
	v_and_b32_e32 v6, v56, v6
	v_lshlrev_b64 v[8:9], v8, 1
	v_add3_u32 v27, v26, v5, v27
	v_bfe_u32 v5, v18, 20, 1
	v_add_u32_e32 v5, -1, v5
	v_cmp_eq_u64_e32 vcc, v[6:7], v[8:9]
	v_cndmask_b32_e32 v5, 0, v5, vcc
	v_add_u32_e32 v5, v5, v18
	v_and_b32_e32 v5, 0xfffff, v5
	v_add_co_u32_e32 v18, vcc, v5, v18
	v_add_u32_e32 v26, 6, v27
	v_addc_co_u32_e32 v19, vcc, 0, v19, vcc
	v_cmp_ne_u32_e32 vcc, 0, v26
                                        ; implicit-def: $vgpr5
	s_and_saveexec_b64 s[22:23], vcc
	s_xor_b64 s[22:23], exec, s[22:23]
; %bb.668:                              ;   in Loop: Header=BB4_124 Depth=2
	v_cmp_lt_u64_e32 vcc, s[48:49], v[18:19]
	v_add_u32_e32 v5, 7, v27
	v_cndmask_b32_e64 v6, 0, 1, vcc
	v_cndmask_b32_e32 v5, v26, v5, vcc
	v_lshrrev_b64 v[18:19], v6, v[18:19]
; %bb.669:                              ;   in Loop: Header=BB4_124 Depth=2
	s_andn2_saveexec_b64 s[22:23], s[22:23]
; %bb.670:                              ;   in Loop: Header=BB4_124 Depth=2
	v_bfe_u32 v5, v18, 23, 1
; %bb.671:                              ;   in Loop: Header=BB4_124 Depth=2
	s_or_b64 exec, exec, s[22:23]
	v_lshrrev_b64 v[6:7], 20, v[18:19]
	v_cmp_gt_i32_e32 vcc, 16, v5
	v_cndmask_b32_e32 v7, 0, v7, vcc
	v_cndmask_b32_e32 v6, 7, v6, vcc
	v_cmp_eq_u32_e32 vcc, 0, v5
	v_min_i32_e32 v5, 15, v5
	v_lshlrev_b32_e32 v5, 3, v5
	v_cmp_eq_u64_e64 s[22:23], 0, v[6:7]
	v_and_b32_e32 v5, 0xf8, v5
	v_and_or_b32 v5, v6, 7, v5
	s_and_b64 s[22:23], vcc, s[22:23]
	v_cndmask_b32_e64 v5, v5, 0, s[22:23]
	v_or_b32_e32 v18, v5, v4
.LBB4_672:                              ;   in Loop: Header=BB4_124 Depth=2
	s_or_b64 exec, exec, s[60:61]
.LBB4_673:                              ;   in Loop: Header=BB4_124 Depth=2
	s_or_b64 exec, exec, s[58:59]
                                        ; implicit-def: $vgpr5
.LBB4_674:                              ;   in Loop: Header=BB4_124 Depth=2
	s_andn2_saveexec_b64 s[22:23], s[56:57]
; %bb.675:                              ;   in Loop: Header=BB4_124 Depth=2
	v_or_b32_sdwa v4, v5, s76 dst_sel:DWORD dst_unused:UNUSED_PAD src0_sel:BYTE_3 src1_sel:DWORD
	v_cmp_eq_u64_e32 vcc, 0, v[56:57]
	v_cndmask_b32_e32 v18, v4, v18, vcc
; %bb.676:                              ;   in Loop: Header=BB4_124 Depth=2
	s_or_b64 exec, exec, s[22:23]
	v_cmp_lt_u64_e32 vcc, s[46:47], v[14:15]
	v_mov_b32_e32 v4, 0
	v_mov_b32_e32 v5, 0
	s_and_saveexec_b64 s[22:23], vcc
	s_cbranch_execz .LBB4_682
; %bb.677:                              ;   in Loop: Header=BB4_124 Depth=2
	v_lshrrev_b32_e32 v14, 24, v15
	v_cmp_ne_u32_e32 vcc, s75, v14
	v_bfrev_b32_e32 v5, 1
	s_and_saveexec_b64 s[56:57], vcc
	s_cbranch_execz .LBB4_681
; %bb.678:                              ;   in Loop: Header=BB4_124 Depth=2
	v_bfe_u32 v15, v15, 24, 7
	v_cmp_ne_u32_e32 vcc, s76, v15
	v_mov_b32_e32 v5, 0x7f800001
	s_and_saveexec_b64 s[58:59], vcc
	s_cbranch_execz .LBB4_680
; %bb.679:                              ;   in Loop: Header=BB4_124 Depth=2
	v_and_b32_e32 v5, 7, v14
	v_ffbh_u32_e32 v6, v5
	v_min_u32_e32 v9, 32, v6
	v_subrev_u32_e32 v6, 28, v9
	v_lshlrev_b64 v[6:7], v6, v[14:15]
	v_lshrrev_b32_e32 v8, 3, v15
	v_sub_u32_e32 v7, 29, v9
	v_and_b32_e32 v6, 7, v6
	v_cmp_gt_u32_e32 vcc, 8, v15
	v_cndmask_b32_e32 v7, v8, v7, vcc
	v_cndmask_b32_e32 v5, v5, v6, vcc
	v_lshlrev_b32_e32 v6, 24, v14
	v_lshlrev_b32_e32 v5, 20, v5
	v_and_b32_e32 v6, 0x80000000, v6
	v_lshl_add_u32 v7, v7, 23, v51
	v_or3_b32 v5, v6, v7, v5
.LBB4_680:                              ;   in Loop: Header=BB4_124 Depth=2
	s_or_b64 exec, exec, s[58:59]
.LBB4_681:                              ;   in Loop: Header=BB4_124 Depth=2
	s_or_b64 exec, exec, s[56:57]
.LBB4_682:                              ;   in Loop: Header=BB4_124 Depth=2
	s_or_b64 exec, exec, s[22:23]
	v_cmp_lt_u64_e32 vcc, s[46:47], v[10:11]
	s_and_saveexec_b64 s[22:23], vcc
	s_cbranch_execz .LBB4_688
; %bb.683:                              ;   in Loop: Header=BB4_124 Depth=2
	v_lshrrev_b32_e32 v10, 24, v11
	v_cmp_ne_u32_e32 vcc, s75, v10
	v_bfrev_b32_e32 v4, 1
	s_and_saveexec_b64 s[56:57], vcc
	s_cbranch_execz .LBB4_687
; %bb.684:                              ;   in Loop: Header=BB4_124 Depth=2
	v_bfe_u32 v11, v11, 24, 7
	v_cmp_ne_u32_e32 vcc, s76, v11
	v_mov_b32_e32 v4, 0x7f800001
	s_and_saveexec_b64 s[58:59], vcc
	s_cbranch_execz .LBB4_686
; %bb.685:                              ;   in Loop: Header=BB4_124 Depth=2
	v_and_b32_e32 v4, 7, v10
	v_ffbh_u32_e32 v6, v4
	v_min_u32_e32 v9, 32, v6
	v_subrev_u32_e32 v6, 28, v9
	v_lshlrev_b64 v[6:7], v6, v[10:11]
	v_lshrrev_b32_e32 v8, 3, v11
	v_sub_u32_e32 v7, 29, v9
	v_and_b32_e32 v6, 7, v6
	v_cmp_gt_u32_e32 vcc, 8, v11
	v_cndmask_b32_e32 v7, v8, v7, vcc
	v_cndmask_b32_e32 v4, v4, v6, vcc
	v_lshlrev_b32_e32 v6, 24, v10
	v_lshlrev_b32_e32 v4, 20, v4
	v_and_b32_e32 v6, 0x80000000, v6
	v_lshl_add_u32 v7, v7, 23, v51
	v_or3_b32 v4, v6, v7, v4
.LBB4_686:                              ;   in Loop: Header=BB4_124 Depth=2
	s_or_b64 exec, exec, s[58:59]
.LBB4_687:                              ;   in Loop: Header=BB4_124 Depth=2
	s_or_b64 exec, exec, s[56:57]
.LBB4_688:                              ;   in Loop: Header=BB4_124 Depth=2
	s_or_b64 exec, exec, s[22:23]
	v_add_f32_e32 v5, v5, v4
	v_and_b32_sdwa v4, v5, s75 dst_sel:DWORD dst_unused:UNUSED_PAD src0_sel:BYTE_3 src1_sel:DWORD
	v_and_b32_e32 v6, 0x7f800000, v5
	v_mov_b32_e32 v7, v57
	v_and_b32_e32 v56, 0x7fffff, v5
	v_or_b32_e32 v15, 0x7e, v4
	v_cmp_ne_u64_e32 vcc, s[42:43], v[6:7]
	s_and_saveexec_b64 s[22:23], vcc
	s_xor_b64 s[56:57], exec, s[22:23]
	s_cbranch_execz .LBB4_698
; %bb.689:                              ;   in Loop: Header=BB4_124 Depth=2
	v_and_b32_e32 v6, 0x7fffffff, v5
	v_mov_b32_e32 v7, v57
	v_cmp_gt_u64_e32 vcc, s[44:45], v[6:7]
	s_and_saveexec_b64 s[58:59], vcc
	s_cbranch_execz .LBB4_697
; %bb.690:                              ;   in Loop: Header=BB4_124 Depth=2
	v_cmp_ne_u32_e32 vcc, 0, v5
	v_mov_b32_e32 v15, 0
	s_and_saveexec_b64 s[60:61], vcc
	s_cbranch_execz .LBB4_696
; %bb.691:                              ;   in Loop: Header=BB4_124 Depth=2
	v_bfe_u32 v5, v5, 23, 8
	v_sub_u32_e32 v7, 0x79, v5
	v_cmp_gt_u32_e32 vcc, s77, v5
	v_add_u32_e32 v6, 0xffffff81, v5
	v_cndmask_b32_e32 v7, 0, v7, vcc
	v_cmp_eq_u32_e32 vcc, 0, v5
	v_mov_b32_e32 v5, 0xffffff82
	v_cndmask_b32_e32 v5, v6, v5, vcc
	v_mov_b32_e32 v6, 0x78
	v_or_b32_e32 v8, 0x800000, v56
	v_cndmask_b32_e32 v14, v7, v6, vcc
	v_cndmask_b32_e32 v56, v8, v56, vcc
	v_add_u32_e32 v6, 20, v14
	v_lshlrev_b64 v[6:7], v6, -1
	v_lshrrev_b64 v[10:11], v14, v[56:57]
	v_not_b32_e32 v7, v7
	v_not_b32_e32 v6, v6
	v_add_u32_e32 v8, 19, v14
	v_lshrrev_b32_e32 v15, 23, v10
	v_and_b32_e32 v7, 0, v7
	v_and_b32_e32 v6, v56, v6
	v_lshlrev_b64 v[8:9], v8, 1
	v_add3_u32 v15, v14, v5, v15
	v_bfe_u32 v5, v10, 20, 1
	v_add_u32_e32 v5, -1, v5
	v_cmp_eq_u64_e32 vcc, v[6:7], v[8:9]
	v_cndmask_b32_e32 v5, 0, v5, vcc
	v_add_u32_e32 v5, v5, v10
	v_and_b32_e32 v5, 0xfffff, v5
	v_add_co_u32_e32 v10, vcc, v5, v10
	v_add_u32_e32 v14, 6, v15
	v_addc_co_u32_e32 v11, vcc, 0, v11, vcc
	v_cmp_ne_u32_e32 vcc, 0, v14
                                        ; implicit-def: $vgpr5
	s_and_saveexec_b64 s[22:23], vcc
	s_xor_b64 s[22:23], exec, s[22:23]
; %bb.692:                              ;   in Loop: Header=BB4_124 Depth=2
	v_cmp_lt_u64_e32 vcc, s[48:49], v[10:11]
	v_add_u32_e32 v5, 7, v15
	v_cndmask_b32_e64 v6, 0, 1, vcc
	v_cndmask_b32_e32 v5, v14, v5, vcc
	v_lshrrev_b64 v[10:11], v6, v[10:11]
; %bb.693:                              ;   in Loop: Header=BB4_124 Depth=2
	s_andn2_saveexec_b64 s[22:23], s[22:23]
; %bb.694:                              ;   in Loop: Header=BB4_124 Depth=2
	v_bfe_u32 v5, v10, 23, 1
; %bb.695:                              ;   in Loop: Header=BB4_124 Depth=2
	s_or_b64 exec, exec, s[22:23]
	v_lshrrev_b64 v[6:7], 20, v[10:11]
	v_cmp_gt_i32_e32 vcc, 16, v5
	v_cndmask_b32_e32 v7, 0, v7, vcc
	v_cndmask_b32_e32 v6, 7, v6, vcc
	v_cmp_eq_u32_e32 vcc, 0, v5
	v_min_i32_e32 v5, 15, v5
	v_lshlrev_b32_e32 v5, 3, v5
	v_cmp_eq_u64_e64 s[22:23], 0, v[6:7]
	v_and_b32_e32 v5, 0xf8, v5
	v_and_or_b32 v5, v6, 7, v5
	s_and_b64 s[22:23], vcc, s[22:23]
	v_cndmask_b32_e64 v5, v5, 0, s[22:23]
	v_or_b32_e32 v15, v5, v4
.LBB4_696:                              ;   in Loop: Header=BB4_124 Depth=2
	s_or_b64 exec, exec, s[60:61]
.LBB4_697:                              ;   in Loop: Header=BB4_124 Depth=2
	s_or_b64 exec, exec, s[58:59]
                                        ; implicit-def: $vgpr5
.LBB4_698:                              ;   in Loop: Header=BB4_124 Depth=2
	s_andn2_saveexec_b64 s[22:23], s[56:57]
; %bb.699:                              ;   in Loop: Header=BB4_124 Depth=2
	v_or_b32_sdwa v4, v5, s76 dst_sel:DWORD dst_unused:UNUSED_PAD src0_sel:BYTE_3 src1_sel:DWORD
	v_cmp_eq_u64_e32 vcc, 0, v[56:57]
	v_cndmask_b32_e32 v15, v4, v15, vcc
; %bb.700:                              ;   in Loop: Header=BB4_124 Depth=2
	s_or_b64 exec, exec, s[22:23]
	v_cmp_ne_u16_sdwa vcc, v16, v57 src0_sel:BYTE_0 src1_sel:DWORD
	v_mov_b32_e32 v4, 0
	v_mov_b32_e32 v5, 0
	s_and_saveexec_b64 s[22:23], vcc
	s_cbranch_execz .LBB4_706
; %bb.701:                              ;   in Loop: Header=BB4_124 Depth=2
	v_cmp_ne_u16_sdwa vcc, v16, s75 src0_sel:BYTE_0 src1_sel:DWORD
	v_bfrev_b32_e32 v5, 1
	s_and_saveexec_b64 s[56:57], vcc
	s_cbranch_execz .LBB4_705
; %bb.702:                              ;   in Loop: Header=BB4_124 Depth=2
	v_and_b32_e32 v10, 0x7f, v16
	v_cmp_ne_u32_e32 vcc, s76, v10
	v_mov_b32_e32 v5, 0x7f800001
	s_and_saveexec_b64 s[58:59], vcc
	s_cbranch_execz .LBB4_704
; %bb.703:                              ;   in Loop: Header=BB4_124 Depth=2
	v_and_b32_e32 v5, 7, v16
	v_ffbh_u32_e32 v5, v5
	v_min_u32_e32 v5, 32, v5
	v_lshrrev_b32_e32 v6, 3, v10
	v_subrev_u32_e32 v7, 28, v5
	v_sub_u32_e32 v5, 29, v5
	v_cmp_gt_u32_e32 vcc, 8, v10
	v_cndmask_b32_e32 v5, v6, v5, vcc
	v_cndmask_b32_e32 v6, 0, v7, vcc
	v_lshlrev_b64 v[6:7], v6, v[16:17]
	v_lshlrev_b32_e32 v6, 20, v6
	v_lshlrev_b32_e32 v7, 24, v16
	v_and_b32_e32 v6, 0x700000, v6
	v_and_b32_e32 v7, 0x80000000, v7
	v_lshl_add_u32 v5, v5, 23, v51
	v_or3_b32 v5, v7, v5, v6
.LBB4_704:                              ;   in Loop: Header=BB4_124 Depth=2
	s_or_b64 exec, exec, s[58:59]
.LBB4_705:                              ;   in Loop: Header=BB4_124 Depth=2
	s_or_b64 exec, exec, s[56:57]
.LBB4_706:                              ;   in Loop: Header=BB4_124 Depth=2
	s_or_b64 exec, exec, s[22:23]
	v_cmp_ne_u16_sdwa vcc, v12, v57 src0_sel:BYTE_0 src1_sel:DWORD
	s_and_saveexec_b64 s[22:23], vcc
	s_cbranch_execz .LBB4_712
; %bb.707:                              ;   in Loop: Header=BB4_124 Depth=2
	v_cmp_ne_u16_sdwa vcc, v12, s75 src0_sel:BYTE_0 src1_sel:DWORD
	v_bfrev_b32_e32 v4, 1
	s_and_saveexec_b64 s[56:57], vcc
	s_cbranch_execz .LBB4_711
; %bb.708:                              ;   in Loop: Header=BB4_124 Depth=2
	v_and_b32_e32 v10, 0x7f, v12
	v_cmp_ne_u32_e32 vcc, s76, v10
	v_mov_b32_e32 v4, 0x7f800001
	s_and_saveexec_b64 s[58:59], vcc
	s_cbranch_execz .LBB4_710
; %bb.709:                              ;   in Loop: Header=BB4_124 Depth=2
	v_and_b32_e32 v4, 7, v12
	v_ffbh_u32_e32 v4, v4
	v_min_u32_e32 v4, 32, v4
	v_lshrrev_b32_e32 v6, 3, v10
	v_subrev_u32_e32 v7, 28, v4
	v_sub_u32_e32 v4, 29, v4
	v_cmp_gt_u32_e32 vcc, 8, v10
	v_cndmask_b32_e32 v4, v6, v4, vcc
	v_cndmask_b32_e32 v6, 0, v7, vcc
	v_lshlrev_b64 v[6:7], v6, v[12:13]
	v_lshlrev_b32_e32 v6, 20, v6
	v_lshlrev_b32_e32 v7, 24, v12
	v_and_b32_e32 v6, 0x700000, v6
	v_and_b32_e32 v7, 0x80000000, v7
	v_lshl_add_u32 v4, v4, 23, v51
	v_or3_b32 v4, v7, v4, v6
.LBB4_710:                              ;   in Loop: Header=BB4_124 Depth=2
	s_or_b64 exec, exec, s[58:59]
.LBB4_711:                              ;   in Loop: Header=BB4_124 Depth=2
	s_or_b64 exec, exec, s[56:57]
.LBB4_712:                              ;   in Loop: Header=BB4_124 Depth=2
	s_or_b64 exec, exec, s[22:23]
	v_add_f32_e32 v5, v5, v4
	v_and_b32_sdwa v4, v5, s75 dst_sel:DWORD dst_unused:UNUSED_PAD src0_sel:BYTE_3 src1_sel:DWORD
	v_and_b32_e32 v6, 0x7f800000, v5
	v_mov_b32_e32 v7, v57
	v_and_b32_e32 v56, 0x7fffff, v5
	v_or_b32_e32 v19, 0x7e, v4
	v_cmp_ne_u64_e32 vcc, s[42:43], v[6:7]
	s_and_saveexec_b64 s[22:23], vcc
	s_xor_b64 s[56:57], exec, s[22:23]
	s_cbranch_execz .LBB4_722
; %bb.713:                              ;   in Loop: Header=BB4_124 Depth=2
	v_and_b32_e32 v6, 0x7fffffff, v5
	v_mov_b32_e32 v7, v57
	v_cmp_gt_u64_e32 vcc, s[44:45], v[6:7]
	s_and_saveexec_b64 s[58:59], vcc
	s_cbranch_execz .LBB4_721
; %bb.714:                              ;   in Loop: Header=BB4_124 Depth=2
	v_cmp_ne_u32_e32 vcc, 0, v5
	v_mov_b32_e32 v19, 0
	s_and_saveexec_b64 s[60:61], vcc
	s_cbranch_execz .LBB4_720
; %bb.715:                              ;   in Loop: Header=BB4_124 Depth=2
	v_bfe_u32 v5, v5, 23, 8
	v_sub_u32_e32 v7, 0x79, v5
	v_cmp_gt_u32_e32 vcc, s77, v5
	v_add_u32_e32 v6, 0xffffff81, v5
	v_cndmask_b32_e32 v7, 0, v7, vcc
	v_cmp_eq_u32_e32 vcc, 0, v5
	v_mov_b32_e32 v5, 0xffffff82
	v_cndmask_b32_e32 v5, v6, v5, vcc
	v_mov_b32_e32 v6, 0x78
	v_or_b32_e32 v8, 0x800000, v56
	v_cndmask_b32_e32 v14, v7, v6, vcc
	v_cndmask_b32_e32 v56, v8, v56, vcc
	v_add_u32_e32 v6, 20, v14
	v_lshlrev_b64 v[6:7], v6, -1
	v_lshrrev_b64 v[10:11], v14, v[56:57]
	v_not_b32_e32 v7, v7
	v_not_b32_e32 v6, v6
	v_add_u32_e32 v8, 19, v14
	v_lshrrev_b32_e32 v19, 23, v10
	v_and_b32_e32 v7, 0, v7
	v_and_b32_e32 v6, v56, v6
	v_lshlrev_b64 v[8:9], v8, 1
	v_add3_u32 v19, v14, v5, v19
	v_bfe_u32 v5, v10, 20, 1
	v_add_u32_e32 v5, -1, v5
	v_cmp_eq_u64_e32 vcc, v[6:7], v[8:9]
	v_cndmask_b32_e32 v5, 0, v5, vcc
	v_add_u32_e32 v5, v5, v10
	v_and_b32_e32 v5, 0xfffff, v5
	v_add_co_u32_e32 v10, vcc, v5, v10
	v_add_u32_e32 v14, 6, v19
	v_addc_co_u32_e32 v11, vcc, 0, v11, vcc
	v_cmp_ne_u32_e32 vcc, 0, v14
                                        ; implicit-def: $vgpr5
	s_and_saveexec_b64 s[22:23], vcc
	s_xor_b64 s[22:23], exec, s[22:23]
; %bb.716:                              ;   in Loop: Header=BB4_124 Depth=2
	v_cmp_lt_u64_e32 vcc, s[48:49], v[10:11]
	v_add_u32_e32 v5, 7, v19
	v_cndmask_b32_e64 v6, 0, 1, vcc
	v_cndmask_b32_e32 v5, v14, v5, vcc
	v_lshrrev_b64 v[10:11], v6, v[10:11]
; %bb.717:                              ;   in Loop: Header=BB4_124 Depth=2
	s_andn2_saveexec_b64 s[22:23], s[22:23]
; %bb.718:                              ;   in Loop: Header=BB4_124 Depth=2
	v_bfe_u32 v5, v10, 23, 1
; %bb.719:                              ;   in Loop: Header=BB4_124 Depth=2
	s_or_b64 exec, exec, s[22:23]
	v_lshrrev_b64 v[6:7], 20, v[10:11]
	v_cmp_gt_i32_e32 vcc, 16, v5
	v_cndmask_b32_e32 v7, 0, v7, vcc
	v_cndmask_b32_e32 v6, 7, v6, vcc
	v_cmp_eq_u32_e32 vcc, 0, v5
	v_min_i32_e32 v5, 15, v5
	v_cmp_eq_u64_e64 s[22:23], 0, v[6:7]
	v_lshlrev_b32_e32 v5, 3, v5
	v_and_or_b32 v5, v6, 7, v5
	s_and_b64 s[22:23], vcc, s[22:23]
	v_cndmask_b32_e64 v5, v5, 0, s[22:23]
	v_or_b32_e32 v19, v5, v4
.LBB4_720:                              ;   in Loop: Header=BB4_124 Depth=2
	s_or_b64 exec, exec, s[60:61]
.LBB4_721:                              ;   in Loop: Header=BB4_124 Depth=2
	s_or_b64 exec, exec, s[58:59]
                                        ; implicit-def: $vgpr5
.LBB4_722:                              ;   in Loop: Header=BB4_124 Depth=2
	s_andn2_saveexec_b64 s[22:23], s[56:57]
; %bb.723:                              ;   in Loop: Header=BB4_124 Depth=2
	v_or_b32_sdwa v4, v5, s76 dst_sel:DWORD dst_unused:UNUSED_PAD src0_sel:BYTE_3 src1_sel:DWORD
	v_cmp_eq_u64_e32 vcc, 0, v[56:57]
	v_cndmask_b32_e32 v19, v4, v19, vcc
; %bb.724:                              ;   in Loop: Header=BB4_124 Depth=2
	s_or_b64 exec, exec, s[22:23]
	v_lshrrev_b16_e32 v10, 8, v16
	v_cmp_ne_u16_e32 vcc, 0, v10
	v_mov_b32_e32 v4, 0
	v_mov_b32_e32 v5, 0
	s_and_saveexec_b64 s[22:23], vcc
	s_cbranch_execz .LBB4_730
; %bb.725:                              ;   in Loop: Header=BB4_124 Depth=2
	v_cmp_ne_u16_e32 vcc, s75, v10
	v_bfrev_b32_e32 v5, 1
	s_and_saveexec_b64 s[56:57], vcc
	s_cbranch_execz .LBB4_729
; %bb.726:                              ;   in Loop: Header=BB4_124 Depth=2
	v_and_b32_e32 v11, 0x7f, v10
	v_cmp_ne_u32_e32 vcc, s76, v11
	v_mov_b32_e32 v5, 0x7f800001
	s_and_saveexec_b64 s[58:59], vcc
	s_cbranch_execz .LBB4_728
; %bb.727:                              ;   in Loop: Header=BB4_124 Depth=2
	v_and_b32_e32 v5, 7, v10
	v_ffbh_u32_e32 v6, v5
	v_min_u32_e32 v9, 32, v6
	v_subrev_u32_e32 v6, 28, v9
	v_lshlrev_b64 v[6:7], v6, v[10:11]
	v_lshrrev_b32_e32 v8, 3, v11
	v_sub_u32_e32 v7, 29, v9
	v_and_b32_e32 v6, 7, v6
	v_cmp_gt_u32_e32 vcc, 8, v11
	v_cndmask_b32_e32 v7, v8, v7, vcc
	v_cndmask_b32_e32 v5, v5, v6, vcc
	v_lshlrev_b32_e32 v6, 16, v16
	v_lshlrev_b32_e32 v5, 20, v5
	v_and_b32_e32 v6, 0x80000000, v6
	v_lshl_add_u32 v7, v7, 23, v51
	v_or3_b32 v5, v6, v7, v5
.LBB4_728:                              ;   in Loop: Header=BB4_124 Depth=2
	s_or_b64 exec, exec, s[58:59]
.LBB4_729:                              ;   in Loop: Header=BB4_124 Depth=2
	s_or_b64 exec, exec, s[56:57]
.LBB4_730:                              ;   in Loop: Header=BB4_124 Depth=2
	s_or_b64 exec, exec, s[22:23]
	v_lshrrev_b16_e32 v10, 8, v12
	v_cmp_ne_u16_e32 vcc, 0, v10
	s_and_saveexec_b64 s[22:23], vcc
	s_cbranch_execz .LBB4_736
; %bb.731:                              ;   in Loop: Header=BB4_124 Depth=2
	v_cmp_ne_u16_e32 vcc, s75, v10
	v_bfrev_b32_e32 v4, 1
	s_and_saveexec_b64 s[56:57], vcc
	s_cbranch_execz .LBB4_735
; %bb.732:                              ;   in Loop: Header=BB4_124 Depth=2
	v_and_b32_e32 v11, 0x7f, v10
	v_cmp_ne_u32_e32 vcc, s76, v11
	v_mov_b32_e32 v4, 0x7f800001
	s_and_saveexec_b64 s[58:59], vcc
	s_cbranch_execz .LBB4_734
; %bb.733:                              ;   in Loop: Header=BB4_124 Depth=2
	v_and_b32_e32 v4, 7, v10
	v_ffbh_u32_e32 v6, v4
	v_min_u32_e32 v9, 32, v6
	v_subrev_u32_e32 v6, 28, v9
	v_lshlrev_b64 v[6:7], v6, v[10:11]
	v_lshrrev_b32_e32 v8, 3, v11
	v_sub_u32_e32 v7, 29, v9
	v_and_b32_e32 v6, 7, v6
	v_cmp_gt_u32_e32 vcc, 8, v11
	v_cndmask_b32_e32 v7, v8, v7, vcc
	v_cndmask_b32_e32 v4, v4, v6, vcc
	v_lshlrev_b32_e32 v6, 16, v12
	v_lshlrev_b32_e32 v4, 20, v4
	v_and_b32_e32 v6, 0x80000000, v6
	v_lshl_add_u32 v7, v7, 23, v51
	v_or3_b32 v4, v6, v7, v4
.LBB4_734:                              ;   in Loop: Header=BB4_124 Depth=2
	s_or_b64 exec, exec, s[58:59]
.LBB4_735:                              ;   in Loop: Header=BB4_124 Depth=2
	s_or_b64 exec, exec, s[56:57]
.LBB4_736:                              ;   in Loop: Header=BB4_124 Depth=2
	s_or_b64 exec, exec, s[22:23]
	v_add_f32_e32 v5, v5, v4
	v_and_b32_sdwa v4, v5, s75 dst_sel:DWORD dst_unused:UNUSED_PAD src0_sel:BYTE_3 src1_sel:DWORD
	v_and_b32_e32 v6, 0x7f800000, v5
	v_mov_b32_e32 v7, v57
	v_and_b32_e32 v56, 0x7fffff, v5
	v_or_b32_e32 v26, 0x7e, v4
	v_cmp_ne_u64_e32 vcc, s[42:43], v[6:7]
	s_and_saveexec_b64 s[22:23], vcc
	s_xor_b64 s[56:57], exec, s[22:23]
	s_cbranch_execz .LBB4_746
; %bb.737:                              ;   in Loop: Header=BB4_124 Depth=2
	v_and_b32_e32 v6, 0x7fffffff, v5
	v_mov_b32_e32 v7, v57
	v_cmp_gt_u64_e32 vcc, s[44:45], v[6:7]
	s_and_saveexec_b64 s[58:59], vcc
	s_cbranch_execz .LBB4_745
; %bb.738:                              ;   in Loop: Header=BB4_124 Depth=2
	v_cmp_ne_u32_e32 vcc, 0, v5
	v_mov_b32_e32 v26, 0
	s_and_saveexec_b64 s[60:61], vcc
	s_cbranch_execz .LBB4_744
; %bb.739:                              ;   in Loop: Header=BB4_124 Depth=2
	v_bfe_u32 v5, v5, 23, 8
	v_sub_u32_e32 v7, 0x79, v5
	v_cmp_gt_u32_e32 vcc, s77, v5
	v_add_u32_e32 v6, 0xffffff81, v5
	v_cndmask_b32_e32 v7, 0, v7, vcc
	v_cmp_eq_u32_e32 vcc, 0, v5
	v_mov_b32_e32 v5, 0xffffff82
	v_cndmask_b32_e32 v5, v6, v5, vcc
	v_mov_b32_e32 v6, 0x78
	v_or_b32_e32 v8, 0x800000, v56
	v_cndmask_b32_e32 v14, v7, v6, vcc
	v_cndmask_b32_e32 v56, v8, v56, vcc
	v_add_u32_e32 v6, 20, v14
	v_lshlrev_b64 v[6:7], v6, -1
	v_lshrrev_b64 v[10:11], v14, v[56:57]
	v_not_b32_e32 v7, v7
	v_not_b32_e32 v6, v6
	v_add_u32_e32 v8, 19, v14
	v_lshrrev_b32_e32 v26, 23, v10
	v_and_b32_e32 v7, 0, v7
	v_and_b32_e32 v6, v56, v6
	v_lshlrev_b64 v[8:9], v8, 1
	v_add3_u32 v26, v14, v5, v26
	v_bfe_u32 v5, v10, 20, 1
	v_add_u32_e32 v5, -1, v5
	v_cmp_eq_u64_e32 vcc, v[6:7], v[8:9]
	v_cndmask_b32_e32 v5, 0, v5, vcc
	v_add_u32_e32 v5, v5, v10
	v_and_b32_e32 v5, 0xfffff, v5
	v_add_co_u32_e32 v10, vcc, v5, v10
	v_add_u32_e32 v14, 6, v26
	v_addc_co_u32_e32 v11, vcc, 0, v11, vcc
	v_cmp_ne_u32_e32 vcc, 0, v14
                                        ; implicit-def: $vgpr5
	s_and_saveexec_b64 s[22:23], vcc
	s_xor_b64 s[22:23], exec, s[22:23]
; %bb.740:                              ;   in Loop: Header=BB4_124 Depth=2
	v_cmp_lt_u64_e32 vcc, s[48:49], v[10:11]
	v_add_u32_e32 v5, 7, v26
	v_cndmask_b32_e64 v6, 0, 1, vcc
	v_cndmask_b32_e32 v5, v14, v5, vcc
	v_lshrrev_b64 v[10:11], v6, v[10:11]
; %bb.741:                              ;   in Loop: Header=BB4_124 Depth=2
	s_andn2_saveexec_b64 s[22:23], s[22:23]
; %bb.742:                              ;   in Loop: Header=BB4_124 Depth=2
	v_bfe_u32 v5, v10, 23, 1
; %bb.743:                              ;   in Loop: Header=BB4_124 Depth=2
	s_or_b64 exec, exec, s[22:23]
	v_lshrrev_b64 v[6:7], 20, v[10:11]
	v_cmp_gt_i32_e32 vcc, 16, v5
	v_cndmask_b32_e32 v7, 0, v7, vcc
	v_cndmask_b32_e32 v6, 7, v6, vcc
	v_cmp_eq_u32_e32 vcc, 0, v5
	v_min_i32_e32 v5, 15, v5
	v_cmp_eq_u64_e64 s[22:23], 0, v[6:7]
	v_lshlrev_b32_e32 v5, 3, v5
	v_and_or_b32 v5, v6, 7, v5
	s_and_b64 s[22:23], vcc, s[22:23]
	v_cndmask_b32_e64 v5, v5, 0, s[22:23]
	v_or_b32_e32 v26, v5, v4
.LBB4_744:                              ;   in Loop: Header=BB4_124 Depth=2
	s_or_b64 exec, exec, s[60:61]
.LBB4_745:                              ;   in Loop: Header=BB4_124 Depth=2
	s_or_b64 exec, exec, s[58:59]
                                        ; implicit-def: $vgpr5
.LBB4_746:                              ;   in Loop: Header=BB4_124 Depth=2
	s_andn2_saveexec_b64 s[22:23], s[56:57]
; %bb.747:                              ;   in Loop: Header=BB4_124 Depth=2
	v_or_b32_sdwa v4, v5, s76 dst_sel:DWORD dst_unused:UNUSED_PAD src0_sel:BYTE_3 src1_sel:DWORD
	v_cmp_eq_u64_e32 vcc, 0, v[56:57]
	v_cndmask_b32_e32 v26, v4, v26, vcc
; %bb.748:                              ;   in Loop: Header=BB4_124 Depth=2
	s_or_b64 exec, exec, s[22:23]
	v_lshrrev_b32_e32 v10, 16, v16
	v_cmp_ne_u16_sdwa vcc, v10, v57 src0_sel:BYTE_0 src1_sel:DWORD
	v_mov_b32_e32 v4, 0
	v_mov_b32_e32 v5, 0
	s_and_saveexec_b64 s[22:23], vcc
	s_cbranch_execz .LBB4_754
; %bb.749:                              ;   in Loop: Header=BB4_124 Depth=2
	v_cmp_ne_u16_sdwa vcc, v10, s75 src0_sel:BYTE_0 src1_sel:DWORD
	v_bfrev_b32_e32 v5, 1
	s_and_saveexec_b64 s[56:57], vcc
	s_cbranch_execz .LBB4_753
; %bb.750:                              ;   in Loop: Header=BB4_124 Depth=2
	v_bfe_u32 v11, v16, 16, 7
	v_cmp_ne_u32_e32 vcc, s76, v11
	v_mov_b32_e32 v5, 0x7f800001
	s_and_saveexec_b64 s[58:59], vcc
	s_cbranch_execz .LBB4_752
; %bb.751:                              ;   in Loop: Header=BB4_124 Depth=2
	v_and_b32_e32 v5, 7, v10
	v_ffbh_u32_e32 v6, v5
	v_min_u32_e32 v9, 32, v6
	v_subrev_u32_e32 v6, 28, v9
	v_lshlrev_b64 v[6:7], v6, v[10:11]
	v_lshrrev_b32_e32 v8, 3, v11
	v_sub_u32_e32 v7, 29, v9
	v_and_b32_e32 v6, 7, v6
	v_cmp_gt_u32_e32 vcc, 8, v11
	v_cndmask_b32_e32 v7, v8, v7, vcc
	v_cndmask_b32_e32 v5, v5, v6, vcc
	v_lshlrev_b32_e32 v6, 24, v10
	v_lshlrev_b32_e32 v5, 20, v5
	v_and_b32_e32 v6, 0x80000000, v6
	v_lshl_add_u32 v7, v7, 23, v51
	v_or3_b32 v5, v6, v7, v5
.LBB4_752:                              ;   in Loop: Header=BB4_124 Depth=2
	s_or_b64 exec, exec, s[58:59]
.LBB4_753:                              ;   in Loop: Header=BB4_124 Depth=2
	s_or_b64 exec, exec, s[56:57]
.LBB4_754:                              ;   in Loop: Header=BB4_124 Depth=2
	s_or_b64 exec, exec, s[22:23]
	v_lshrrev_b32_e32 v10, 16, v12
	v_cmp_ne_u16_sdwa vcc, v10, v57 src0_sel:BYTE_0 src1_sel:DWORD
	s_and_saveexec_b64 s[22:23], vcc
	s_cbranch_execz .LBB4_760
; %bb.755:                              ;   in Loop: Header=BB4_124 Depth=2
	v_cmp_ne_u16_sdwa vcc, v10, s75 src0_sel:BYTE_0 src1_sel:DWORD
	v_bfrev_b32_e32 v4, 1
	s_and_saveexec_b64 s[56:57], vcc
	s_cbranch_execz .LBB4_759
; %bb.756:                              ;   in Loop: Header=BB4_124 Depth=2
	v_bfe_u32 v11, v12, 16, 7
	v_cmp_ne_u32_e32 vcc, s76, v11
	v_mov_b32_e32 v4, 0x7f800001
	s_and_saveexec_b64 s[58:59], vcc
	s_cbranch_execz .LBB4_758
; %bb.757:                              ;   in Loop: Header=BB4_124 Depth=2
	v_and_b32_e32 v4, 7, v10
	v_ffbh_u32_e32 v6, v4
	v_min_u32_e32 v9, 32, v6
	v_subrev_u32_e32 v6, 28, v9
	v_lshlrev_b64 v[6:7], v6, v[10:11]
	v_lshrrev_b32_e32 v8, 3, v11
	v_sub_u32_e32 v7, 29, v9
	v_and_b32_e32 v6, 7, v6
	v_cmp_gt_u32_e32 vcc, 8, v11
	v_cndmask_b32_e32 v7, v8, v7, vcc
	v_cndmask_b32_e32 v4, v4, v6, vcc
	v_lshlrev_b32_e32 v6, 8, v12
	v_lshlrev_b32_e32 v4, 20, v4
	v_and_b32_e32 v6, 0x80000000, v6
	v_lshl_add_u32 v7, v7, 23, v51
	v_or3_b32 v4, v6, v7, v4
.LBB4_758:                              ;   in Loop: Header=BB4_124 Depth=2
	s_or_b64 exec, exec, s[58:59]
.LBB4_759:                              ;   in Loop: Header=BB4_124 Depth=2
	s_or_b64 exec, exec, s[56:57]
.LBB4_760:                              ;   in Loop: Header=BB4_124 Depth=2
	s_or_b64 exec, exec, s[22:23]
	v_add_f32_e32 v5, v5, v4
	v_and_b32_sdwa v4, v5, s75 dst_sel:DWORD dst_unused:UNUSED_PAD src0_sel:BYTE_3 src1_sel:DWORD
	v_and_b32_e32 v6, 0x7f800000, v5
	v_mov_b32_e32 v7, v57
	v_and_b32_e32 v56, 0x7fffff, v5
	v_or_b32_e32 v27, 0x7e, v4
	v_cmp_ne_u64_e32 vcc, s[42:43], v[6:7]
	s_and_saveexec_b64 s[22:23], vcc
	s_xor_b64 s[56:57], exec, s[22:23]
	s_cbranch_execz .LBB4_770
; %bb.761:                              ;   in Loop: Header=BB4_124 Depth=2
	v_and_b32_e32 v6, 0x7fffffff, v5
	v_mov_b32_e32 v7, v57
	v_cmp_gt_u64_e32 vcc, s[44:45], v[6:7]
	s_and_saveexec_b64 s[58:59], vcc
	s_cbranch_execz .LBB4_769
; %bb.762:                              ;   in Loop: Header=BB4_124 Depth=2
	v_cmp_ne_u32_e32 vcc, 0, v5
	v_mov_b32_e32 v27, 0
	s_and_saveexec_b64 s[60:61], vcc
	s_cbranch_execz .LBB4_768
; %bb.763:                              ;   in Loop: Header=BB4_124 Depth=2
	v_bfe_u32 v5, v5, 23, 8
	v_sub_u32_e32 v7, 0x79, v5
	v_cmp_gt_u32_e32 vcc, s77, v5
	v_add_u32_e32 v6, 0xffffff81, v5
	v_cndmask_b32_e32 v7, 0, v7, vcc
	v_cmp_eq_u32_e32 vcc, 0, v5
	v_mov_b32_e32 v5, 0xffffff82
	v_cndmask_b32_e32 v5, v6, v5, vcc
	v_mov_b32_e32 v6, 0x78
	v_or_b32_e32 v8, 0x800000, v56
	v_cndmask_b32_e32 v14, v7, v6, vcc
	v_cndmask_b32_e32 v56, v8, v56, vcc
	v_add_u32_e32 v6, 20, v14
	v_lshlrev_b64 v[6:7], v6, -1
	v_lshrrev_b64 v[10:11], v14, v[56:57]
	v_not_b32_e32 v7, v7
	v_not_b32_e32 v6, v6
	v_add_u32_e32 v8, 19, v14
	v_lshrrev_b32_e32 v27, 23, v10
	v_and_b32_e32 v7, 0, v7
	v_and_b32_e32 v6, v56, v6
	v_lshlrev_b64 v[8:9], v8, 1
	v_add3_u32 v27, v14, v5, v27
	v_bfe_u32 v5, v10, 20, 1
	v_add_u32_e32 v5, -1, v5
	v_cmp_eq_u64_e32 vcc, v[6:7], v[8:9]
	v_cndmask_b32_e32 v5, 0, v5, vcc
	v_add_u32_e32 v5, v5, v10
	v_and_b32_e32 v5, 0xfffff, v5
	v_add_co_u32_e32 v10, vcc, v5, v10
	v_add_u32_e32 v14, 6, v27
	v_addc_co_u32_e32 v11, vcc, 0, v11, vcc
	v_cmp_ne_u32_e32 vcc, 0, v14
                                        ; implicit-def: $vgpr5
	s_and_saveexec_b64 s[22:23], vcc
	s_xor_b64 s[22:23], exec, s[22:23]
; %bb.764:                              ;   in Loop: Header=BB4_124 Depth=2
	v_cmp_lt_u64_e32 vcc, s[48:49], v[10:11]
	v_add_u32_e32 v5, 7, v27
	v_cndmask_b32_e64 v6, 0, 1, vcc
	v_cndmask_b32_e32 v5, v14, v5, vcc
	v_lshrrev_b64 v[10:11], v6, v[10:11]
; %bb.765:                              ;   in Loop: Header=BB4_124 Depth=2
	s_andn2_saveexec_b64 s[22:23], s[22:23]
; %bb.766:                              ;   in Loop: Header=BB4_124 Depth=2
	v_bfe_u32 v5, v10, 23, 1
; %bb.767:                              ;   in Loop: Header=BB4_124 Depth=2
	s_or_b64 exec, exec, s[22:23]
	v_lshrrev_b64 v[6:7], 20, v[10:11]
	v_cmp_gt_i32_e32 vcc, 16, v5
	v_cndmask_b32_e32 v7, 0, v7, vcc
	v_cndmask_b32_e32 v6, 7, v6, vcc
	v_cmp_eq_u32_e32 vcc, 0, v5
	v_min_i32_e32 v5, 15, v5
	v_cmp_eq_u64_e64 s[22:23], 0, v[6:7]
	v_lshlrev_b32_e32 v5, 3, v5
	v_and_or_b32 v5, v6, 7, v5
	s_and_b64 s[22:23], vcc, s[22:23]
	v_cndmask_b32_e64 v5, v5, 0, s[22:23]
	v_or_b32_e32 v27, v5, v4
.LBB4_768:                              ;   in Loop: Header=BB4_124 Depth=2
	s_or_b64 exec, exec, s[60:61]
.LBB4_769:                              ;   in Loop: Header=BB4_124 Depth=2
	s_or_b64 exec, exec, s[58:59]
                                        ; implicit-def: $vgpr5
.LBB4_770:                              ;   in Loop: Header=BB4_124 Depth=2
	s_andn2_saveexec_b64 s[22:23], s[56:57]
; %bb.771:                              ;   in Loop: Header=BB4_124 Depth=2
	v_or_b32_sdwa v4, v5, s76 dst_sel:DWORD dst_unused:UNUSED_PAD src0_sel:BYTE_3 src1_sel:DWORD
	v_cmp_eq_u64_e32 vcc, 0, v[56:57]
	v_cndmask_b32_e32 v27, v4, v27, vcc
; %bb.772:                              ;   in Loop: Header=BB4_124 Depth=2
	s_or_b64 exec, exec, s[22:23]
	v_cmp_lt_u32_e32 vcc, s47, v16
	v_mov_b32_e32 v4, 0
	v_mov_b32_e32 v5, 0
	s_and_saveexec_b64 s[22:23], vcc
	s_cbranch_execz .LBB4_778
; %bb.773:                              ;   in Loop: Header=BB4_124 Depth=2
	v_lshrrev_b32_e32 v10, 24, v16
	v_cmp_ne_u32_e32 vcc, s75, v10
	v_bfrev_b32_e32 v5, 1
	s_and_saveexec_b64 s[56:57], vcc
	s_cbranch_execz .LBB4_777
; %bb.774:                              ;   in Loop: Header=BB4_124 Depth=2
	v_bfe_u32 v11, v16, 24, 7
	v_cmp_ne_u32_e32 vcc, s76, v11
	v_mov_b32_e32 v5, 0x7f800001
	s_and_saveexec_b64 s[58:59], vcc
	s_cbranch_execz .LBB4_776
; %bb.775:                              ;   in Loop: Header=BB4_124 Depth=2
	v_and_b32_e32 v5, 7, v10
	v_ffbh_u32_e32 v6, v5
	v_min_u32_e32 v9, 32, v6
	v_subrev_u32_e32 v6, 28, v9
	v_lshlrev_b64 v[6:7], v6, v[10:11]
	v_lshrrev_b32_e32 v8, 3, v11
	v_sub_u32_e32 v7, 29, v9
	v_and_b32_e32 v6, 7, v6
	v_cmp_gt_u32_e32 vcc, 8, v11
	v_cndmask_b32_e32 v7, v8, v7, vcc
	v_cndmask_b32_e32 v5, v5, v6, vcc
	v_lshlrev_b32_e32 v6, 24, v10
	v_lshlrev_b32_e32 v5, 20, v5
	v_and_b32_e32 v6, 0x80000000, v6
	v_lshl_add_u32 v7, v7, 23, v51
	v_or3_b32 v5, v6, v7, v5
.LBB4_776:                              ;   in Loop: Header=BB4_124 Depth=2
	s_or_b64 exec, exec, s[58:59]
.LBB4_777:                              ;   in Loop: Header=BB4_124 Depth=2
	s_or_b64 exec, exec, s[56:57]
.LBB4_778:                              ;   in Loop: Header=BB4_124 Depth=2
	s_or_b64 exec, exec, s[22:23]
	v_cmp_lt_u32_e32 vcc, s47, v12
	s_and_saveexec_b64 s[22:23], vcc
	s_cbranch_execz .LBB4_784
; %bb.779:                              ;   in Loop: Header=BB4_124 Depth=2
	v_lshrrev_b32_e32 v10, 24, v12
	v_cmp_ne_u32_e32 vcc, s75, v10
	v_bfrev_b32_e32 v4, 1
	s_and_saveexec_b64 s[56:57], vcc
	s_cbranch_execz .LBB4_783
; %bb.780:                              ;   in Loop: Header=BB4_124 Depth=2
	v_bfe_u32 v11, v12, 24, 7
	v_cmp_ne_u32_e32 vcc, s76, v11
	v_mov_b32_e32 v4, 0x7f800001
	s_and_saveexec_b64 s[58:59], vcc
	s_cbranch_execz .LBB4_782
; %bb.781:                              ;   in Loop: Header=BB4_124 Depth=2
	v_and_b32_e32 v4, 7, v10
	v_ffbh_u32_e32 v6, v4
	v_min_u32_e32 v9, 32, v6
	v_subrev_u32_e32 v6, 28, v9
	v_lshlrev_b64 v[6:7], v6, v[10:11]
	v_lshrrev_b32_e32 v8, 3, v11
	v_sub_u32_e32 v7, 29, v9
	v_and_b32_e32 v6, 7, v6
	v_cmp_gt_u32_e32 vcc, 8, v11
	v_cndmask_b32_e32 v7, v8, v7, vcc
	v_cndmask_b32_e32 v4, v4, v6, vcc
	v_lshlrev_b32_e32 v6, 24, v10
	v_lshlrev_b32_e32 v4, 20, v4
	v_and_b32_e32 v6, 0x80000000, v6
	v_lshl_add_u32 v7, v7, 23, v51
	v_or3_b32 v4, v6, v7, v4
.LBB4_782:                              ;   in Loop: Header=BB4_124 Depth=2
	s_or_b64 exec, exec, s[58:59]
.LBB4_783:                              ;   in Loop: Header=BB4_124 Depth=2
	s_or_b64 exec, exec, s[56:57]
.LBB4_784:                              ;   in Loop: Header=BB4_124 Depth=2
	s_or_b64 exec, exec, s[22:23]
	v_add_f32_e32 v10, v5, v4
	v_and_b32_sdwa v5, v10, s75 dst_sel:DWORD dst_unused:UNUSED_PAD src0_sel:BYTE_3 src1_sel:DWORD
	v_and_b32_e32 v6, 0x7f800000, v10
	v_mov_b32_e32 v7, v57
	v_and_b32_e32 v56, 0x7fffff, v10
	v_or_b32_e32 v4, 0x7e, v5
	v_cmp_ne_u64_e32 vcc, s[42:43], v[6:7]
	s_and_saveexec_b64 s[22:23], vcc
	s_xor_b64 s[56:57], exec, s[22:23]
	s_cbranch_execz .LBB4_794
; %bb.785:                              ;   in Loop: Header=BB4_124 Depth=2
	v_and_b32_e32 v6, 0x7fffffff, v10
	v_mov_b32_e32 v7, v57
	v_cmp_gt_u64_e32 vcc, s[44:45], v[6:7]
	s_and_saveexec_b64 s[58:59], vcc
	s_cbranch_execz .LBB4_793
; %bb.786:                              ;   in Loop: Header=BB4_124 Depth=2
	v_cmp_ne_u32_e32 vcc, 0, v10
	v_mov_b32_e32 v4, 0
	s_and_saveexec_b64 s[60:61], vcc
	s_cbranch_execz .LBB4_792
; %bb.787:                              ;   in Loop: Header=BB4_124 Depth=2
	v_bfe_u32 v4, v10, 23, 8
	v_sub_u32_e32 v7, 0x79, v4
	v_cmp_gt_u32_e32 vcc, s77, v4
	v_add_u32_e32 v6, 0xffffff81, v4
	v_cndmask_b32_e32 v7, 0, v7, vcc
	v_cmp_eq_u32_e32 vcc, 0, v4
	v_mov_b32_e32 v4, 0xffffff82
	v_cndmask_b32_e32 v4, v6, v4, vcc
	v_mov_b32_e32 v6, 0x78
	v_or_b32_e32 v8, 0x800000, v56
	v_cndmask_b32_e32 v14, v7, v6, vcc
	v_cndmask_b32_e32 v56, v8, v56, vcc
	v_add_u32_e32 v6, 20, v14
	v_lshlrev_b64 v[6:7], v6, -1
	v_lshrrev_b64 v[10:11], v14, v[56:57]
	v_not_b32_e32 v7, v7
	v_not_b32_e32 v6, v6
	v_add_u32_e32 v8, 19, v14
	v_lshrrev_b32_e32 v29, 23, v10
	v_and_b32_e32 v7, 0, v7
	v_and_b32_e32 v6, v56, v6
	v_lshlrev_b64 v[8:9], v8, 1
	v_add3_u32 v48, v14, v4, v29
	v_bfe_u32 v4, v10, 20, 1
	v_add_u32_e32 v4, -1, v4
	v_cmp_eq_u64_e32 vcc, v[6:7], v[8:9]
	v_cndmask_b32_e32 v4, 0, v4, vcc
	v_add_u32_e32 v4, v4, v10
	v_and_b32_e32 v4, 0xfffff, v4
	v_add_co_u32_e32 v10, vcc, v4, v10
	v_add_u32_e32 v14, 6, v48
	v_addc_co_u32_e32 v11, vcc, 0, v11, vcc
	v_cmp_ne_u32_e32 vcc, 0, v14
                                        ; implicit-def: $vgpr4
	s_and_saveexec_b64 s[22:23], vcc
	s_xor_b64 s[22:23], exec, s[22:23]
; %bb.788:                              ;   in Loop: Header=BB4_124 Depth=2
	v_cmp_lt_u64_e32 vcc, s[48:49], v[10:11]
	v_add_u32_e32 v4, 7, v48
	v_cndmask_b32_e64 v6, 0, 1, vcc
	v_cndmask_b32_e32 v4, v14, v4, vcc
	v_lshrrev_b64 v[10:11], v6, v[10:11]
; %bb.789:                              ;   in Loop: Header=BB4_124 Depth=2
	s_andn2_saveexec_b64 s[22:23], s[22:23]
; %bb.790:                              ;   in Loop: Header=BB4_124 Depth=2
	v_bfe_u32 v4, v10, 23, 1
; %bb.791:                              ;   in Loop: Header=BB4_124 Depth=2
	s_or_b64 exec, exec, s[22:23]
	v_lshrrev_b64 v[6:7], 20, v[10:11]
	v_cmp_gt_i32_e32 vcc, 16, v4
	v_cndmask_b32_e32 v7, 0, v7, vcc
	v_cndmask_b32_e32 v6, 7, v6, vcc
	v_cmp_eq_u32_e32 vcc, 0, v4
	v_min_i32_e32 v4, 15, v4
	v_cmp_eq_u64_e64 s[22:23], 0, v[6:7]
	v_lshlrev_b32_e32 v4, 3, v4
	v_and_or_b32 v4, v6, 7, v4
	s_and_b64 s[22:23], vcc, s[22:23]
	v_cndmask_b32_e64 v4, v4, 0, s[22:23]
	v_or_b32_e32 v4, v4, v5
.LBB4_792:                              ;   in Loop: Header=BB4_124 Depth=2
	s_or_b64 exec, exec, s[60:61]
.LBB4_793:                              ;   in Loop: Header=BB4_124 Depth=2
	s_or_b64 exec, exec, s[58:59]
                                        ; implicit-def: $vgpr10
.LBB4_794:                              ;   in Loop: Header=BB4_124 Depth=2
	s_andn2_saveexec_b64 s[22:23], s[56:57]
; %bb.795:                              ;   in Loop: Header=BB4_124 Depth=2
	v_or_b32_sdwa v5, v10, s76 dst_sel:DWORD dst_unused:UNUSED_PAD src0_sel:BYTE_3 src1_sel:DWORD
	v_cmp_eq_u64_e32 vcc, 0, v[56:57]
	v_cndmask_b32_e32 v4, v5, v4, vcc
; %bb.796:                              ;   in Loop: Header=BB4_124 Depth=2
	s_or_b64 exec, exec, s[22:23]
	v_mov_b32_e32 v56, v17
	v_cmp_ne_u16_sdwa vcc, v17, v57 src0_sel:BYTE_0 src1_sel:DWORD
	v_mov_b32_e32 v10, 0
	v_mov_b32_e32 v5, 0
	s_and_saveexec_b64 s[22:23], vcc
	s_cbranch_execz .LBB4_802
; %bb.797:                              ;   in Loop: Header=BB4_124 Depth=2
	v_cmp_ne_u16_sdwa vcc, v17, s75 src0_sel:BYTE_0 src1_sel:DWORD
	v_bfrev_b32_e32 v5, 1
	s_and_saveexec_b64 s[56:57], vcc
	s_cbranch_execz .LBB4_801
; %bb.798:                              ;   in Loop: Header=BB4_124 Depth=2
	v_and_b32_e32 v11, 0x7f, v17
	v_cmp_ne_u32_e32 vcc, s76, v11
	v_mov_b32_e32 v5, 0x7f800001
	s_and_saveexec_b64 s[58:59], vcc
	s_cbranch_execz .LBB4_800
; %bb.799:                              ;   in Loop: Header=BB4_124 Depth=2
	v_and_b32_e32 v5, 7, v17
	v_ffbh_u32_e32 v5, v5
	v_min_u32_e32 v5, 32, v5
	v_lshrrev_b32_e32 v6, 3, v11
	v_subrev_u32_e32 v7, 28, v5
	v_sub_u32_e32 v5, 29, v5
	v_cmp_gt_u32_e32 vcc, 8, v11
	v_cndmask_b32_e32 v5, v6, v5, vcc
	v_cndmask_b32_e32 v6, 0, v7, vcc
	v_lshlrev_b64 v[6:7], v6, v[56:57]
	v_lshlrev_b32_e32 v6, 20, v6
	v_lshlrev_b32_e32 v7, 24, v56
	v_and_b32_e32 v6, 0x700000, v6
	v_and_b32_e32 v7, 0x80000000, v7
	v_lshl_add_u32 v5, v5, 23, v51
	v_or3_b32 v5, v7, v5, v6
.LBB4_800:                              ;   in Loop: Header=BB4_124 Depth=2
	s_or_b64 exec, exec, s[58:59]
.LBB4_801:                              ;   in Loop: Header=BB4_124 Depth=2
	s_or_b64 exec, exec, s[56:57]
.LBB4_802:                              ;   in Loop: Header=BB4_124 Depth=2
	s_or_b64 exec, exec, s[22:23]
	v_cmp_ne_u16_sdwa vcc, v13, v57 src0_sel:BYTE_0 src1_sel:DWORD
	s_and_saveexec_b64 s[22:23], vcc
	s_cbranch_execz .LBB4_808
; %bb.803:                              ;   in Loop: Header=BB4_124 Depth=2
	v_cmp_ne_u16_sdwa vcc, v13, s75 src0_sel:BYTE_0 src1_sel:DWORD
	v_bfrev_b32_e32 v10, 1
	s_and_saveexec_b64 s[56:57], vcc
	s_cbranch_execz .LBB4_807
; %bb.804:                              ;   in Loop: Header=BB4_124 Depth=2
	v_and_b32_e32 v11, 0x7f, v13
	v_cmp_ne_u32_e32 vcc, s76, v11
	v_mov_b32_e32 v10, 0x7f800001
	s_and_saveexec_b64 s[58:59], vcc
	s_cbranch_execz .LBB4_806
; %bb.805:                              ;   in Loop: Header=BB4_124 Depth=2
	v_and_b32_e32 v8, 7, v13
	v_ffbh_u32_e32 v8, v8
	v_min_u32_e32 v8, 32, v8
	v_lshrrev_b32_e32 v9, 3, v11
	v_subrev_u32_e32 v10, 28, v8
	v_sub_u32_e32 v8, 29, v8
	v_cmp_gt_u32_e32 vcc, 8, v11
	v_mov_b32_e32 v6, v13
	v_mov_b32_e32 v7, v57
	v_cndmask_b32_e32 v11, v9, v8, vcc
	v_cndmask_b32_e32 v8, 0, v10, vcc
	v_lshlrev_b64 v[8:9], v8, v[6:7]
	v_lshlrev_b32_e32 v7, 20, v8
	v_lshlrev_b32_e32 v6, 24, v6
	v_and_b32_e32 v7, 0x700000, v7
	v_and_b32_e32 v6, 0x80000000, v6
	v_lshl_add_u32 v8, v11, 23, v51
	v_or3_b32 v10, v6, v8, v7
.LBB4_806:                              ;   in Loop: Header=BB4_124 Depth=2
	s_or_b64 exec, exec, s[58:59]
.LBB4_807:                              ;   in Loop: Header=BB4_124 Depth=2
	s_or_b64 exec, exec, s[56:57]
.LBB4_808:                              ;   in Loop: Header=BB4_124 Depth=2
	s_or_b64 exec, exec, s[22:23]
	v_add_f32_e32 v48, v5, v10
	v_and_b32_sdwa v14, v48, s75 dst_sel:DWORD dst_unused:UNUSED_PAD src0_sel:BYTE_3 src1_sel:DWORD
	v_and_b32_e32 v6, 0x7f800000, v48
	v_mov_b32_e32 v7, v57
	v_and_b32_e32 v10, 0x7fffff, v48
	v_mov_b32_e32 v11, v57
	v_or_b32_e32 v5, 0x7e, v14
	v_cmp_ne_u64_e32 vcc, s[42:43], v[6:7]
	s_and_saveexec_b64 s[22:23], vcc
	s_xor_b64 s[56:57], exec, s[22:23]
	s_cbranch_execz .LBB4_818
; %bb.809:                              ;   in Loop: Header=BB4_124 Depth=2
	v_and_b32_e32 v6, 0x7fffffff, v48
	v_mov_b32_e32 v7, v57
	v_cmp_gt_u64_e32 vcc, s[44:45], v[6:7]
	s_and_saveexec_b64 s[58:59], vcc
	s_cbranch_execz .LBB4_817
; %bb.810:                              ;   in Loop: Header=BB4_124 Depth=2
	v_cmp_ne_u32_e32 vcc, 0, v48
	v_mov_b32_e32 v5, 0
	s_and_saveexec_b64 s[60:61], vcc
	s_cbranch_execz .LBB4_816
; %bb.811:                              ;   in Loop: Header=BB4_124 Depth=2
	v_bfe_u32 v5, v48, 23, 8
	v_sub_u32_e32 v7, 0x79, v5
	v_cmp_gt_u32_e32 vcc, s77, v5
	v_add_u32_e32 v6, 0xffffff81, v5
	v_cndmask_b32_e32 v7, 0, v7, vcc
	v_cmp_eq_u32_e32 vcc, 0, v5
	v_mov_b32_e32 v5, 0xffffff82
	v_cndmask_b32_e32 v5, v6, v5, vcc
	v_mov_b32_e32 v6, 0x78
	v_cndmask_b32_e32 v29, v7, v6, vcc
	v_add_u32_e32 v6, 20, v29
	v_or_b32_e32 v8, 0x800000, v10
	v_lshlrev_b64 v[6:7], v6, -1
	v_cndmask_b32_e32 v10, v8, v10, vcc
	v_not_b32_e32 v6, v6
	v_and_b32_e32 v6, v10, v6
	v_lshrrev_b64 v[10:11], v29, v[10:11]
	v_not_b32_e32 v7, v7
	v_add_u32_e32 v8, 19, v29
	v_lshrrev_b32_e32 v48, 23, v10
	v_and_b32_e32 v7, 0, v7
	v_lshlrev_b64 v[8:9], v8, 1
	v_add3_u32 v49, v29, v5, v48
	v_bfe_u32 v5, v10, 20, 1
	v_add_u32_e32 v5, -1, v5
	v_cmp_eq_u64_e32 vcc, v[6:7], v[8:9]
	v_cndmask_b32_e32 v5, 0, v5, vcc
	v_add_u32_e32 v5, v5, v10
	v_and_b32_e32 v5, 0xfffff, v5
	v_add_co_u32_e32 v10, vcc, v5, v10
	v_add_u32_e32 v48, 6, v49
	v_addc_co_u32_e32 v11, vcc, 0, v11, vcc
	v_cmp_ne_u32_e32 vcc, 0, v48
                                        ; implicit-def: $vgpr5
	s_and_saveexec_b64 s[22:23], vcc
	s_xor_b64 s[22:23], exec, s[22:23]
; %bb.812:                              ;   in Loop: Header=BB4_124 Depth=2
	v_cmp_lt_u64_e32 vcc, s[48:49], v[10:11]
	v_add_u32_e32 v5, 7, v49
	v_cndmask_b32_e64 v6, 0, 1, vcc
	v_cndmask_b32_e32 v5, v48, v5, vcc
	v_lshrrev_b64 v[10:11], v6, v[10:11]
; %bb.813:                              ;   in Loop: Header=BB4_124 Depth=2
	s_andn2_saveexec_b64 s[22:23], s[22:23]
; %bb.814:                              ;   in Loop: Header=BB4_124 Depth=2
	v_bfe_u32 v5, v10, 23, 1
; %bb.815:                              ;   in Loop: Header=BB4_124 Depth=2
	s_or_b64 exec, exec, s[22:23]
	v_lshrrev_b64 v[6:7], 20, v[10:11]
	v_cmp_gt_i32_e32 vcc, 16, v5
	v_cndmask_b32_e32 v7, 0, v7, vcc
	v_cndmask_b32_e32 v6, 7, v6, vcc
	v_cmp_eq_u32_e32 vcc, 0, v5
	v_min_i32_e32 v5, 15, v5
	v_cmp_eq_u64_e64 s[22:23], 0, v[6:7]
	v_lshlrev_b32_e32 v5, 3, v5
	v_and_or_b32 v5, v6, 7, v5
	s_and_b64 s[22:23], vcc, s[22:23]
	v_cndmask_b32_e64 v5, v5, 0, s[22:23]
	v_or_b32_e32 v5, v5, v14
.LBB4_816:                              ;   in Loop: Header=BB4_124 Depth=2
	s_or_b64 exec, exec, s[60:61]
.LBB4_817:                              ;   in Loop: Header=BB4_124 Depth=2
	s_or_b64 exec, exec, s[58:59]
                                        ; implicit-def: $vgpr48
                                        ; implicit-def: $vgpr10_vgpr11
.LBB4_818:                              ;   in Loop: Header=BB4_124 Depth=2
	s_andn2_saveexec_b64 s[22:23], s[56:57]
; %bb.819:                              ;   in Loop: Header=BB4_124 Depth=2
	v_or_b32_sdwa v6, v48, s76 dst_sel:DWORD dst_unused:UNUSED_PAD src0_sel:BYTE_3 src1_sel:DWORD
	v_cmp_eq_u64_e32 vcc, 0, v[10:11]
	v_cndmask_b32_e32 v5, v6, v5, vcc
; %bb.820:                              ;   in Loop: Header=BB4_124 Depth=2
	s_or_b64 exec, exec, s[22:23]
	v_lshrrev_b16_e32 v10, 8, v56
	v_cmp_ne_u16_e32 vcc, 0, v10
	v_mov_b32_e32 v11, 0
	v_mov_b32_e32 v48, 0
	s_and_saveexec_b64 s[22:23], vcc
	s_cbranch_execz .LBB4_826
; %bb.821:                              ;   in Loop: Header=BB4_124 Depth=2
	v_cmp_ne_u16_e32 vcc, s75, v10
	v_bfrev_b32_e32 v48, 1
	s_and_saveexec_b64 s[56:57], vcc
	s_cbranch_execz .LBB4_825
; %bb.822:                              ;   in Loop: Header=BB4_124 Depth=2
	v_and_b32_e32 v14, 0x7f, v10
	v_cmp_ne_u32_e32 vcc, s76, v14
	v_mov_b32_e32 v48, 0x7f800001
	s_and_saveexec_b64 s[58:59], vcc
	s_cbranch_execz .LBB4_824
; %bb.823:                              ;   in Loop: Header=BB4_124 Depth=2
	v_and_b32_e32 v8, 7, v10
	v_ffbh_u32_e32 v6, v8
	v_min_u32_e32 v29, 32, v6
	v_subrev_u32_e32 v6, 28, v29
	v_lshlrev_b64 v[6:7], v6, v[10:11]
	v_lshrrev_b32_e32 v9, 3, v14
	v_sub_u32_e32 v7, 29, v29
	v_and_b32_e32 v6, 7, v6
	v_cmp_gt_u32_e32 vcc, 8, v14
	v_cndmask_b32_e32 v7, v9, v7, vcc
	v_cndmask_b32_e32 v6, v8, v6, vcc
	v_lshlrev_b32_e32 v8, 16, v56
	v_lshlrev_b32_e32 v6, 20, v6
	v_and_b32_e32 v8, 0x80000000, v8
	v_lshl_add_u32 v7, v7, 23, v51
	v_or3_b32 v48, v8, v7, v6
.LBB4_824:                              ;   in Loop: Header=BB4_124 Depth=2
	s_or_b64 exec, exec, s[58:59]
.LBB4_825:                              ;   in Loop: Header=BB4_124 Depth=2
	s_or_b64 exec, exec, s[56:57]
.LBB4_826:                              ;   in Loop: Header=BB4_124 Depth=2
	s_or_b64 exec, exec, s[22:23]
	v_mov_b32_e32 v10, v13
	v_lshrrev_b16_e32 v14, 8, v10
	v_cmp_ne_u16_e32 vcc, 0, v14
	s_and_saveexec_b64 s[22:23], vcc
	s_cbranch_execz .LBB4_832
; %bb.827:                              ;   in Loop: Header=BB4_124 Depth=2
	v_cmp_ne_u16_e32 vcc, s75, v14
	v_bfrev_b32_e32 v11, 1
	s_and_saveexec_b64 s[56:57], vcc
	s_cbranch_execz .LBB4_831
; %bb.828:                              ;   in Loop: Header=BB4_124 Depth=2
	v_and_b32_e32 v29, 0x7f, v14
	v_cmp_ne_u32_e32 vcc, s76, v29
	v_mov_b32_e32 v11, 0x7f800001
	s_and_saveexec_b64 s[58:59], vcc
	s_cbranch_execz .LBB4_830
; %bb.829:                              ;   in Loop: Header=BB4_124 Depth=2
	v_and_b32_e32 v8, 7, v14
	v_ffbh_u32_e32 v6, v8
	v_min_u32_e32 v11, 32, v6
	v_subrev_u32_e32 v6, 28, v11
	v_lshlrev_b64 v[6:7], v6, v[14:15]
	v_lshrrev_b32_e32 v9, 3, v29
	v_sub_u32_e32 v7, 29, v11
	v_and_b32_e32 v6, 7, v6
	v_cmp_gt_u32_e32 vcc, 8, v29
	v_cndmask_b32_e32 v7, v9, v7, vcc
	v_cndmask_b32_e32 v6, v8, v6, vcc
	v_lshlrev_b32_e32 v8, 16, v10
	v_lshlrev_b32_e32 v6, 20, v6
	v_and_b32_e32 v8, 0x80000000, v8
	v_lshl_add_u32 v7, v7, 23, v51
	v_or3_b32 v11, v8, v7, v6
.LBB4_830:                              ;   in Loop: Header=BB4_124 Depth=2
	s_or_b64 exec, exec, s[58:59]
.LBB4_831:                              ;   in Loop: Header=BB4_124 Depth=2
	s_or_b64 exec, exec, s[56:57]
.LBB4_832:                              ;   in Loop: Header=BB4_124 Depth=2
	s_or_b64 exec, exec, s[22:23]
	v_add_f32_e32 v10, v48, v11
	v_and_b32_sdwa v48, v10, s75 dst_sel:DWORD dst_unused:UNUSED_PAD src0_sel:BYTE_3 src1_sel:DWORD
	v_and_b32_e32 v6, 0x7f800000, v10
	v_mov_b32_e32 v7, v57
	v_and_b32_e32 v56, 0x7fffff, v10
	v_or_b32_e32 v14, 0x7e, v48
	v_cmp_ne_u64_e32 vcc, s[42:43], v[6:7]
	s_and_saveexec_b64 s[22:23], vcc
	s_xor_b64 s[56:57], exec, s[22:23]
	s_cbranch_execz .LBB4_842
; %bb.833:                              ;   in Loop: Header=BB4_124 Depth=2
	v_and_b32_e32 v6, 0x7fffffff, v10
	v_mov_b32_e32 v7, v57
	v_cmp_gt_u64_e32 vcc, s[44:45], v[6:7]
	s_and_saveexec_b64 s[58:59], vcc
	s_cbranch_execz .LBB4_841
; %bb.834:                              ;   in Loop: Header=BB4_124 Depth=2
	v_cmp_ne_u32_e32 vcc, 0, v10
	v_mov_b32_e32 v14, 0
	s_and_saveexec_b64 s[60:61], vcc
	s_cbranch_execz .LBB4_840
; %bb.835:                              ;   in Loop: Header=BB4_124 Depth=2
	v_bfe_u32 v6, v10, 23, 8
	v_sub_u32_e32 v8, 0x79, v6
	v_cmp_gt_u32_e32 vcc, s77, v6
	v_add_u32_e32 v7, 0xffffff81, v6
	v_cndmask_b32_e32 v8, 0, v8, vcc
	v_cmp_eq_u32_e32 vcc, 0, v6
	v_mov_b32_e32 v6, 0xffffff82
	v_cndmask_b32_e32 v14, v7, v6, vcc
	v_mov_b32_e32 v6, 0x78
	v_or_b32_e32 v9, 0x800000, v56
	v_cndmask_b32_e32 v29, v8, v6, vcc
	v_cndmask_b32_e32 v56, v9, v56, vcc
	v_add_u32_e32 v6, 20, v29
	v_lshlrev_b64 v[6:7], v6, -1
	v_lshrrev_b64 v[10:11], v29, v[56:57]
	v_not_b32_e32 v7, v7
	v_not_b32_e32 v6, v6
	v_add_u32_e32 v8, 19, v29
	v_lshrrev_b32_e32 v49, 23, v10
	v_and_b32_e32 v7, 0, v7
	v_and_b32_e32 v6, v56, v6
	v_lshlrev_b64 v[8:9], v8, 1
	v_add3_u32 v56, v29, v14, v49
	v_bfe_u32 v14, v10, 20, 1
	v_add_u32_e32 v14, -1, v14
	v_cmp_eq_u64_e32 vcc, v[6:7], v[8:9]
	v_cndmask_b32_e32 v6, 0, v14, vcc
	v_add_u32_e32 v6, v6, v10
	v_and_b32_e32 v6, 0xfffff, v6
	v_add_co_u32_e32 v10, vcc, v6, v10
	v_add_u32_e32 v49, 6, v56
	v_addc_co_u32_e32 v11, vcc, 0, v11, vcc
	v_cmp_ne_u32_e32 vcc, 0, v49
                                        ; implicit-def: $vgpr14
	s_and_saveexec_b64 s[22:23], vcc
	s_xor_b64 s[22:23], exec, s[22:23]
; %bb.836:                              ;   in Loop: Header=BB4_124 Depth=2
	v_add_u32_e32 v6, 7, v56
	v_cmp_lt_u64_e32 vcc, s[48:49], v[10:11]
	v_cndmask_b32_e32 v14, v49, v6, vcc
	v_cndmask_b32_e64 v6, 0, 1, vcc
	v_lshrrev_b64 v[10:11], v6, v[10:11]
; %bb.837:                              ;   in Loop: Header=BB4_124 Depth=2
	s_andn2_saveexec_b64 s[22:23], s[22:23]
; %bb.838:                              ;   in Loop: Header=BB4_124 Depth=2
	v_bfe_u32 v14, v10, 23, 1
; %bb.839:                              ;   in Loop: Header=BB4_124 Depth=2
	s_or_b64 exec, exec, s[22:23]
	v_lshrrev_b64 v[6:7], 20, v[10:11]
	v_cmp_gt_i32_e32 vcc, 16, v14
	v_cndmask_b32_e32 v7, 0, v7, vcc
	v_cndmask_b32_e32 v6, 7, v6, vcc
	v_cmp_eq_u64_e64 s[22:23], 0, v[6:7]
	v_min_i32_e32 v7, 15, v14
	v_cmp_eq_u32_e32 vcc, 0, v14
	v_lshlrev_b32_e32 v7, 3, v7
	v_and_or_b32 v6, v6, 7, v7
	s_and_b64 s[22:23], vcc, s[22:23]
	v_cndmask_b32_e64 v6, v6, 0, s[22:23]
	v_or_b32_e32 v14, v6, v48
.LBB4_840:                              ;   in Loop: Header=BB4_124 Depth=2
	s_or_b64 exec, exec, s[60:61]
.LBB4_841:                              ;   in Loop: Header=BB4_124 Depth=2
	s_or_b64 exec, exec, s[58:59]
                                        ; implicit-def: $vgpr10
.LBB4_842:                              ;   in Loop: Header=BB4_124 Depth=2
	s_andn2_saveexec_b64 s[22:23], s[56:57]
; %bb.843:                              ;   in Loop: Header=BB4_124 Depth=2
	v_or_b32_sdwa v6, v10, s76 dst_sel:DWORD dst_unused:UNUSED_PAD src0_sel:BYTE_3 src1_sel:DWORD
	v_cmp_eq_u64_e32 vcc, 0, v[56:57]
	v_cndmask_b32_e32 v14, v6, v14, vcc
; %bb.844:                              ;   in Loop: Header=BB4_124 Depth=2
	s_or_b64 exec, exec, s[22:23]
	v_lshrrev_b32_e32 v10, 16, v17
	v_cmp_ne_u16_sdwa vcc, v10, v57 src0_sel:BYTE_0 src1_sel:DWORD
	v_mov_b32_e32 v11, 0
	v_mov_b32_e32 v48, 0
	s_and_saveexec_b64 s[22:23], vcc
	s_cbranch_execz .LBB4_850
; %bb.845:                              ;   in Loop: Header=BB4_124 Depth=2
	v_cmp_ne_u16_sdwa vcc, v10, s75 src0_sel:BYTE_0 src1_sel:DWORD
	v_bfrev_b32_e32 v48, 1
	s_and_saveexec_b64 s[56:57], vcc
	s_cbranch_execz .LBB4_849
; %bb.846:                              ;   in Loop: Header=BB4_124 Depth=2
	v_bfe_u32 v29, v17, 16, 7
	v_cmp_ne_u32_e32 vcc, s76, v29
	v_mov_b32_e32 v48, 0x7f800001
	s_and_saveexec_b64 s[58:59], vcc
	s_cbranch_execz .LBB4_848
; %bb.847:                              ;   in Loop: Header=BB4_124 Depth=2
	v_and_b32_e32 v8, 7, v10
	v_ffbh_u32_e32 v6, v8
	v_min_u32_e32 v48, 32, v6
	v_subrev_u32_e32 v6, 28, v48
	v_lshlrev_b64 v[6:7], v6, v[10:11]
	v_lshrrev_b32_e32 v9, 3, v29
	v_sub_u32_e32 v7, 29, v48
	v_and_b32_e32 v6, 7, v6
	v_cmp_gt_u32_e32 vcc, 8, v29
	v_cndmask_b32_e32 v7, v9, v7, vcc
	v_cndmask_b32_e32 v6, v8, v6, vcc
	v_lshlrev_b32_e32 v8, 24, v10
	v_lshlrev_b32_e32 v6, 20, v6
	v_and_b32_e32 v8, 0x80000000, v8
	v_lshl_add_u32 v7, v7, 23, v51
	v_or3_b32 v48, v8, v7, v6
.LBB4_848:                              ;   in Loop: Header=BB4_124 Depth=2
	s_or_b64 exec, exec, s[58:59]
.LBB4_849:                              ;   in Loop: Header=BB4_124 Depth=2
	s_or_b64 exec, exec, s[56:57]
.LBB4_850:                              ;   in Loop: Header=BB4_124 Depth=2
	s_or_b64 exec, exec, s[22:23]
	v_lshrrev_b32_e32 v10, 16, v13
	v_cmp_ne_u16_sdwa vcc, v10, v57 src0_sel:BYTE_0 src1_sel:DWORD
	s_and_saveexec_b64 s[22:23], vcc
	s_cbranch_execz .LBB4_856
; %bb.851:                              ;   in Loop: Header=BB4_124 Depth=2
	v_cmp_ne_u16_sdwa vcc, v10, s75 src0_sel:BYTE_0 src1_sel:DWORD
	v_bfrev_b32_e32 v11, 1
	s_and_saveexec_b64 s[56:57], vcc
	s_cbranch_execz .LBB4_855
; %bb.852:                              ;   in Loop: Header=BB4_124 Depth=2
	v_bfe_u32 v29, v13, 16, 7
	v_cmp_ne_u32_e32 vcc, s76, v29
	v_mov_b32_e32 v11, 0x7f800001
	s_and_saveexec_b64 s[58:59], vcc
	s_cbranch_execz .LBB4_854
; %bb.853:                              ;   in Loop: Header=BB4_124 Depth=2
	v_and_b32_e32 v8, 7, v10
	v_ffbh_u32_e32 v6, v8
	v_min_u32_e32 v11, 32, v6
	v_subrev_u32_e32 v6, 28, v11
	v_lshlrev_b64 v[6:7], v6, v[10:11]
	v_lshrrev_b32_e32 v9, 3, v29
	v_sub_u32_e32 v7, 29, v11
	v_and_b32_e32 v6, 7, v6
	v_cmp_gt_u32_e32 vcc, 8, v29
	v_cndmask_b32_e32 v7, v9, v7, vcc
	v_cndmask_b32_e32 v6, v8, v6, vcc
	v_lshlrev_b32_e32 v8, 8, v13
	v_lshlrev_b32_e32 v6, 20, v6
	v_and_b32_e32 v8, 0x80000000, v8
	v_lshl_add_u32 v7, v7, 23, v51
	v_or3_b32 v11, v8, v7, v6
.LBB4_854:                              ;   in Loop: Header=BB4_124 Depth=2
	s_or_b64 exec, exec, s[58:59]
.LBB4_855:                              ;   in Loop: Header=BB4_124 Depth=2
	s_or_b64 exec, exec, s[56:57]
.LBB4_856:                              ;   in Loop: Header=BB4_124 Depth=2
	s_or_b64 exec, exec, s[22:23]
	v_add_f32_e32 v10, v48, v11
	v_and_b32_sdwa v49, v10, s75 dst_sel:DWORD dst_unused:UNUSED_PAD src0_sel:BYTE_3 src1_sel:DWORD
	v_and_b32_e32 v6, 0x7f800000, v10
	v_mov_b32_e32 v7, v57
	v_and_b32_e32 v56, 0x7fffff, v10
	v_or_b32_e32 v48, 0x7e, v49
	v_cmp_ne_u64_e32 vcc, s[42:43], v[6:7]
	s_and_saveexec_b64 s[22:23], vcc
	s_xor_b64 s[56:57], exec, s[22:23]
	s_cbranch_execz .LBB4_866
; %bb.857:                              ;   in Loop: Header=BB4_124 Depth=2
	v_and_b32_e32 v6, 0x7fffffff, v10
	v_mov_b32_e32 v7, v57
	v_cmp_gt_u64_e32 vcc, s[44:45], v[6:7]
	s_and_saveexec_b64 s[58:59], vcc
	s_cbranch_execz .LBB4_865
; %bb.858:                              ;   in Loop: Header=BB4_124 Depth=2
	v_cmp_ne_u32_e32 vcc, 0, v10
	v_mov_b32_e32 v48, 0
	s_and_saveexec_b64 s[60:61], vcc
	s_cbranch_execz .LBB4_864
; %bb.859:                              ;   in Loop: Header=BB4_124 Depth=2
	v_bfe_u32 v6, v10, 23, 8
	v_sub_u32_e32 v8, 0x79, v6
	v_cmp_gt_u32_e32 vcc, s77, v6
	v_add_u32_e32 v7, 0xffffff81, v6
	v_cndmask_b32_e32 v8, 0, v8, vcc
	v_cmp_eq_u32_e32 vcc, 0, v6
	v_mov_b32_e32 v6, 0xffffff82
	v_cndmask_b32_e32 v29, v7, v6, vcc
	v_mov_b32_e32 v6, 0x78
	v_cndmask_b32_e32 v48, v8, v6, vcc
	v_or_b32_e32 v9, 0x800000, v56
	v_add_u32_e32 v6, 20, v48
	v_cndmask_b32_e32 v56, v9, v56, vcc
	v_lshlrev_b64 v[6:7], v6, -1
	v_not_b32_e32 v6, v6
	v_lshrrev_b64 v[10:11], v48, v[56:57]
	v_not_b32_e32 v7, v7
	v_and_b32_e32 v6, v56, v6
	v_add_u32_e32 v8, 19, v48
	v_lshrrev_b32_e32 v56, 23, v10
	v_and_b32_e32 v7, 0, v7
	v_lshlrev_b64 v[8:9], v8, 1
	v_add3_u32 v29, v48, v29, v56
	v_bfe_u32 v48, v10, 20, 1
	v_add_u32_e32 v48, -1, v48
	v_cmp_eq_u64_e32 vcc, v[6:7], v[8:9]
	v_cndmask_b32_e32 v6, 0, v48, vcc
	v_add_u32_e32 v6, v6, v10
	v_and_b32_e32 v6, 0xfffff, v6
	v_add_co_u32_e32 v10, vcc, v6, v10
	v_add_u32_e32 v56, 6, v29
	v_addc_co_u32_e32 v11, vcc, 0, v11, vcc
	v_cmp_ne_u32_e32 vcc, 0, v56
                                        ; implicit-def: $vgpr48
	s_and_saveexec_b64 s[22:23], vcc
	s_xor_b64 s[22:23], exec, s[22:23]
; %bb.860:                              ;   in Loop: Header=BB4_124 Depth=2
	v_add_u32_e32 v6, 7, v29
	v_cmp_lt_u64_e32 vcc, s[48:49], v[10:11]
	v_cndmask_b32_e32 v48, v56, v6, vcc
	v_cndmask_b32_e64 v6, 0, 1, vcc
	v_lshrrev_b64 v[10:11], v6, v[10:11]
; %bb.861:                              ;   in Loop: Header=BB4_124 Depth=2
	s_andn2_saveexec_b64 s[22:23], s[22:23]
; %bb.862:                              ;   in Loop: Header=BB4_124 Depth=2
	v_bfe_u32 v48, v10, 23, 1
; %bb.863:                              ;   in Loop: Header=BB4_124 Depth=2
	s_or_b64 exec, exec, s[22:23]
	v_lshrrev_b64 v[6:7], 20, v[10:11]
	v_cmp_gt_i32_e32 vcc, 16, v48
	v_cndmask_b32_e32 v7, 0, v7, vcc
	v_cndmask_b32_e32 v6, 7, v6, vcc
	v_cmp_eq_u64_e64 s[22:23], 0, v[6:7]
	v_min_i32_e32 v7, 15, v48
	v_lshlrev_b32_e32 v7, 3, v7
	v_cmp_eq_u32_e32 vcc, 0, v48
	v_and_b32_e32 v7, 0xf8, v7
	v_and_or_b32 v6, v6, 7, v7
	s_and_b64 s[22:23], vcc, s[22:23]
	v_cndmask_b32_e64 v6, v6, 0, s[22:23]
	v_or_b32_e32 v48, v6, v49
.LBB4_864:                              ;   in Loop: Header=BB4_124 Depth=2
	s_or_b64 exec, exec, s[60:61]
.LBB4_865:                              ;   in Loop: Header=BB4_124 Depth=2
	s_or_b64 exec, exec, s[58:59]
                                        ; implicit-def: $vgpr10
.LBB4_866:                              ;   in Loop: Header=BB4_124 Depth=2
	s_andn2_saveexec_b64 s[22:23], s[56:57]
; %bb.867:                              ;   in Loop: Header=BB4_124 Depth=2
	v_or_b32_sdwa v6, v10, s76 dst_sel:DWORD dst_unused:UNUSED_PAD src0_sel:BYTE_3 src1_sel:DWORD
	v_cmp_eq_u64_e32 vcc, 0, v[56:57]
	v_cndmask_b32_e32 v48, v6, v48, vcc
; %bb.868:                              ;   in Loop: Header=BB4_124 Depth=2
	s_or_b64 exec, exec, s[22:23]
	v_cmp_lt_u64_e32 vcc, s[46:47], v[16:17]
	v_mov_b32_e32 v11, 0
	v_mov_b32_e32 v16, 0
	s_and_saveexec_b64 s[22:23], vcc
	s_cbranch_execz .LBB4_874
; %bb.869:                              ;   in Loop: Header=BB4_124 Depth=2
	v_lshrrev_b32_e32 v10, 24, v17
	v_cmp_ne_u32_e32 vcc, s75, v10
	v_bfrev_b32_e32 v16, 1
	s_and_saveexec_b64 s[56:57], vcc
	s_cbranch_execz .LBB4_873
; %bb.870:                              ;   in Loop: Header=BB4_124 Depth=2
	v_bfe_u32 v17, v17, 24, 7
	v_cmp_ne_u32_e32 vcc, s76, v17
	v_mov_b32_e32 v16, 0x7f800001
	s_and_saveexec_b64 s[58:59], vcc
	s_cbranch_execz .LBB4_872
; %bb.871:                              ;   in Loop: Header=BB4_124 Depth=2
	v_and_b32_e32 v8, 7, v10
	v_ffbh_u32_e32 v6, v8
	v_min_u32_e32 v16, 32, v6
	v_subrev_u32_e32 v6, 28, v16
	v_lshlrev_b64 v[6:7], v6, v[10:11]
	v_lshrrev_b32_e32 v9, 3, v17
	v_sub_u32_e32 v7, 29, v16
	v_and_b32_e32 v6, 7, v6
	v_cmp_gt_u32_e32 vcc, 8, v17
	v_cndmask_b32_e32 v7, v9, v7, vcc
	v_cndmask_b32_e32 v6, v8, v6, vcc
	v_lshlrev_b32_e32 v8, 24, v10
	v_lshlrev_b32_e32 v6, 20, v6
	v_and_b32_e32 v8, 0x80000000, v8
	v_lshl_add_u32 v7, v7, 23, v51
	v_or3_b32 v16, v8, v7, v6
.LBB4_872:                              ;   in Loop: Header=BB4_124 Depth=2
	s_or_b64 exec, exec, s[58:59]
.LBB4_873:                              ;   in Loop: Header=BB4_124 Depth=2
	s_or_b64 exec, exec, s[56:57]
.LBB4_874:                              ;   in Loop: Header=BB4_124 Depth=2
	s_or_b64 exec, exec, s[22:23]
	v_cmp_lt_u64_e32 vcc, s[46:47], v[12:13]
	s_and_saveexec_b64 s[22:23], vcc
	s_cbranch_execz .LBB4_880
; %bb.875:                              ;   in Loop: Header=BB4_124 Depth=2
	v_lshrrev_b32_e32 v10, 24, v13
	v_cmp_ne_u32_e32 vcc, s75, v10
	v_bfrev_b32_e32 v11, 1
	s_and_saveexec_b64 s[56:57], vcc
	s_cbranch_execz .LBB4_879
; %bb.876:                              ;   in Loop: Header=BB4_124 Depth=2
	v_bfe_u32 v12, v13, 24, 7
	v_cmp_ne_u32_e32 vcc, s76, v12
	v_mov_b32_e32 v11, 0x7f800001
	s_and_saveexec_b64 s[58:59], vcc
	s_cbranch_execz .LBB4_878
; %bb.877:                              ;   in Loop: Header=BB4_124 Depth=2
	v_and_b32_e32 v8, 7, v10
	v_ffbh_u32_e32 v6, v8
	v_min_u32_e32 v11, 32, v6
	v_subrev_u32_e32 v6, 28, v11
	v_lshlrev_b64 v[6:7], v6, v[10:11]
	v_lshrrev_b32_e32 v9, 3, v12
	v_sub_u32_e32 v7, 29, v11
	v_and_b32_e32 v6, 7, v6
	v_cmp_gt_u32_e32 vcc, 8, v12
	v_cndmask_b32_e32 v7, v9, v7, vcc
	v_cndmask_b32_e32 v6, v8, v6, vcc
	v_lshlrev_b32_e32 v8, 24, v10
	v_lshlrev_b32_e32 v6, 20, v6
	v_and_b32_e32 v8, 0x80000000, v8
	v_lshl_add_u32 v7, v7, 23, v51
	v_or3_b32 v11, v8, v7, v6
.LBB4_878:                              ;   in Loop: Header=BB4_124 Depth=2
	s_or_b64 exec, exec, s[58:59]
.LBB4_879:                              ;   in Loop: Header=BB4_124 Depth=2
	s_or_b64 exec, exec, s[56:57]
.LBB4_880:                              ;   in Loop: Header=BB4_124 Depth=2
	s_or_b64 exec, exec, s[22:23]
	v_add_f32_e32 v11, v16, v11
	v_and_b32_sdwa v12, v11, s75 dst_sel:DWORD dst_unused:UNUSED_PAD src0_sel:BYTE_3 src1_sel:DWORD
	v_and_b32_e32 v6, 0x7f800000, v11
	v_mov_b32_e32 v7, v57
	v_and_b32_e32 v56, 0x7fffff, v11
	v_or_b32_e32 v10, 0x7e, v12
	v_cmp_ne_u64_e32 vcc, s[42:43], v[6:7]
	s_and_saveexec_b64 s[22:23], vcc
	s_xor_b64 s[56:57], exec, s[22:23]
	s_cbranch_execz .LBB4_890
; %bb.881:                              ;   in Loop: Header=BB4_124 Depth=2
	v_and_b32_e32 v6, 0x7fffffff, v11
	v_mov_b32_e32 v7, v57
	v_cmp_gt_u64_e32 vcc, s[44:45], v[6:7]
	s_and_saveexec_b64 s[58:59], vcc
	s_cbranch_execz .LBB4_889
; %bb.882:                              ;   in Loop: Header=BB4_124 Depth=2
	v_cmp_ne_u32_e32 vcc, 0, v11
	v_mov_b32_e32 v10, 0
	s_and_saveexec_b64 s[60:61], vcc
	s_cbranch_execz .LBB4_888
; %bb.883:                              ;   in Loop: Header=BB4_124 Depth=2
	v_bfe_u32 v6, v11, 23, 8
	v_sub_u32_e32 v8, 0x79, v6
	v_cmp_gt_u32_e32 vcc, s77, v6
	v_add_u32_e32 v7, 0xffffff81, v6
	v_cndmask_b32_e32 v8, 0, v8, vcc
	v_cmp_eq_u32_e32 vcc, 0, v6
	v_mov_b32_e32 v6, 0xffffff82
	v_cndmask_b32_e32 v13, v7, v6, vcc
	v_mov_b32_e32 v6, 0x78
	v_or_b32_e32 v9, 0x800000, v56
	v_cndmask_b32_e32 v16, v8, v6, vcc
	v_cndmask_b32_e32 v56, v9, v56, vcc
	v_add_u32_e32 v6, 20, v16
	v_lshlrev_b64 v[6:7], v6, -1
	v_lshrrev_b64 v[10:11], v16, v[56:57]
	v_not_b32_e32 v7, v7
	v_not_b32_e32 v6, v6
	v_add_u32_e32 v8, 19, v16
	v_lshrrev_b32_e32 v17, 23, v10
	v_and_b32_e32 v7, 0, v7
	v_and_b32_e32 v6, v56, v6
	v_lshlrev_b64 v[8:9], v8, 1
	v_add3_u32 v17, v16, v13, v17
	v_bfe_u32 v13, v10, 20, 1
	v_add_u32_e32 v13, -1, v13
	v_cmp_eq_u64_e32 vcc, v[6:7], v[8:9]
	v_cndmask_b32_e32 v6, 0, v13, vcc
	v_add_u32_e32 v6, v6, v10
	v_and_b32_e32 v6, 0xfffff, v6
	v_add_co_u32_e32 v10, vcc, v6, v10
	v_add_u32_e32 v16, 6, v17
	v_addc_co_u32_e32 v11, vcc, 0, v11, vcc
	v_cmp_ne_u32_e32 vcc, 0, v16
                                        ; implicit-def: $vgpr13
	s_and_saveexec_b64 s[22:23], vcc
	s_xor_b64 s[22:23], exec, s[22:23]
; %bb.884:                              ;   in Loop: Header=BB4_124 Depth=2
	v_add_u32_e32 v6, 7, v17
	v_cmp_lt_u64_e32 vcc, s[48:49], v[10:11]
	v_cndmask_b32_e32 v13, v16, v6, vcc
	v_cndmask_b32_e64 v6, 0, 1, vcc
	v_lshrrev_b64 v[10:11], v6, v[10:11]
; %bb.885:                              ;   in Loop: Header=BB4_124 Depth=2
	s_andn2_saveexec_b64 s[22:23], s[22:23]
; %bb.886:                              ;   in Loop: Header=BB4_124 Depth=2
	v_bfe_u32 v13, v10, 23, 1
; %bb.887:                              ;   in Loop: Header=BB4_124 Depth=2
	s_or_b64 exec, exec, s[22:23]
	v_lshrrev_b64 v[6:7], 20, v[10:11]
	v_cmp_gt_i32_e32 vcc, 16, v13
	v_cndmask_b32_e32 v7, 0, v7, vcc
	v_cndmask_b32_e32 v6, 7, v6, vcc
	v_cmp_eq_u64_e64 s[22:23], 0, v[6:7]
	v_min_i32_e32 v7, 15, v13
	v_lshlrev_b32_e32 v7, 3, v7
	v_cmp_eq_u32_e32 vcc, 0, v13
	v_and_b32_e32 v7, 0xf8, v7
	v_and_or_b32 v6, v6, 7, v7
	s_and_b64 s[22:23], vcc, s[22:23]
	v_cndmask_b32_e64 v6, v6, 0, s[22:23]
	v_or_b32_e32 v10, v6, v12
.LBB4_888:                              ;   in Loop: Header=BB4_124 Depth=2
	s_or_b64 exec, exec, s[60:61]
.LBB4_889:                              ;   in Loop: Header=BB4_124 Depth=2
	s_or_b64 exec, exec, s[58:59]
                                        ; implicit-def: $vgpr11
.LBB4_890:                              ;   in Loop: Header=BB4_124 Depth=2
	s_andn2_saveexec_b64 s[22:23], s[56:57]
	s_cbranch_execz .LBB4_123
; %bb.891:                              ;   in Loop: Header=BB4_124 Depth=2
	v_or_b32_sdwa v6, v11, s76 dst_sel:DWORD dst_unused:UNUSED_PAD src0_sel:BYTE_3 src1_sel:DWORD
	v_cmp_eq_u64_e32 vcc, 0, v[56:57]
	v_cndmask_b32_e32 v10, v6, v10, vcc
	s_branch .LBB4_123
.LBB4_892:                              ;   in Loop: Header=BB4_49 Depth=1
	s_or_b64 exec, exec, s[54:55]
	v_accvgpr_read_b32 v41, a5
	v_accvgpr_read_b32 v61, a7
	v_accvgpr_read_b32 v58, a3
	v_accvgpr_read_b32 v40, a4
	v_accvgpr_read_b32 v60, a6
	v_accvgpr_read_b32 v43, a26
	v_accvgpr_read_b32 v46, a31
	v_accvgpr_read_b32 v59, a32
	v_accvgpr_read_b32 v6, a38
.LBB4_893:                              ;   in Loop: Header=BB4_49 Depth=1
	s_or_b64 exec, exec, s[24:25]
	v_accvgpr_read_b32 v0, a37
	v_and_b32_e32 v5, 0x3ffff800, v0
	v_cmp_ne_u32_e32 vcc, v5, v0
	s_mov_b64 s[22:23], 0
	v_mov_b32_e32 v2, 0
                                        ; implicit-def: $vgpr18
                                        ; implicit-def: $vgpr19
                                        ; implicit-def: $vgpr4
	s_and_saveexec_b64 s[54:55], vcc
	s_cbranch_execz .LBB4_1285
; %bb.894:                              ;   in Loop: Header=BB4_49 Depth=1
	v_lshlrev_b32_e32 v0, 6, v47
	v_accvgpr_read_b32 v2, a25
	v_sub_u32_e32 v0, v2, v0
	v_ashrrev_i32_e32 v2, 31, v0
	v_lshrrev_b32_e32 v2, 26, v2
	v_add_u32_e32 v2, v0, v2
	v_accvgpr_read_b32 v3, a37
	v_ashrrev_i32_e32 v4, 6, v2
	v_and_b32_e32 v2, 0xffffffc0, v2
	v_accvgpr_write_b32 a4, v6
	v_and_b32_e32 v1, 0x7ff, v3
	v_sub_u32_e32 v0, v0, v2
	v_bfe_u32 v6, v3, 10, 1
	v_and_b32_e32 v3, 0x400, v3
	v_lshlrev_b32_e32 v2, 4, v0
	v_sub_u32_e32 v3, v1, v3
	v_lshl_add_u32 v2, v4, 10, v2
	v_cmp_lt_i32_e32 vcc, 15, v3
	v_sub_u32_e32 v28, v1, v2
	v_addc_co_u32_e64 v1, s[22:23], 0, v6, vcc
	v_sub_u32_e32 v1, v1, v4
	v_cmp_lt_i32_e64 s[22:23], 15, v28
	s_mov_b64 s[56:57], exec
	s_and_b64 s[22:23], s[56:57], s[22:23]
	v_accvgpr_read_b32 v42, a24
	v_accvgpr_read_b32 v55, a33
	s_mov_b64 exec, s[22:23]
	s_cbranch_execz .LBB4_1282
; %bb.895:                              ;   in Loop: Header=BB4_49 Depth=1
	s_trap 2
	ds_read_b128 v[6:9], v0
	v_add_u32_e32 v2, v2, v5
	ds_read_b64 v[4:5], v0
	v_ashrrev_i32_e32 v10, 31, v2
	s_mov_b64 s[58:59], 0
	s_waitcnt lgkmcnt(0)
	v_add_co_u32_e64 v18, s[22:23], v6, v2
	v_addc_co_u32_e64 v19, s[22:23], v7, v10, s[22:23]
	v_add_co_u32_e64 v20, s[22:23], v8, v2
	v_addc_co_u32_e64 v21, s[22:23], v9, v10, s[22:23]
	;; [unrolled: 2-line block ×3, first 2 shown]
	s_branch .LBB4_897
.LBB4_896:                              ;   in Loop: Header=BB4_897 Depth=2
	s_or_b64 exec, exec, s[24:25]
	v_lshlrev_b32_e32 v6, 8, v52
	v_perm_b32 v6, v6, v30, s78
	v_lshl_or_b32 v6, v24, 16, v6
	v_and_b32_e32 v2, 0xff, v2
	v_lshlrev_b32_e32 v8, 8, v34
	v_lshl_or_b32 v7, v15, 24, v6
	v_lshlrev_b32_e32 v6, 24, v35
	v_lshlrev_b32_e32 v2, 16, v2
	v_perm_b32 v8, v8, v31, s78
	v_or3_b32 v6, v6, v2, v8
	v_and_b32_e32 v2, 0xff, v27
	v_lshlrev_b32_e32 v8, 8, v26
	v_lshlrev_b32_e32 v4, 24, v4
	;; [unrolled: 1-line block ×3, first 2 shown]
	v_perm_b32 v8, v8, v25, s78
	v_or3_b32 v8, v4, v2, v8
	v_lshlrev_b32_e32 v2, 8, v14
	v_add_co_u32_e64 v18, s[22:23], v18, v59
	v_perm_b32 v2, v2, v5, s78
	v_addc_co_u32_e64 v19, s[22:23], v19, v55, s[22:23]
	v_lshl_or_b32 v2, v48, 16, v2
	v_add_co_u32_e64 v20, s[22:23], v20, v59
	v_lshl_or_b32 v9, v10, 24, v2
	v_addc_co_u32_e64 v21, s[22:23], v21, v55, s[22:23]
	global_store_dwordx4 v[22:23], v[6:9], off glc slc
	v_add_co_u32_e64 v22, s[22:23], v22, v59
	v_addc_co_u32_e64 v23, s[22:23], v23, v55, s[22:23]
	v_sub_u32_e32 v28, v28, v46
	v_cmp_gt_i32_e64 s[22:23], 16, v28
	s_or_b64 s[58:59], s[22:23], s[58:59]
	v_sub_u32_e32 v1, v1, v42
	s_andn2_b64 exec, exec, s[58:59]
	s_cbranch_execz .LBB4_1281
.LBB4_897:                              ;   Parent Loop BB4_49 Depth=1
                                        ; =>  This Inner Loop Header: Depth=2
	global_load_dwordx4 v[14:17], v[18:19], off glc slc
	global_load_dwordx4 v[10:13], v[20:21], off glc slc
	v_mov_b32_e32 v2, 0
	v_mov_b32_e32 v4, 0
	s_waitcnt vmcnt(0)
	v_cmp_ne_u16_sdwa s[22:23], v14, v57 src0_sel:BYTE_0 src1_sel:DWORD
	s_and_saveexec_b64 s[24:25], s[22:23]
	s_cbranch_execz .LBB4_903
; %bb.898:                              ;   in Loop: Header=BB4_897 Depth=2
	v_cmp_ne_u16_sdwa s[22:23], v14, s75 src0_sel:BYTE_0 src1_sel:DWORD
	v_bfrev_b32_e32 v4, 1
	s_and_saveexec_b64 s[60:61], s[22:23]
	s_cbranch_execz .LBB4_902
; %bb.899:                              ;   in Loop: Header=BB4_897 Depth=2
	v_and_b32_e32 v5, 0x7f, v14
	v_cmp_ne_u32_e64 s[22:23], s76, v5
	v_mov_b32_e32 v4, 0x7f800001
	s_and_saveexec_b64 s[62:63], s[22:23]
	s_cbranch_execz .LBB4_901
; %bb.900:                              ;   in Loop: Header=BB4_897 Depth=2
	v_and_b32_e32 v4, 7, v14
	v_ffbh_u32_e32 v4, v4
	v_min_u32_e32 v4, 32, v4
	v_lshrrev_b32_e32 v6, 3, v5
	v_subrev_u32_e32 v7, 28, v4
	v_sub_u32_e32 v4, 29, v4
	v_cmp_gt_u32_e64 s[22:23], 8, v5
	v_cndmask_b32_e64 v6, v6, v4, s[22:23]
	v_cndmask_b32_e64 v4, 0, v7, s[22:23]
	v_lshlrev_b64 v[4:5], v4, v[14:15]
	v_lshlrev_b32_e32 v4, 20, v4
	v_lshlrev_b32_e32 v5, 24, v14
	v_and_b32_e32 v4, 0x700000, v4
	v_and_b32_e32 v5, 0x80000000, v5
	v_lshl_add_u32 v6, v6, 23, v51
	v_or3_b32 v4, v5, v6, v4
.LBB4_901:                              ;   in Loop: Header=BB4_897 Depth=2
	s_or_b64 exec, exec, s[62:63]
.LBB4_902:                              ;   in Loop: Header=BB4_897 Depth=2
	s_or_b64 exec, exec, s[60:61]
.LBB4_903:                              ;   in Loop: Header=BB4_897 Depth=2
	s_or_b64 exec, exec, s[24:25]
	v_cmp_ne_u16_sdwa s[22:23], v10, v57 src0_sel:BYTE_0 src1_sel:DWORD
	s_and_saveexec_b64 s[24:25], s[22:23]
	s_cbranch_execz .LBB4_909
; %bb.904:                              ;   in Loop: Header=BB4_897 Depth=2
	v_cmp_ne_u16_sdwa s[22:23], v10, s75 src0_sel:BYTE_0 src1_sel:DWORD
	v_bfrev_b32_e32 v2, 1
	s_and_saveexec_b64 s[60:61], s[22:23]
	s_cbranch_execz .LBB4_908
; %bb.905:                              ;   in Loop: Header=BB4_897 Depth=2
	v_and_b32_e32 v5, 0x7f, v10
	v_cmp_ne_u32_e64 s[22:23], s76, v5
	v_mov_b32_e32 v2, 0x7f800001
	s_and_saveexec_b64 s[62:63], s[22:23]
	s_cbranch_execz .LBB4_907
; %bb.906:                              ;   in Loop: Header=BB4_897 Depth=2
	v_and_b32_e32 v2, 7, v10
	v_ffbh_u32_e32 v2, v2
	v_min_u32_e32 v2, 32, v2
	v_subrev_u32_e32 v7, 28, v2
	v_cmp_gt_u32_e64 s[22:23], 8, v5
	v_lshrrev_b32_e32 v6, 3, v5
	v_sub_u32_e32 v2, 29, v2
	v_cndmask_b32_e64 v5, 0, v7, s[22:23]
	v_cndmask_b32_e64 v2, v6, v2, s[22:23]
	v_lshlrev_b64 v[6:7], v5, v[10:11]
	v_lshlrev_b32_e32 v5, 20, v6
	v_lshlrev_b32_e32 v6, 24, v10
	v_and_b32_e32 v5, 0x700000, v5
	v_and_b32_e32 v6, 0x80000000, v6
	v_lshl_add_u32 v2, v2, 23, v51
	v_or3_b32 v2, v6, v2, v5
.LBB4_907:                              ;   in Loop: Header=BB4_897 Depth=2
	s_or_b64 exec, exec, s[62:63]
.LBB4_908:                              ;   in Loop: Header=BB4_897 Depth=2
	s_or_b64 exec, exec, s[60:61]
.LBB4_909:                              ;   in Loop: Header=BB4_897 Depth=2
	s_or_b64 exec, exec, s[24:25]
	v_add_f32_e32 v4, v4, v2
	v_and_b32_sdwa v2, v4, s75 dst_sel:DWORD dst_unused:UNUSED_PAD src0_sel:BYTE_3 src1_sel:DWORD
	v_and_b32_e32 v6, 0x7f800000, v4
	v_mov_b32_e32 v7, v57
	v_and_b32_e32 v56, 0x7fffff, v4
	v_or_b32_e32 v31, 0x7e, v2
	v_cmp_ne_u64_e64 s[22:23], s[42:43], v[6:7]
	s_and_saveexec_b64 s[24:25], s[22:23]
	s_xor_b64 s[60:61], exec, s[24:25]
	s_cbranch_execz .LBB4_919
; %bb.910:                              ;   in Loop: Header=BB4_897 Depth=2
	v_and_b32_e32 v6, 0x7fffffff, v4
	v_mov_b32_e32 v7, v57
	v_cmp_gt_u64_e64 s[22:23], s[44:45], v[6:7]
	s_and_saveexec_b64 s[62:63], s[22:23]
	s_cbranch_execz .LBB4_918
; %bb.911:                              ;   in Loop: Header=BB4_897 Depth=2
	v_cmp_ne_u32_e64 s[22:23], 0, v4
	v_mov_b32_e32 v31, 0
	s_and_saveexec_b64 s[64:65], s[22:23]
	s_cbranch_execz .LBB4_917
; %bb.912:                              ;   in Loop: Header=BB4_897 Depth=2
	v_bfe_u32 v4, v4, 23, 8
	v_sub_u32_e32 v6, 0x79, v4
	v_cmp_gt_u32_e64 s[22:23], s77, v4
	v_add_u32_e32 v5, 0xffffff81, v4
	v_cndmask_b32_e64 v6, 0, v6, s[22:23]
	v_cmp_eq_u32_e64 s[22:23], 0, v4
	v_mov_b32_e32 v4, 0xffffff82
	v_cndmask_b32_e64 v26, v5, v4, s[22:23]
	v_mov_b32_e32 v4, 0x78
	v_cndmask_b32_e64 v27, v6, v4, s[22:23]
	v_add_u32_e32 v4, 20, v27
	v_or_b32_e32 v7, 0x800000, v56
	v_lshlrev_b64 v[4:5], v4, -1
	v_cndmask_b32_e64 v56, v7, v56, s[22:23]
	v_not_b32_e32 v4, v4
	v_and_b32_e32 v6, v56, v4
	v_add_u32_e32 v4, 19, v27
	v_lshrrev_b64 v[24:25], v27, v[56:57]
	v_not_b32_e32 v5, v5
	v_lshlrev_b64 v[8:9], v4, 1
	v_lshrrev_b32_e32 v4, 23, v24
	v_and_b32_e32 v7, 0, v5
	v_add3_u32 v26, v27, v26, v4
	v_bfe_u32 v4, v24, 20, 1
	v_add_u32_e32 v4, -1, v4
	v_cmp_eq_u64_e64 s[22:23], v[6:7], v[8:9]
	v_cndmask_b32_e64 v4, 0, v4, s[22:23]
	v_add_u32_e32 v4, v4, v24
	v_and_b32_e32 v4, 0xfffff, v4
	v_add_co_u32_e64 v24, s[22:23], v4, v24
	v_add_u32_e32 v5, 6, v26
	v_addc_co_u32_e64 v25, s[22:23], 0, v25, s[22:23]
	v_cmp_ne_u32_e64 s[22:23], 0, v5
                                        ; implicit-def: $vgpr4
	s_and_saveexec_b64 s[24:25], s[22:23]
	s_xor_b64 s[24:25], exec, s[24:25]
; %bb.913:                              ;   in Loop: Header=BB4_897 Depth=2
	v_add_u32_e32 v4, 7, v26
	v_cmp_lt_u64_e64 s[22:23], s[48:49], v[24:25]
	v_cndmask_b32_e64 v4, v5, v4, s[22:23]
	v_cndmask_b32_e64 v5, 0, 1, s[22:23]
	v_lshrrev_b64 v[24:25], v5, v[24:25]
; %bb.914:                              ;   in Loop: Header=BB4_897 Depth=2
	s_andn2_saveexec_b64 s[22:23], s[24:25]
; %bb.915:                              ;   in Loop: Header=BB4_897 Depth=2
	v_bfe_u32 v4, v24, 23, 1
; %bb.916:                              ;   in Loop: Header=BB4_897 Depth=2
	s_or_b64 exec, exec, s[22:23]
	v_lshrrev_b64 v[6:7], 20, v[24:25]
	v_cmp_gt_i32_e64 s[22:23], 16, v4
	v_cndmask_b32_e64 v7, 0, v7, s[22:23]
	v_cndmask_b32_e64 v6, 7, v6, s[22:23]
	v_cmp_eq_u32_e64 s[22:23], 0, v4
	v_min_i32_e32 v4, 15, v4
	v_cmp_eq_u64_e64 s[24:25], 0, v[6:7]
	v_lshlrev_b32_e32 v4, 3, v4
	v_and_or_b32 v4, v6, 7, v4
	s_and_b64 s[22:23], s[22:23], s[24:25]
	v_cndmask_b32_e64 v4, v4, 0, s[22:23]
	v_or_b32_e32 v31, v4, v2
.LBB4_917:                              ;   in Loop: Header=BB4_897 Depth=2
	s_or_b64 exec, exec, s[64:65]
.LBB4_918:                              ;   in Loop: Header=BB4_897 Depth=2
	s_or_b64 exec, exec, s[62:63]
                                        ; implicit-def: $vgpr4
.LBB4_919:                              ;   in Loop: Header=BB4_897 Depth=2
	s_andn2_saveexec_b64 s[24:25], s[60:61]
; %bb.920:                              ;   in Loop: Header=BB4_897 Depth=2
	v_or_b32_sdwa v2, v4, s76 dst_sel:DWORD dst_unused:UNUSED_PAD src0_sel:BYTE_3 src1_sel:DWORD
	v_cmp_eq_u64_e64 s[22:23], 0, v[56:57]
	v_cndmask_b32_e64 v31, v2, v31, s[22:23]
; %bb.921:                              ;   in Loop: Header=BB4_897 Depth=2
	s_or_b64 exec, exec, s[24:25]
	v_lshrrev_b16_e32 v24, 8, v14
	v_cmp_ne_u16_e64 s[22:23], 0, v24
	v_mov_b32_e32 v2, 0
	v_mov_b32_e32 v4, 0
	s_and_saveexec_b64 s[24:25], s[22:23]
	s_cbranch_execz .LBB4_927
; %bb.922:                              ;   in Loop: Header=BB4_897 Depth=2
	v_cmp_ne_u16_e64 s[22:23], s75, v24
	v_bfrev_b32_e32 v4, 1
	s_and_saveexec_b64 s[60:61], s[22:23]
	s_cbranch_execz .LBB4_926
; %bb.923:                              ;   in Loop: Header=BB4_897 Depth=2
	v_and_b32_e32 v5, 0x7f, v24
	v_cmp_ne_u32_e64 s[22:23], s76, v5
	v_mov_b32_e32 v4, 0x7f800001
	s_and_saveexec_b64 s[62:63], s[22:23]
	s_cbranch_execz .LBB4_925
; %bb.924:                              ;   in Loop: Header=BB4_897 Depth=2
	v_and_b32_e32 v4, 7, v24
	v_ffbh_u32_e32 v6, v4
	v_min_u32_e32 v9, 32, v6
	v_subrev_u32_e32 v6, 28, v9
	v_lshlrev_b64 v[6:7], v6, v[24:25]
	v_lshrrev_b32_e32 v8, 3, v5
	v_sub_u32_e32 v7, 29, v9
	v_and_b32_e32 v6, 7, v6
	v_cmp_gt_u32_e64 s[22:23], 8, v5
	v_cndmask_b32_e64 v5, v8, v7, s[22:23]
	v_cndmask_b32_e64 v4, v4, v6, s[22:23]
	v_lshlrev_b32_e32 v6, 16, v14
	v_lshlrev_b32_e32 v4, 20, v4
	v_and_b32_e32 v6, 0x80000000, v6
	v_lshl_add_u32 v5, v5, 23, v51
	v_or3_b32 v4, v6, v5, v4
.LBB4_925:                              ;   in Loop: Header=BB4_897 Depth=2
	s_or_b64 exec, exec, s[62:63]
.LBB4_926:                              ;   in Loop: Header=BB4_897 Depth=2
	s_or_b64 exec, exec, s[60:61]
.LBB4_927:                              ;   in Loop: Header=BB4_897 Depth=2
	s_or_b64 exec, exec, s[24:25]
	v_lshrrev_b16_e32 v24, 8, v10
	v_cmp_ne_u16_e64 s[22:23], 0, v24
	s_and_saveexec_b64 s[24:25], s[22:23]
	s_cbranch_execz .LBB4_933
; %bb.928:                              ;   in Loop: Header=BB4_897 Depth=2
	v_cmp_ne_u16_e64 s[22:23], s75, v24
	v_bfrev_b32_e32 v2, 1
	s_and_saveexec_b64 s[60:61], s[22:23]
	s_cbranch_execz .LBB4_932
; %bb.929:                              ;   in Loop: Header=BB4_897 Depth=2
	v_and_b32_e32 v5, 0x7f, v24
	v_cmp_ne_u32_e64 s[22:23], s76, v5
	v_mov_b32_e32 v2, 0x7f800001
	s_and_saveexec_b64 s[62:63], s[22:23]
	s_cbranch_execz .LBB4_931
; %bb.930:                              ;   in Loop: Header=BB4_897 Depth=2
	v_and_b32_e32 v2, 7, v24
	v_ffbh_u32_e32 v6, v2
	v_min_u32_e32 v9, 32, v6
	v_subrev_u32_e32 v6, 28, v9
	v_lshlrev_b64 v[6:7], v6, v[24:25]
	v_lshrrev_b32_e32 v8, 3, v5
	v_sub_u32_e32 v7, 29, v9
	v_and_b32_e32 v6, 7, v6
	v_cmp_gt_u32_e64 s[22:23], 8, v5
	v_cndmask_b32_e64 v5, v8, v7, s[22:23]
	v_cndmask_b32_e64 v2, v2, v6, s[22:23]
	v_lshlrev_b32_e32 v6, 16, v10
	v_lshlrev_b32_e32 v2, 20, v2
	v_and_b32_e32 v6, 0x80000000, v6
	v_lshl_add_u32 v5, v5, 23, v51
	v_or3_b32 v2, v6, v5, v2
.LBB4_931:                              ;   in Loop: Header=BB4_897 Depth=2
	s_or_b64 exec, exec, s[62:63]
.LBB4_932:                              ;   in Loop: Header=BB4_897 Depth=2
	s_or_b64 exec, exec, s[60:61]
.LBB4_933:                              ;   in Loop: Header=BB4_897 Depth=2
	s_or_b64 exec, exec, s[24:25]
	v_add_f32_e32 v4, v4, v2
	v_and_b32_sdwa v2, v4, s75 dst_sel:DWORD dst_unused:UNUSED_PAD src0_sel:BYTE_3 src1_sel:DWORD
	v_and_b32_e32 v6, 0x7f800000, v4
	v_mov_b32_e32 v7, v57
	v_and_b32_e32 v56, 0x7fffff, v4
	v_or_b32_e32 v34, 0x7e, v2
	v_cmp_ne_u64_e64 s[22:23], s[42:43], v[6:7]
	s_and_saveexec_b64 s[24:25], s[22:23]
	s_xor_b64 s[60:61], exec, s[24:25]
	s_cbranch_execz .LBB4_943
; %bb.934:                              ;   in Loop: Header=BB4_897 Depth=2
	v_and_b32_e32 v6, 0x7fffffff, v4
	v_mov_b32_e32 v7, v57
	v_cmp_gt_u64_e64 s[22:23], s[44:45], v[6:7]
	s_and_saveexec_b64 s[62:63], s[22:23]
	s_cbranch_execz .LBB4_942
; %bb.935:                              ;   in Loop: Header=BB4_897 Depth=2
	v_cmp_ne_u32_e64 s[22:23], 0, v4
	v_mov_b32_e32 v34, 0
	s_and_saveexec_b64 s[64:65], s[22:23]
	s_cbranch_execz .LBB4_941
; %bb.936:                              ;   in Loop: Header=BB4_897 Depth=2
	v_bfe_u32 v4, v4, 23, 8
	v_sub_u32_e32 v6, 0x79, v4
	v_cmp_gt_u32_e64 s[22:23], s77, v4
	v_add_u32_e32 v5, 0xffffff81, v4
	v_cndmask_b32_e64 v6, 0, v6, s[22:23]
	v_cmp_eq_u32_e64 s[22:23], 0, v4
	v_mov_b32_e32 v4, 0xffffff82
	v_cndmask_b32_e64 v26, v5, v4, s[22:23]
	v_mov_b32_e32 v4, 0x78
	v_cndmask_b32_e64 v27, v6, v4, s[22:23]
	v_add_u32_e32 v4, 20, v27
	v_or_b32_e32 v7, 0x800000, v56
	v_lshlrev_b64 v[4:5], v4, -1
	v_cndmask_b32_e64 v56, v7, v56, s[22:23]
	v_not_b32_e32 v4, v4
	v_and_b32_e32 v6, v56, v4
	v_add_u32_e32 v4, 19, v27
	v_lshrrev_b64 v[24:25], v27, v[56:57]
	v_not_b32_e32 v5, v5
	v_lshlrev_b64 v[8:9], v4, 1
	v_lshrrev_b32_e32 v4, 23, v24
	v_and_b32_e32 v7, 0, v5
	v_add3_u32 v26, v27, v26, v4
	v_bfe_u32 v4, v24, 20, 1
	v_add_u32_e32 v4, -1, v4
	v_cmp_eq_u64_e64 s[22:23], v[6:7], v[8:9]
	v_cndmask_b32_e64 v4, 0, v4, s[22:23]
	v_add_u32_e32 v4, v4, v24
	v_and_b32_e32 v4, 0xfffff, v4
	v_add_co_u32_e64 v24, s[22:23], v4, v24
	v_add_u32_e32 v5, 6, v26
	v_addc_co_u32_e64 v25, s[22:23], 0, v25, s[22:23]
	v_cmp_ne_u32_e64 s[22:23], 0, v5
                                        ; implicit-def: $vgpr4
	s_and_saveexec_b64 s[24:25], s[22:23]
	s_xor_b64 s[24:25], exec, s[24:25]
; %bb.937:                              ;   in Loop: Header=BB4_897 Depth=2
	v_add_u32_e32 v4, 7, v26
	v_cmp_lt_u64_e64 s[22:23], s[48:49], v[24:25]
	v_cndmask_b32_e64 v4, v5, v4, s[22:23]
	v_cndmask_b32_e64 v5, 0, 1, s[22:23]
	v_lshrrev_b64 v[24:25], v5, v[24:25]
; %bb.938:                              ;   in Loop: Header=BB4_897 Depth=2
	s_andn2_saveexec_b64 s[22:23], s[24:25]
; %bb.939:                              ;   in Loop: Header=BB4_897 Depth=2
	v_bfe_u32 v4, v24, 23, 1
; %bb.940:                              ;   in Loop: Header=BB4_897 Depth=2
	s_or_b64 exec, exec, s[22:23]
	v_lshrrev_b64 v[6:7], 20, v[24:25]
	v_cmp_gt_i32_e64 s[22:23], 16, v4
	v_cndmask_b32_e64 v7, 0, v7, s[22:23]
	v_cndmask_b32_e64 v6, 7, v6, s[22:23]
	v_cmp_eq_u32_e64 s[22:23], 0, v4
	v_min_i32_e32 v4, 15, v4
	v_cmp_eq_u64_e64 s[24:25], 0, v[6:7]
	v_lshlrev_b32_e32 v4, 3, v4
	v_and_or_b32 v4, v6, 7, v4
	s_and_b64 s[22:23], s[22:23], s[24:25]
	v_cndmask_b32_e64 v4, v4, 0, s[22:23]
	v_or_b32_e32 v34, v4, v2
.LBB4_941:                              ;   in Loop: Header=BB4_897 Depth=2
	s_or_b64 exec, exec, s[64:65]
.LBB4_942:                              ;   in Loop: Header=BB4_897 Depth=2
	s_or_b64 exec, exec, s[62:63]
                                        ; implicit-def: $vgpr4
.LBB4_943:                              ;   in Loop: Header=BB4_897 Depth=2
	s_andn2_saveexec_b64 s[24:25], s[60:61]
; %bb.944:                              ;   in Loop: Header=BB4_897 Depth=2
	v_or_b32_sdwa v2, v4, s76 dst_sel:DWORD dst_unused:UNUSED_PAD src0_sel:BYTE_3 src1_sel:DWORD
	v_cmp_eq_u64_e64 s[22:23], 0, v[56:57]
	v_cndmask_b32_e64 v34, v2, v34, s[22:23]
; %bb.945:                              ;   in Loop: Header=BB4_897 Depth=2
	s_or_b64 exec, exec, s[24:25]
	v_lshrrev_b32_e32 v24, 16, v14
	v_cmp_ne_u16_sdwa s[22:23], v24, v57 src0_sel:BYTE_0 src1_sel:DWORD
	v_mov_b32_e32 v2, 0
	v_mov_b32_e32 v4, 0
	s_and_saveexec_b64 s[24:25], s[22:23]
	s_cbranch_execz .LBB4_951
; %bb.946:                              ;   in Loop: Header=BB4_897 Depth=2
	v_cmp_ne_u16_sdwa s[22:23], v24, s75 src0_sel:BYTE_0 src1_sel:DWORD
	v_bfrev_b32_e32 v4, 1
	s_and_saveexec_b64 s[60:61], s[22:23]
	s_cbranch_execz .LBB4_950
; %bb.947:                              ;   in Loop: Header=BB4_897 Depth=2
	v_bfe_u32 v5, v14, 16, 7
	v_cmp_ne_u32_e64 s[22:23], s76, v5
	v_mov_b32_e32 v4, 0x7f800001
	s_and_saveexec_b64 s[62:63], s[22:23]
	s_cbranch_execz .LBB4_949
; %bb.948:                              ;   in Loop: Header=BB4_897 Depth=2
	v_and_b32_e32 v4, 7, v24
	v_ffbh_u32_e32 v6, v4
	v_min_u32_e32 v9, 32, v6
	v_subrev_u32_e32 v6, 28, v9
	v_lshlrev_b64 v[6:7], v6, v[24:25]
	v_lshrrev_b32_e32 v8, 3, v5
	v_sub_u32_e32 v7, 29, v9
	v_and_b32_e32 v6, 7, v6
	v_cmp_gt_u32_e64 s[22:23], 8, v5
	v_cndmask_b32_e64 v5, v8, v7, s[22:23]
	v_cndmask_b32_e64 v4, v4, v6, s[22:23]
	v_lshlrev_b32_e32 v6, 24, v24
	v_lshlrev_b32_e32 v4, 20, v4
	v_and_b32_e32 v6, 0x80000000, v6
	v_lshl_add_u32 v5, v5, 23, v51
	v_or3_b32 v4, v6, v5, v4
.LBB4_949:                              ;   in Loop: Header=BB4_897 Depth=2
	s_or_b64 exec, exec, s[62:63]
.LBB4_950:                              ;   in Loop: Header=BB4_897 Depth=2
	s_or_b64 exec, exec, s[60:61]
.LBB4_951:                              ;   in Loop: Header=BB4_897 Depth=2
	s_or_b64 exec, exec, s[24:25]
	v_lshrrev_b32_e32 v24, 16, v10
	v_cmp_ne_u16_sdwa s[22:23], v24, v57 src0_sel:BYTE_0 src1_sel:DWORD
	s_and_saveexec_b64 s[24:25], s[22:23]
	s_cbranch_execz .LBB4_957
; %bb.952:                              ;   in Loop: Header=BB4_897 Depth=2
	v_cmp_ne_u16_sdwa s[22:23], v24, s75 src0_sel:BYTE_0 src1_sel:DWORD
	v_bfrev_b32_e32 v2, 1
	s_and_saveexec_b64 s[60:61], s[22:23]
	s_cbranch_execz .LBB4_956
; %bb.953:                              ;   in Loop: Header=BB4_897 Depth=2
	v_bfe_u32 v5, v10, 16, 7
	v_cmp_ne_u32_e64 s[22:23], s76, v5
	v_mov_b32_e32 v2, 0x7f800001
	s_and_saveexec_b64 s[62:63], s[22:23]
	s_cbranch_execz .LBB4_955
; %bb.954:                              ;   in Loop: Header=BB4_897 Depth=2
	v_and_b32_e32 v2, 7, v24
	v_ffbh_u32_e32 v6, v2
	v_min_u32_e32 v9, 32, v6
	v_subrev_u32_e32 v6, 28, v9
	v_lshlrev_b64 v[6:7], v6, v[24:25]
	v_lshrrev_b32_e32 v8, 3, v5
	v_sub_u32_e32 v7, 29, v9
	v_and_b32_e32 v6, 7, v6
	v_cmp_gt_u32_e64 s[22:23], 8, v5
	v_cndmask_b32_e64 v5, v8, v7, s[22:23]
	v_cndmask_b32_e64 v2, v2, v6, s[22:23]
	v_lshlrev_b32_e32 v6, 8, v10
	v_lshlrev_b32_e32 v2, 20, v2
	v_and_b32_e32 v6, 0x80000000, v6
	v_lshl_add_u32 v5, v5, 23, v51
	v_or3_b32 v2, v6, v5, v2
.LBB4_955:                              ;   in Loop: Header=BB4_897 Depth=2
	s_or_b64 exec, exec, s[62:63]
.LBB4_956:                              ;   in Loop: Header=BB4_897 Depth=2
	s_or_b64 exec, exec, s[60:61]
.LBB4_957:                              ;   in Loop: Header=BB4_897 Depth=2
	s_or_b64 exec, exec, s[24:25]
	v_add_f32_e32 v5, v4, v2
	v_and_b32_sdwa v4, v5, s75 dst_sel:DWORD dst_unused:UNUSED_PAD src0_sel:BYTE_3 src1_sel:DWORD
	v_and_b32_e32 v6, 0x7f800000, v5
	v_mov_b32_e32 v7, v57
	v_and_b32_e32 v56, 0x7fffff, v5
	v_or_b32_e32 v2, 0x7e, v4
	v_cmp_ne_u64_e64 s[22:23], s[42:43], v[6:7]
	s_and_saveexec_b64 s[24:25], s[22:23]
	s_xor_b64 s[60:61], exec, s[24:25]
	s_cbranch_execz .LBB4_967
; %bb.958:                              ;   in Loop: Header=BB4_897 Depth=2
	v_and_b32_e32 v6, 0x7fffffff, v5
	v_mov_b32_e32 v7, v57
	v_cmp_gt_u64_e64 s[22:23], s[44:45], v[6:7]
	s_and_saveexec_b64 s[62:63], s[22:23]
	s_cbranch_execz .LBB4_966
; %bb.959:                              ;   in Loop: Header=BB4_897 Depth=2
	v_cmp_ne_u32_e64 s[22:23], 0, v5
	v_mov_b32_e32 v2, 0
	s_and_saveexec_b64 s[64:65], s[22:23]
	s_cbranch_execz .LBB4_965
; %bb.960:                              ;   in Loop: Header=BB4_897 Depth=2
	v_bfe_u32 v2, v5, 23, 8
	v_sub_u32_e32 v6, 0x79, v2
	v_cmp_gt_u32_e64 s[22:23], s77, v2
	v_add_u32_e32 v5, 0xffffff81, v2
	v_cndmask_b32_e64 v6, 0, v6, s[22:23]
	v_cmp_eq_u32_e64 s[22:23], 0, v2
	v_mov_b32_e32 v2, 0xffffff82
	v_cndmask_b32_e64 v2, v5, v2, s[22:23]
	v_mov_b32_e32 v5, 0x78
	v_or_b32_e32 v7, 0x800000, v56
	v_cndmask_b32_e64 v5, v6, v5, s[22:23]
	v_cndmask_b32_e64 v56, v7, v56, s[22:23]
	v_add_u32_e32 v6, 20, v5
	v_lshlrev_b64 v[6:7], v6, -1
	v_lshrrev_b64 v[24:25], v5, v[56:57]
	v_not_b32_e32 v7, v7
	v_not_b32_e32 v6, v6
	v_add_u32_e32 v8, 19, v5
	v_lshrrev_b32_e32 v26, 23, v24
	v_and_b32_e32 v7, 0, v7
	v_and_b32_e32 v6, v56, v6
	v_lshlrev_b64 v[8:9], v8, 1
	v_add3_u32 v26, v5, v2, v26
	v_bfe_u32 v2, v24, 20, 1
	v_add_u32_e32 v2, -1, v2
	v_cmp_eq_u64_e64 s[22:23], v[6:7], v[8:9]
	v_cndmask_b32_e64 v2, 0, v2, s[22:23]
	v_add_u32_e32 v2, v2, v24
	v_and_b32_e32 v2, 0xfffff, v2
	v_add_co_u32_e64 v24, s[22:23], v2, v24
	v_add_u32_e32 v5, 6, v26
	v_addc_co_u32_e64 v25, s[22:23], 0, v25, s[22:23]
	v_cmp_ne_u32_e64 s[22:23], 0, v5
                                        ; implicit-def: $vgpr2
	s_and_saveexec_b64 s[24:25], s[22:23]
	s_xor_b64 s[24:25], exec, s[24:25]
; %bb.961:                              ;   in Loop: Header=BB4_897 Depth=2
	v_add_u32_e32 v2, 7, v26
	v_cmp_lt_u64_e64 s[22:23], s[48:49], v[24:25]
	v_cndmask_b32_e64 v2, v5, v2, s[22:23]
	v_cndmask_b32_e64 v5, 0, 1, s[22:23]
	v_lshrrev_b64 v[24:25], v5, v[24:25]
; %bb.962:                              ;   in Loop: Header=BB4_897 Depth=2
	s_andn2_saveexec_b64 s[22:23], s[24:25]
; %bb.963:                              ;   in Loop: Header=BB4_897 Depth=2
	v_bfe_u32 v2, v24, 23, 1
; %bb.964:                              ;   in Loop: Header=BB4_897 Depth=2
	s_or_b64 exec, exec, s[22:23]
	v_lshrrev_b64 v[6:7], 20, v[24:25]
	v_cmp_gt_i32_e64 s[22:23], 16, v2
	v_cndmask_b32_e64 v7, 0, v7, s[22:23]
	v_cndmask_b32_e64 v6, 7, v6, s[22:23]
	v_cmp_eq_u32_e64 s[22:23], 0, v2
	v_min_i32_e32 v2, 15, v2
	v_cmp_eq_u64_e64 s[24:25], 0, v[6:7]
	v_lshlrev_b32_e32 v2, 3, v2
	v_and_or_b32 v2, v6, 7, v2
	s_and_b64 s[22:23], s[22:23], s[24:25]
	v_cndmask_b32_e64 v2, v2, 0, s[22:23]
	v_or_b32_e32 v2, v2, v4
.LBB4_965:                              ;   in Loop: Header=BB4_897 Depth=2
	s_or_b64 exec, exec, s[64:65]
.LBB4_966:                              ;   in Loop: Header=BB4_897 Depth=2
	s_or_b64 exec, exec, s[62:63]
                                        ; implicit-def: $vgpr5
.LBB4_967:                              ;   in Loop: Header=BB4_897 Depth=2
	s_andn2_saveexec_b64 s[24:25], s[60:61]
; %bb.968:                              ;   in Loop: Header=BB4_897 Depth=2
	v_or_b32_sdwa v4, v5, s76 dst_sel:DWORD dst_unused:UNUSED_PAD src0_sel:BYTE_3 src1_sel:DWORD
	v_cmp_eq_u64_e64 s[22:23], 0, v[56:57]
	v_cndmask_b32_e64 v2, v4, v2, s[22:23]
; %bb.969:                              ;   in Loop: Header=BB4_897 Depth=2
	s_or_b64 exec, exec, s[24:25]
	v_cmp_lt_u32_e64 s[22:23], s47, v14
	v_mov_b32_e32 v4, 0
	v_mov_b32_e32 v5, 0
	s_and_saveexec_b64 s[24:25], s[22:23]
	s_cbranch_execz .LBB4_975
; %bb.970:                              ;   in Loop: Header=BB4_897 Depth=2
	v_lshrrev_b32_e32 v24, 24, v14
	v_cmp_ne_u32_e64 s[22:23], s75, v24
	v_bfrev_b32_e32 v5, 1
	s_and_saveexec_b64 s[60:61], s[22:23]
	s_cbranch_execz .LBB4_974
; %bb.971:                              ;   in Loop: Header=BB4_897 Depth=2
	v_bfe_u32 v25, v14, 24, 7
	v_cmp_ne_u32_e64 s[22:23], s76, v25
	v_mov_b32_e32 v5, 0x7f800001
	s_and_saveexec_b64 s[62:63], s[22:23]
	s_cbranch_execz .LBB4_973
; %bb.972:                              ;   in Loop: Header=BB4_897 Depth=2
	v_and_b32_e32 v5, 7, v24
	v_ffbh_u32_e32 v6, v5
	v_min_u32_e32 v9, 32, v6
	v_subrev_u32_e32 v6, 28, v9
	v_lshlrev_b64 v[6:7], v6, v[24:25]
	v_lshrrev_b32_e32 v8, 3, v25
	v_sub_u32_e32 v7, 29, v9
	v_and_b32_e32 v6, 7, v6
	v_cmp_gt_u32_e64 s[22:23], 8, v25
	v_cndmask_b32_e64 v7, v8, v7, s[22:23]
	v_cndmask_b32_e64 v5, v5, v6, s[22:23]
	v_lshlrev_b32_e32 v6, 24, v24
	v_lshlrev_b32_e32 v5, 20, v5
	v_and_b32_e32 v6, 0x80000000, v6
	v_lshl_add_u32 v7, v7, 23, v51
	v_or3_b32 v5, v6, v7, v5
.LBB4_973:                              ;   in Loop: Header=BB4_897 Depth=2
	s_or_b64 exec, exec, s[62:63]
.LBB4_974:                              ;   in Loop: Header=BB4_897 Depth=2
	s_or_b64 exec, exec, s[60:61]
.LBB4_975:                              ;   in Loop: Header=BB4_897 Depth=2
	s_or_b64 exec, exec, s[24:25]
	v_cmp_lt_u32_e64 s[22:23], s47, v10
	s_and_saveexec_b64 s[24:25], s[22:23]
	s_cbranch_execz .LBB4_981
; %bb.976:                              ;   in Loop: Header=BB4_897 Depth=2
	v_lshrrev_b32_e32 v24, 24, v10
	v_cmp_ne_u32_e64 s[22:23], s75, v24
	v_bfrev_b32_e32 v4, 1
	s_and_saveexec_b64 s[60:61], s[22:23]
	s_cbranch_execz .LBB4_980
; %bb.977:                              ;   in Loop: Header=BB4_897 Depth=2
	v_bfe_u32 v25, v10, 24, 7
	v_cmp_ne_u32_e64 s[22:23], s76, v25
	v_mov_b32_e32 v4, 0x7f800001
	s_and_saveexec_b64 s[62:63], s[22:23]
	s_cbranch_execz .LBB4_979
; %bb.978:                              ;   in Loop: Header=BB4_897 Depth=2
	v_and_b32_e32 v4, 7, v24
	v_ffbh_u32_e32 v6, v4
	v_min_u32_e32 v9, 32, v6
	v_subrev_u32_e32 v6, 28, v9
	v_lshlrev_b64 v[6:7], v6, v[24:25]
	v_lshrrev_b32_e32 v8, 3, v25
	v_sub_u32_e32 v7, 29, v9
	v_and_b32_e32 v6, 7, v6
	v_cmp_gt_u32_e64 s[22:23], 8, v25
	v_cndmask_b32_e64 v7, v8, v7, s[22:23]
	v_cndmask_b32_e64 v4, v4, v6, s[22:23]
	v_lshlrev_b32_e32 v6, 24, v24
	v_lshlrev_b32_e32 v4, 20, v4
	v_and_b32_e32 v6, 0x80000000, v6
	v_lshl_add_u32 v7, v7, 23, v51
	v_or3_b32 v4, v6, v7, v4
.LBB4_979:                              ;   in Loop: Header=BB4_897 Depth=2
	s_or_b64 exec, exec, s[62:63]
.LBB4_980:                              ;   in Loop: Header=BB4_897 Depth=2
	s_or_b64 exec, exec, s[60:61]
.LBB4_981:                              ;   in Loop: Header=BB4_897 Depth=2
	s_or_b64 exec, exec, s[24:25]
	v_add_f32_e32 v5, v5, v4
	v_and_b32_sdwa v4, v5, s75 dst_sel:DWORD dst_unused:UNUSED_PAD src0_sel:BYTE_3 src1_sel:DWORD
	v_and_b32_e32 v6, 0x7f800000, v5
	v_mov_b32_e32 v7, v57
	v_and_b32_e32 v56, 0x7fffff, v5
	v_or_b32_e32 v35, 0x7e, v4
	v_cmp_ne_u64_e64 s[22:23], s[42:43], v[6:7]
	s_and_saveexec_b64 s[24:25], s[22:23]
	s_xor_b64 s[60:61], exec, s[24:25]
	s_cbranch_execz .LBB4_991
; %bb.982:                              ;   in Loop: Header=BB4_897 Depth=2
	v_and_b32_e32 v6, 0x7fffffff, v5
	v_mov_b32_e32 v7, v57
	v_cmp_gt_u64_e64 s[22:23], s[44:45], v[6:7]
	s_and_saveexec_b64 s[62:63], s[22:23]
	s_cbranch_execz .LBB4_990
; %bb.983:                              ;   in Loop: Header=BB4_897 Depth=2
	v_cmp_ne_u32_e64 s[22:23], 0, v5
	v_mov_b32_e32 v35, 0
	s_and_saveexec_b64 s[64:65], s[22:23]
	s_cbranch_execz .LBB4_989
; %bb.984:                              ;   in Loop: Header=BB4_897 Depth=2
	v_bfe_u32 v5, v5, 23, 8
	v_sub_u32_e32 v7, 0x79, v5
	v_cmp_gt_u32_e64 s[22:23], s77, v5
	v_add_u32_e32 v6, 0xffffff81, v5
	v_cndmask_b32_e64 v7, 0, v7, s[22:23]
	v_cmp_eq_u32_e64 s[22:23], 0, v5
	v_mov_b32_e32 v5, 0xffffff82
	v_cndmask_b32_e64 v5, v6, v5, s[22:23]
	v_mov_b32_e32 v6, 0x78
	v_or_b32_e32 v8, 0x800000, v56
	v_cndmask_b32_e64 v26, v7, v6, s[22:23]
	v_cndmask_b32_e64 v56, v8, v56, s[22:23]
	v_add_u32_e32 v6, 20, v26
	v_lshlrev_b64 v[6:7], v6, -1
	v_lshrrev_b64 v[24:25], v26, v[56:57]
	v_not_b32_e32 v7, v7
	v_not_b32_e32 v6, v6
	v_add_u32_e32 v8, 19, v26
	v_lshrrev_b32_e32 v27, 23, v24
	v_and_b32_e32 v7, 0, v7
	v_and_b32_e32 v6, v56, v6
	v_lshlrev_b64 v[8:9], v8, 1
	v_add3_u32 v27, v26, v5, v27
	v_bfe_u32 v5, v24, 20, 1
	v_add_u32_e32 v5, -1, v5
	v_cmp_eq_u64_e64 s[22:23], v[6:7], v[8:9]
	v_cndmask_b32_e64 v5, 0, v5, s[22:23]
	v_add_u32_e32 v5, v5, v24
	v_and_b32_e32 v5, 0xfffff, v5
	v_add_co_u32_e64 v24, s[22:23], v5, v24
	v_add_u32_e32 v26, 6, v27
	v_addc_co_u32_e64 v25, s[22:23], 0, v25, s[22:23]
	v_cmp_ne_u32_e64 s[22:23], 0, v26
                                        ; implicit-def: $vgpr5
	s_and_saveexec_b64 s[24:25], s[22:23]
	s_xor_b64 s[24:25], exec, s[24:25]
; %bb.985:                              ;   in Loop: Header=BB4_897 Depth=2
	v_cmp_lt_u64_e64 s[22:23], s[48:49], v[24:25]
	v_add_u32_e32 v5, 7, v27
	v_cndmask_b32_e64 v6, 0, 1, s[22:23]
	v_cndmask_b32_e64 v5, v26, v5, s[22:23]
	v_lshrrev_b64 v[24:25], v6, v[24:25]
; %bb.986:                              ;   in Loop: Header=BB4_897 Depth=2
	s_andn2_saveexec_b64 s[22:23], s[24:25]
; %bb.987:                              ;   in Loop: Header=BB4_897 Depth=2
	v_bfe_u32 v5, v24, 23, 1
; %bb.988:                              ;   in Loop: Header=BB4_897 Depth=2
	s_or_b64 exec, exec, s[22:23]
	v_lshrrev_b64 v[6:7], 20, v[24:25]
	v_cmp_gt_i32_e64 s[22:23], 16, v5
	v_cndmask_b32_e64 v7, 0, v7, s[22:23]
	v_cndmask_b32_e64 v6, 7, v6, s[22:23]
	v_cmp_eq_u32_e64 s[22:23], 0, v5
	v_min_i32_e32 v5, 15, v5
	v_cmp_eq_u64_e64 s[24:25], 0, v[6:7]
	v_lshlrev_b32_e32 v5, 3, v5
	v_and_or_b32 v5, v6, 7, v5
	s_and_b64 s[22:23], s[22:23], s[24:25]
	v_cndmask_b32_e64 v5, v5, 0, s[22:23]
	v_or_b32_e32 v35, v5, v4
.LBB4_989:                              ;   in Loop: Header=BB4_897 Depth=2
	s_or_b64 exec, exec, s[64:65]
.LBB4_990:                              ;   in Loop: Header=BB4_897 Depth=2
	s_or_b64 exec, exec, s[62:63]
                                        ; implicit-def: $vgpr5
.LBB4_991:                              ;   in Loop: Header=BB4_897 Depth=2
	s_andn2_saveexec_b64 s[24:25], s[60:61]
; %bb.992:                              ;   in Loop: Header=BB4_897 Depth=2
	v_or_b32_sdwa v4, v5, s76 dst_sel:DWORD dst_unused:UNUSED_PAD src0_sel:BYTE_3 src1_sel:DWORD
	v_cmp_eq_u64_e64 s[22:23], 0, v[56:57]
	v_cndmask_b32_e64 v35, v4, v35, s[22:23]
; %bb.993:                              ;   in Loop: Header=BB4_897 Depth=2
	s_or_b64 exec, exec, s[24:25]
	v_mov_b32_e32 v56, v15
	v_cmp_ne_u16_sdwa s[22:23], v15, v57 src0_sel:BYTE_0 src1_sel:DWORD
	v_mov_b32_e32 v5, 0
	v_mov_b32_e32 v4, 0
	s_and_saveexec_b64 s[24:25], s[22:23]
	s_cbranch_execz .LBB4_999
; %bb.994:                              ;   in Loop: Header=BB4_897 Depth=2
	v_cmp_ne_u16_sdwa s[22:23], v15, s75 src0_sel:BYTE_0 src1_sel:DWORD
	v_bfrev_b32_e32 v4, 1
	s_and_saveexec_b64 s[60:61], s[22:23]
	s_cbranch_execz .LBB4_998
; %bb.995:                              ;   in Loop: Header=BB4_897 Depth=2
	v_and_b32_e32 v24, 0x7f, v15
	v_cmp_ne_u32_e64 s[22:23], s76, v24
	v_mov_b32_e32 v4, 0x7f800001
	s_and_saveexec_b64 s[62:63], s[22:23]
	s_cbranch_execz .LBB4_997
; %bb.996:                              ;   in Loop: Header=BB4_897 Depth=2
	v_and_b32_e32 v4, 7, v15
	v_ffbh_u32_e32 v4, v4
	v_min_u32_e32 v4, 32, v4
	v_lshrrev_b32_e32 v6, 3, v24
	v_subrev_u32_e32 v7, 28, v4
	v_sub_u32_e32 v4, 29, v4
	v_cmp_gt_u32_e64 s[22:23], 8, v24
	v_cndmask_b32_e64 v4, v6, v4, s[22:23]
	v_cndmask_b32_e64 v6, 0, v7, s[22:23]
	v_lshlrev_b64 v[6:7], v6, v[56:57]
	v_lshlrev_b32_e32 v6, 20, v6
	v_lshlrev_b32_e32 v7, 24, v56
	v_and_b32_e32 v6, 0x700000, v6
	v_and_b32_e32 v7, 0x80000000, v7
	v_lshl_add_u32 v4, v4, 23, v51
	v_or3_b32 v4, v7, v4, v6
.LBB4_997:                              ;   in Loop: Header=BB4_897 Depth=2
	s_or_b64 exec, exec, s[62:63]
.LBB4_998:                              ;   in Loop: Header=BB4_897 Depth=2
	s_or_b64 exec, exec, s[60:61]
.LBB4_999:                              ;   in Loop: Header=BB4_897 Depth=2
	s_or_b64 exec, exec, s[24:25]
	v_cmp_ne_u16_sdwa s[22:23], v11, v57 src0_sel:BYTE_0 src1_sel:DWORD
	s_and_saveexec_b64 s[24:25], s[22:23]
	s_cbranch_execz .LBB4_1005
; %bb.1000:                             ;   in Loop: Header=BB4_897 Depth=2
	v_cmp_ne_u16_sdwa s[22:23], v11, s75 src0_sel:BYTE_0 src1_sel:DWORD
	v_bfrev_b32_e32 v5, 1
	s_and_saveexec_b64 s[60:61], s[22:23]
	s_cbranch_execz .LBB4_1004
; %bb.1001:                             ;   in Loop: Header=BB4_897 Depth=2
	v_and_b32_e32 v24, 0x7f, v11
	v_cmp_ne_u32_e64 s[22:23], s76, v24
	v_mov_b32_e32 v5, 0x7f800001
	s_and_saveexec_b64 s[62:63], s[22:23]
	s_cbranch_execz .LBB4_1003
; %bb.1002:                             ;   in Loop: Header=BB4_897 Depth=2
	v_and_b32_e32 v5, 7, v11
	v_ffbh_u32_e32 v5, v5
	v_min_u32_e32 v5, 32, v5
	v_lshrrev_b32_e32 v8, 3, v24
	v_subrev_u32_e32 v9, 28, v5
	v_sub_u32_e32 v5, 29, v5
	v_cmp_gt_u32_e64 s[22:23], 8, v24
	v_mov_b32_e32 v6, v11
	v_mov_b32_e32 v7, v57
	v_cndmask_b32_e64 v5, v8, v5, s[22:23]
	v_cndmask_b32_e64 v8, 0, v9, s[22:23]
	v_lshlrev_b64 v[8:9], v8, v[6:7]
	v_lshlrev_b32_e32 v7, 20, v8
	v_lshlrev_b32_e32 v6, 24, v6
	v_and_b32_e32 v7, 0x700000, v7
	v_and_b32_e32 v6, 0x80000000, v6
	v_lshl_add_u32 v5, v5, 23, v51
	v_or3_b32 v5, v6, v5, v7
.LBB4_1003:                             ;   in Loop: Header=BB4_897 Depth=2
	s_or_b64 exec, exec, s[62:63]
.LBB4_1004:                             ;   in Loop: Header=BB4_897 Depth=2
	s_or_b64 exec, exec, s[60:61]
.LBB4_1005:                             ;   in Loop: Header=BB4_897 Depth=2
	s_or_b64 exec, exec, s[24:25]
	v_add_f32_e32 v5, v4, v5
	v_and_b32_sdwa v4, v5, s75 dst_sel:DWORD dst_unused:UNUSED_PAD src0_sel:BYTE_3 src1_sel:DWORD
	v_and_b32_e32 v6, 0x7f800000, v5
	v_mov_b32_e32 v7, v57
	v_and_b32_e32 v24, 0x7fffff, v5
	v_mov_b32_e32 v25, v57
	v_or_b32_e32 v30, 0x7e, v4
	v_cmp_ne_u64_e64 s[22:23], s[42:43], v[6:7]
	s_and_saveexec_b64 s[24:25], s[22:23]
	s_xor_b64 s[60:61], exec, s[24:25]
	s_cbranch_execz .LBB4_1015
; %bb.1006:                             ;   in Loop: Header=BB4_897 Depth=2
	v_and_b32_e32 v6, 0x7fffffff, v5
	v_mov_b32_e32 v7, v57
	v_cmp_gt_u64_e64 s[22:23], s[44:45], v[6:7]
	s_and_saveexec_b64 s[62:63], s[22:23]
	s_cbranch_execz .LBB4_1014
; %bb.1007:                             ;   in Loop: Header=BB4_897 Depth=2
	v_cmp_ne_u32_e64 s[22:23], 0, v5
	v_mov_b32_e32 v30, 0
	s_and_saveexec_b64 s[64:65], s[22:23]
	s_cbranch_execz .LBB4_1013
; %bb.1008:                             ;   in Loop: Header=BB4_897 Depth=2
	v_bfe_u32 v5, v5, 23, 8
	v_sub_u32_e32 v7, 0x79, v5
	v_cmp_gt_u32_e64 s[22:23], s77, v5
	v_add_u32_e32 v6, 0xffffff81, v5
	v_cndmask_b32_e64 v7, 0, v7, s[22:23]
	v_cmp_eq_u32_e64 s[22:23], 0, v5
	v_mov_b32_e32 v5, 0xffffff82
	v_cndmask_b32_e64 v5, v6, v5, s[22:23]
	v_mov_b32_e32 v6, 0x78
	v_cndmask_b32_e64 v26, v7, v6, s[22:23]
	v_add_u32_e32 v6, 20, v26
	v_or_b32_e32 v8, 0x800000, v24
	v_lshlrev_b64 v[6:7], v6, -1
	v_cndmask_b32_e64 v24, v8, v24, s[22:23]
	v_not_b32_e32 v6, v6
	v_and_b32_e32 v6, v24, v6
	v_lshrrev_b64 v[24:25], v26, v[24:25]
	v_not_b32_e32 v7, v7
	v_add_u32_e32 v8, 19, v26
	v_lshrrev_b32_e32 v27, 23, v24
	v_and_b32_e32 v7, 0, v7
	v_lshlrev_b64 v[8:9], v8, 1
	v_add3_u32 v27, v26, v5, v27
	v_bfe_u32 v5, v24, 20, 1
	v_add_u32_e32 v5, -1, v5
	v_cmp_eq_u64_e64 s[22:23], v[6:7], v[8:9]
	v_cndmask_b32_e64 v5, 0, v5, s[22:23]
	v_add_u32_e32 v5, v5, v24
	v_and_b32_e32 v5, 0xfffff, v5
	v_add_co_u32_e64 v24, s[22:23], v5, v24
	v_add_u32_e32 v26, 6, v27
	v_addc_co_u32_e64 v25, s[22:23], 0, v25, s[22:23]
	v_cmp_ne_u32_e64 s[22:23], 0, v26
                                        ; implicit-def: $vgpr5
	s_and_saveexec_b64 s[24:25], s[22:23]
	s_xor_b64 s[24:25], exec, s[24:25]
; %bb.1009:                             ;   in Loop: Header=BB4_897 Depth=2
	v_cmp_lt_u64_e64 s[22:23], s[48:49], v[24:25]
	v_add_u32_e32 v5, 7, v27
	v_cndmask_b32_e64 v6, 0, 1, s[22:23]
	v_cndmask_b32_e64 v5, v26, v5, s[22:23]
	v_lshrrev_b64 v[24:25], v6, v[24:25]
; %bb.1010:                             ;   in Loop: Header=BB4_897 Depth=2
	s_andn2_saveexec_b64 s[22:23], s[24:25]
; %bb.1011:                             ;   in Loop: Header=BB4_897 Depth=2
	v_bfe_u32 v5, v24, 23, 1
; %bb.1012:                             ;   in Loop: Header=BB4_897 Depth=2
	s_or_b64 exec, exec, s[22:23]
	v_lshrrev_b64 v[6:7], 20, v[24:25]
	v_cmp_gt_i32_e64 s[22:23], 16, v5
	v_cndmask_b32_e64 v7, 0, v7, s[22:23]
	v_cndmask_b32_e64 v6, 7, v6, s[22:23]
	v_cmp_eq_u32_e64 s[22:23], 0, v5
	v_min_i32_e32 v5, 15, v5
	v_cmp_eq_u64_e64 s[24:25], 0, v[6:7]
	v_lshlrev_b32_e32 v5, 3, v5
	v_and_or_b32 v5, v6, 7, v5
	s_and_b64 s[22:23], s[22:23], s[24:25]
	v_cndmask_b32_e64 v5, v5, 0, s[22:23]
	v_or_b32_e32 v30, v5, v4
.LBB4_1013:                             ;   in Loop: Header=BB4_897 Depth=2
	s_or_b64 exec, exec, s[64:65]
.LBB4_1014:                             ;   in Loop: Header=BB4_897 Depth=2
	s_or_b64 exec, exec, s[62:63]
                                        ; implicit-def: $vgpr5
                                        ; implicit-def: $vgpr24_vgpr25
.LBB4_1015:                             ;   in Loop: Header=BB4_897 Depth=2
	s_andn2_saveexec_b64 s[24:25], s[60:61]
; %bb.1016:                             ;   in Loop: Header=BB4_897 Depth=2
	v_or_b32_sdwa v4, v5, s76 dst_sel:DWORD dst_unused:UNUSED_PAD src0_sel:BYTE_3 src1_sel:DWORD
	v_cmp_eq_u64_e64 s[22:23], 0, v[24:25]
	v_cndmask_b32_e64 v30, v4, v30, s[22:23]
; %bb.1017:                             ;   in Loop: Header=BB4_897 Depth=2
	s_or_b64 exec, exec, s[24:25]
	v_lshrrev_b16_e32 v24, 8, v56
	v_cmp_ne_u16_e64 s[22:23], 0, v24
	v_mov_b32_e32 v4, 0
	v_mov_b32_e32 v5, 0
	s_and_saveexec_b64 s[24:25], s[22:23]
	s_cbranch_execz .LBB4_1023
; %bb.1018:                             ;   in Loop: Header=BB4_897 Depth=2
	v_cmp_ne_u16_e64 s[22:23], s75, v24
	v_bfrev_b32_e32 v5, 1
	s_and_saveexec_b64 s[60:61], s[22:23]
	s_cbranch_execz .LBB4_1022
; %bb.1019:                             ;   in Loop: Header=BB4_897 Depth=2
	v_and_b32_e32 v25, 0x7f, v24
	v_cmp_ne_u32_e64 s[22:23], s76, v25
	v_mov_b32_e32 v5, 0x7f800001
	s_and_saveexec_b64 s[62:63], s[22:23]
	s_cbranch_execz .LBB4_1021
; %bb.1020:                             ;   in Loop: Header=BB4_897 Depth=2
	v_and_b32_e32 v5, 7, v24
	v_ffbh_u32_e32 v6, v5
	v_min_u32_e32 v9, 32, v6
	v_subrev_u32_e32 v6, 28, v9
	v_lshlrev_b64 v[6:7], v6, v[24:25]
	v_lshrrev_b32_e32 v8, 3, v25
	v_sub_u32_e32 v7, 29, v9
	v_and_b32_e32 v6, 7, v6
	v_cmp_gt_u32_e64 s[22:23], 8, v25
	v_cndmask_b32_e64 v7, v8, v7, s[22:23]
	v_cndmask_b32_e64 v5, v5, v6, s[22:23]
	v_lshlrev_b32_e32 v6, 16, v56
	v_lshlrev_b32_e32 v5, 20, v5
	v_and_b32_e32 v6, 0x80000000, v6
	v_lshl_add_u32 v7, v7, 23, v51
	v_or3_b32 v5, v6, v7, v5
.LBB4_1021:                             ;   in Loop: Header=BB4_897 Depth=2
	s_or_b64 exec, exec, s[62:63]
.LBB4_1022:                             ;   in Loop: Header=BB4_897 Depth=2
	s_or_b64 exec, exec, s[60:61]
.LBB4_1023:                             ;   in Loop: Header=BB4_897 Depth=2
	s_or_b64 exec, exec, s[24:25]
	v_mov_b32_e32 v24, v11
	v_lshrrev_b16_e32 v54, 8, v24
	v_cmp_ne_u16_e64 s[22:23], 0, v54
	s_and_saveexec_b64 s[24:25], s[22:23]
	s_cbranch_execz .LBB4_1029
; %bb.1024:                             ;   in Loop: Header=BB4_897 Depth=2
	v_cmp_ne_u16_e64 s[22:23], s75, v54
	v_bfrev_b32_e32 v4, 1
	s_and_saveexec_b64 s[60:61], s[22:23]
	s_cbranch_execz .LBB4_1028
; %bb.1025:                             ;   in Loop: Header=BB4_897 Depth=2
	v_and_b32_e32 v25, 0x7f, v54
	v_cmp_ne_u32_e64 s[22:23], s76, v25
	v_mov_b32_e32 v4, 0x7f800001
	s_and_saveexec_b64 s[62:63], s[22:23]
	s_cbranch_execz .LBB4_1027
; %bb.1026:                             ;   in Loop: Header=BB4_897 Depth=2
	v_and_b32_e32 v4, 7, v54
	v_ffbh_u32_e32 v6, v4
	v_min_u32_e32 v9, 32, v6
	v_subrev_u32_e32 v6, 28, v9
	v_lshlrev_b64 v[6:7], v6, v[54:55]
	v_lshrrev_b32_e32 v8, 3, v25
	v_sub_u32_e32 v7, 29, v9
	v_and_b32_e32 v6, 7, v6
	v_cmp_gt_u32_e64 s[22:23], 8, v25
	v_cndmask_b32_e64 v7, v8, v7, s[22:23]
	v_cndmask_b32_e64 v4, v4, v6, s[22:23]
	v_lshlrev_b32_e32 v6, 16, v24
	v_lshlrev_b32_e32 v4, 20, v4
	v_and_b32_e32 v6, 0x80000000, v6
	v_lshl_add_u32 v7, v7, 23, v51
	v_or3_b32 v4, v6, v7, v4
.LBB4_1027:                             ;   in Loop: Header=BB4_897 Depth=2
	s_or_b64 exec, exec, s[62:63]
.LBB4_1028:                             ;   in Loop: Header=BB4_897 Depth=2
	s_or_b64 exec, exec, s[60:61]
.LBB4_1029:                             ;   in Loop: Header=BB4_897 Depth=2
	s_or_b64 exec, exec, s[24:25]
	v_add_f32_e32 v5, v5, v4
	v_and_b32_sdwa v4, v5, s75 dst_sel:DWORD dst_unused:UNUSED_PAD src0_sel:BYTE_3 src1_sel:DWORD
	v_and_b32_e32 v6, 0x7f800000, v5
	v_mov_b32_e32 v7, v57
	v_and_b32_e32 v56, 0x7fffff, v5
	v_or_b32_e32 v52, 0x7e, v4
	v_cmp_ne_u64_e64 s[22:23], s[42:43], v[6:7]
	s_and_saveexec_b64 s[24:25], s[22:23]
	s_xor_b64 s[60:61], exec, s[24:25]
	s_cbranch_execz .LBB4_1039
; %bb.1030:                             ;   in Loop: Header=BB4_897 Depth=2
	v_and_b32_e32 v6, 0x7fffffff, v5
	v_mov_b32_e32 v7, v57
	v_cmp_gt_u64_e64 s[22:23], s[44:45], v[6:7]
	s_and_saveexec_b64 s[62:63], s[22:23]
	s_cbranch_execz .LBB4_1038
; %bb.1031:                             ;   in Loop: Header=BB4_897 Depth=2
	v_cmp_ne_u32_e64 s[22:23], 0, v5
	v_mov_b32_e32 v52, 0
	s_and_saveexec_b64 s[64:65], s[22:23]
	s_cbranch_execz .LBB4_1037
; %bb.1032:                             ;   in Loop: Header=BB4_897 Depth=2
	v_bfe_u32 v5, v5, 23, 8
	v_sub_u32_e32 v7, 0x79, v5
	v_cmp_gt_u32_e64 s[22:23], s77, v5
	v_add_u32_e32 v6, 0xffffff81, v5
	v_cndmask_b32_e64 v7, 0, v7, s[22:23]
	v_cmp_eq_u32_e64 s[22:23], 0, v5
	v_mov_b32_e32 v5, 0xffffff82
	v_cndmask_b32_e64 v5, v6, v5, s[22:23]
	v_mov_b32_e32 v6, 0x78
	v_or_b32_e32 v8, 0x800000, v56
	v_cndmask_b32_e64 v26, v7, v6, s[22:23]
	v_cndmask_b32_e64 v56, v8, v56, s[22:23]
	v_add_u32_e32 v6, 20, v26
	v_lshlrev_b64 v[6:7], v6, -1
	v_lshrrev_b64 v[24:25], v26, v[56:57]
	v_not_b32_e32 v7, v7
	v_not_b32_e32 v6, v6
	v_add_u32_e32 v8, 19, v26
	v_lshrrev_b32_e32 v27, 23, v24
	v_and_b32_e32 v7, 0, v7
	v_and_b32_e32 v6, v56, v6
	v_lshlrev_b64 v[8:9], v8, 1
	v_add3_u32 v27, v26, v5, v27
	v_bfe_u32 v5, v24, 20, 1
	v_add_u32_e32 v5, -1, v5
	v_cmp_eq_u64_e64 s[22:23], v[6:7], v[8:9]
	v_cndmask_b32_e64 v5, 0, v5, s[22:23]
	v_add_u32_e32 v5, v5, v24
	v_and_b32_e32 v5, 0xfffff, v5
	v_add_co_u32_e64 v24, s[22:23], v5, v24
	v_add_u32_e32 v26, 6, v27
	v_addc_co_u32_e64 v25, s[22:23], 0, v25, s[22:23]
	v_cmp_ne_u32_e64 s[22:23], 0, v26
                                        ; implicit-def: $vgpr5
	s_and_saveexec_b64 s[24:25], s[22:23]
	s_xor_b64 s[24:25], exec, s[24:25]
; %bb.1033:                             ;   in Loop: Header=BB4_897 Depth=2
	v_cmp_lt_u64_e64 s[22:23], s[48:49], v[24:25]
	v_add_u32_e32 v5, 7, v27
	v_cndmask_b32_e64 v6, 0, 1, s[22:23]
	v_cndmask_b32_e64 v5, v26, v5, s[22:23]
	v_lshrrev_b64 v[24:25], v6, v[24:25]
; %bb.1034:                             ;   in Loop: Header=BB4_897 Depth=2
	s_andn2_saveexec_b64 s[22:23], s[24:25]
; %bb.1035:                             ;   in Loop: Header=BB4_897 Depth=2
	v_bfe_u32 v5, v24, 23, 1
; %bb.1036:                             ;   in Loop: Header=BB4_897 Depth=2
	s_or_b64 exec, exec, s[22:23]
	v_lshrrev_b64 v[6:7], 20, v[24:25]
	v_cmp_gt_i32_e64 s[22:23], 16, v5
	v_cndmask_b32_e64 v7, 0, v7, s[22:23]
	v_cndmask_b32_e64 v6, 7, v6, s[22:23]
	v_cmp_eq_u32_e64 s[22:23], 0, v5
	v_min_i32_e32 v5, 15, v5
	v_cmp_eq_u64_e64 s[24:25], 0, v[6:7]
	v_lshlrev_b32_e32 v5, 3, v5
	v_and_or_b32 v5, v6, 7, v5
	s_and_b64 s[22:23], s[22:23], s[24:25]
	v_cndmask_b32_e64 v5, v5, 0, s[22:23]
	v_or_b32_e32 v52, v5, v4
.LBB4_1037:                             ;   in Loop: Header=BB4_897 Depth=2
	s_or_b64 exec, exec, s[64:65]
.LBB4_1038:                             ;   in Loop: Header=BB4_897 Depth=2
	s_or_b64 exec, exec, s[62:63]
                                        ; implicit-def: $vgpr5
.LBB4_1039:                             ;   in Loop: Header=BB4_897 Depth=2
	s_andn2_saveexec_b64 s[24:25], s[60:61]
; %bb.1040:                             ;   in Loop: Header=BB4_897 Depth=2
	v_or_b32_sdwa v4, v5, s76 dst_sel:DWORD dst_unused:UNUSED_PAD src0_sel:BYTE_3 src1_sel:DWORD
	v_cmp_eq_u64_e64 s[22:23], 0, v[56:57]
	v_cndmask_b32_e64 v52, v4, v52, s[22:23]
; %bb.1041:                             ;   in Loop: Header=BB4_897 Depth=2
	s_or_b64 exec, exec, s[24:25]
	v_lshrrev_b32_e32 v24, 16, v15
	v_cmp_ne_u16_sdwa s[22:23], v24, v57 src0_sel:BYTE_0 src1_sel:DWORD
	v_mov_b32_e32 v4, 0
	v_mov_b32_e32 v5, 0
	s_and_saveexec_b64 s[24:25], s[22:23]
	s_cbranch_execz .LBB4_1047
; %bb.1042:                             ;   in Loop: Header=BB4_897 Depth=2
	v_cmp_ne_u16_sdwa s[22:23], v24, s75 src0_sel:BYTE_0 src1_sel:DWORD
	v_bfrev_b32_e32 v5, 1
	s_and_saveexec_b64 s[60:61], s[22:23]
	s_cbranch_execz .LBB4_1046
; %bb.1043:                             ;   in Loop: Header=BB4_897 Depth=2
	v_bfe_u32 v25, v15, 16, 7
	v_cmp_ne_u32_e64 s[22:23], s76, v25
	v_mov_b32_e32 v5, 0x7f800001
	s_and_saveexec_b64 s[62:63], s[22:23]
	s_cbranch_execz .LBB4_1045
; %bb.1044:                             ;   in Loop: Header=BB4_897 Depth=2
	v_and_b32_e32 v5, 7, v24
	v_ffbh_u32_e32 v6, v5
	v_min_u32_e32 v9, 32, v6
	v_subrev_u32_e32 v6, 28, v9
	v_lshlrev_b64 v[6:7], v6, v[24:25]
	v_lshrrev_b32_e32 v8, 3, v25
	v_sub_u32_e32 v7, 29, v9
	v_and_b32_e32 v6, 7, v6
	v_cmp_gt_u32_e64 s[22:23], 8, v25
	v_cndmask_b32_e64 v7, v8, v7, s[22:23]
	v_cndmask_b32_e64 v5, v5, v6, s[22:23]
	v_lshlrev_b32_e32 v6, 24, v24
	v_lshlrev_b32_e32 v5, 20, v5
	v_and_b32_e32 v6, 0x80000000, v6
	v_lshl_add_u32 v7, v7, 23, v51
	v_or3_b32 v5, v6, v7, v5
.LBB4_1045:                             ;   in Loop: Header=BB4_897 Depth=2
	s_or_b64 exec, exec, s[62:63]
.LBB4_1046:                             ;   in Loop: Header=BB4_897 Depth=2
	s_or_b64 exec, exec, s[60:61]
.LBB4_1047:                             ;   in Loop: Header=BB4_897 Depth=2
	s_or_b64 exec, exec, s[24:25]
	v_lshrrev_b32_e32 v24, 16, v11
	v_cmp_ne_u16_sdwa s[22:23], v24, v57 src0_sel:BYTE_0 src1_sel:DWORD
	s_and_saveexec_b64 s[24:25], s[22:23]
	s_cbranch_execz .LBB4_1053
; %bb.1048:                             ;   in Loop: Header=BB4_897 Depth=2
	v_cmp_ne_u16_sdwa s[22:23], v24, s75 src0_sel:BYTE_0 src1_sel:DWORD
	v_bfrev_b32_e32 v4, 1
	s_and_saveexec_b64 s[60:61], s[22:23]
	s_cbranch_execz .LBB4_1052
; %bb.1049:                             ;   in Loop: Header=BB4_897 Depth=2
	v_bfe_u32 v25, v11, 16, 7
	v_cmp_ne_u32_e64 s[22:23], s76, v25
	v_mov_b32_e32 v4, 0x7f800001
	s_and_saveexec_b64 s[62:63], s[22:23]
	s_cbranch_execz .LBB4_1051
; %bb.1050:                             ;   in Loop: Header=BB4_897 Depth=2
	v_and_b32_e32 v4, 7, v24
	v_ffbh_u32_e32 v6, v4
	v_min_u32_e32 v9, 32, v6
	v_subrev_u32_e32 v6, 28, v9
	v_lshlrev_b64 v[6:7], v6, v[24:25]
	v_lshrrev_b32_e32 v8, 3, v25
	v_sub_u32_e32 v7, 29, v9
	v_and_b32_e32 v6, 7, v6
	v_cmp_gt_u32_e64 s[22:23], 8, v25
	v_cndmask_b32_e64 v7, v8, v7, s[22:23]
	v_cndmask_b32_e64 v4, v4, v6, s[22:23]
	v_lshlrev_b32_e32 v6, 8, v11
	v_lshlrev_b32_e32 v4, 20, v4
	v_and_b32_e32 v6, 0x80000000, v6
	v_lshl_add_u32 v7, v7, 23, v51
	v_or3_b32 v4, v6, v7, v4
.LBB4_1051:                             ;   in Loop: Header=BB4_897 Depth=2
	s_or_b64 exec, exec, s[62:63]
.LBB4_1052:                             ;   in Loop: Header=BB4_897 Depth=2
	s_or_b64 exec, exec, s[60:61]
.LBB4_1053:                             ;   in Loop: Header=BB4_897 Depth=2
	s_or_b64 exec, exec, s[24:25]
	v_add_f32_e32 v5, v5, v4
	v_and_b32_sdwa v4, v5, s75 dst_sel:DWORD dst_unused:UNUSED_PAD src0_sel:BYTE_3 src1_sel:DWORD
	v_and_b32_e32 v6, 0x7f800000, v5
	v_mov_b32_e32 v7, v57
	v_and_b32_e32 v56, 0x7fffff, v5
	v_or_b32_e32 v24, 0x7e, v4
	v_cmp_ne_u64_e64 s[22:23], s[42:43], v[6:7]
	s_and_saveexec_b64 s[24:25], s[22:23]
	s_xor_b64 s[60:61], exec, s[24:25]
	s_cbranch_execz .LBB4_1063
; %bb.1054:                             ;   in Loop: Header=BB4_897 Depth=2
	v_and_b32_e32 v6, 0x7fffffff, v5
	v_mov_b32_e32 v7, v57
	v_cmp_gt_u64_e64 s[22:23], s[44:45], v[6:7]
	s_and_saveexec_b64 s[62:63], s[22:23]
	s_cbranch_execz .LBB4_1062
; %bb.1055:                             ;   in Loop: Header=BB4_897 Depth=2
	v_cmp_ne_u32_e64 s[22:23], 0, v5
	v_mov_b32_e32 v24, 0
	s_and_saveexec_b64 s[64:65], s[22:23]
	s_cbranch_execz .LBB4_1061
; %bb.1056:                             ;   in Loop: Header=BB4_897 Depth=2
	v_bfe_u32 v5, v5, 23, 8
	v_sub_u32_e32 v7, 0x79, v5
	v_cmp_gt_u32_e64 s[22:23], s77, v5
	v_add_u32_e32 v6, 0xffffff81, v5
	v_cndmask_b32_e64 v7, 0, v7, s[22:23]
	v_cmp_eq_u32_e64 s[22:23], 0, v5
	v_mov_b32_e32 v5, 0xffffff82
	v_cndmask_b32_e64 v5, v6, v5, s[22:23]
	v_mov_b32_e32 v6, 0x78
	v_or_b32_e32 v8, 0x800000, v56
	v_cndmask_b32_e64 v26, v7, v6, s[22:23]
	v_cndmask_b32_e64 v56, v8, v56, s[22:23]
	v_add_u32_e32 v6, 20, v26
	v_lshlrev_b64 v[6:7], v6, -1
	v_lshrrev_b64 v[24:25], v26, v[56:57]
	v_not_b32_e32 v7, v7
	v_not_b32_e32 v6, v6
	v_add_u32_e32 v8, 19, v26
	v_lshrrev_b32_e32 v27, 23, v24
	v_and_b32_e32 v7, 0, v7
	v_and_b32_e32 v6, v56, v6
	v_lshlrev_b64 v[8:9], v8, 1
	v_add3_u32 v27, v26, v5, v27
	v_bfe_u32 v5, v24, 20, 1
	v_add_u32_e32 v5, -1, v5
	v_cmp_eq_u64_e64 s[22:23], v[6:7], v[8:9]
	v_cndmask_b32_e64 v5, 0, v5, s[22:23]
	v_add_u32_e32 v5, v5, v24
	v_and_b32_e32 v5, 0xfffff, v5
	v_add_co_u32_e64 v24, s[22:23], v5, v24
	v_add_u32_e32 v26, 6, v27
	v_addc_co_u32_e64 v25, s[22:23], 0, v25, s[22:23]
	v_cmp_ne_u32_e64 s[22:23], 0, v26
                                        ; implicit-def: $vgpr5
	s_and_saveexec_b64 s[24:25], s[22:23]
	s_xor_b64 s[24:25], exec, s[24:25]
; %bb.1057:                             ;   in Loop: Header=BB4_897 Depth=2
	v_cmp_lt_u64_e64 s[22:23], s[48:49], v[24:25]
	v_add_u32_e32 v5, 7, v27
	v_cndmask_b32_e64 v6, 0, 1, s[22:23]
	v_cndmask_b32_e64 v5, v26, v5, s[22:23]
	v_lshrrev_b64 v[24:25], v6, v[24:25]
; %bb.1058:                             ;   in Loop: Header=BB4_897 Depth=2
	s_andn2_saveexec_b64 s[22:23], s[24:25]
; %bb.1059:                             ;   in Loop: Header=BB4_897 Depth=2
	v_bfe_u32 v5, v24, 23, 1
; %bb.1060:                             ;   in Loop: Header=BB4_897 Depth=2
	s_or_b64 exec, exec, s[22:23]
	v_lshrrev_b64 v[6:7], 20, v[24:25]
	v_cmp_gt_i32_e64 s[22:23], 16, v5
	v_cndmask_b32_e64 v7, 0, v7, s[22:23]
	v_cndmask_b32_e64 v6, 7, v6, s[22:23]
	v_cmp_eq_u32_e64 s[22:23], 0, v5
	v_min_i32_e32 v5, 15, v5
	v_lshlrev_b32_e32 v5, 3, v5
	v_cmp_eq_u64_e64 s[24:25], 0, v[6:7]
	v_and_b32_e32 v5, 0xf8, v5
	v_and_or_b32 v5, v6, 7, v5
	s_and_b64 s[22:23], s[22:23], s[24:25]
	v_cndmask_b32_e64 v5, v5, 0, s[22:23]
	v_or_b32_e32 v24, v5, v4
.LBB4_1061:                             ;   in Loop: Header=BB4_897 Depth=2
	s_or_b64 exec, exec, s[64:65]
.LBB4_1062:                             ;   in Loop: Header=BB4_897 Depth=2
	s_or_b64 exec, exec, s[62:63]
                                        ; implicit-def: $vgpr5
.LBB4_1063:                             ;   in Loop: Header=BB4_897 Depth=2
	s_andn2_saveexec_b64 s[24:25], s[60:61]
; %bb.1064:                             ;   in Loop: Header=BB4_897 Depth=2
	v_or_b32_sdwa v4, v5, s76 dst_sel:DWORD dst_unused:UNUSED_PAD src0_sel:BYTE_3 src1_sel:DWORD
	v_cmp_eq_u64_e64 s[22:23], 0, v[56:57]
	v_cndmask_b32_e64 v24, v4, v24, s[22:23]
; %bb.1065:                             ;   in Loop: Header=BB4_897 Depth=2
	s_or_b64 exec, exec, s[24:25]
	v_cmp_lt_u64_e64 s[22:23], s[46:47], v[14:15]
	v_mov_b32_e32 v4, 0
	v_mov_b32_e32 v5, 0
	s_and_saveexec_b64 s[24:25], s[22:23]
	s_cbranch_execz .LBB4_1071
; %bb.1066:                             ;   in Loop: Header=BB4_897 Depth=2
	v_lshrrev_b32_e32 v14, 24, v15
	v_cmp_ne_u32_e64 s[22:23], s75, v14
	v_bfrev_b32_e32 v5, 1
	s_and_saveexec_b64 s[60:61], s[22:23]
	s_cbranch_execz .LBB4_1070
; %bb.1067:                             ;   in Loop: Header=BB4_897 Depth=2
	v_bfe_u32 v15, v15, 24, 7
	v_cmp_ne_u32_e64 s[22:23], s76, v15
	v_mov_b32_e32 v5, 0x7f800001
	s_and_saveexec_b64 s[62:63], s[22:23]
	s_cbranch_execz .LBB4_1069
; %bb.1068:                             ;   in Loop: Header=BB4_897 Depth=2
	v_and_b32_e32 v5, 7, v14
	v_ffbh_u32_e32 v6, v5
	v_min_u32_e32 v9, 32, v6
	v_subrev_u32_e32 v6, 28, v9
	v_lshlrev_b64 v[6:7], v6, v[14:15]
	v_lshrrev_b32_e32 v8, 3, v15
	v_sub_u32_e32 v7, 29, v9
	v_and_b32_e32 v6, 7, v6
	v_cmp_gt_u32_e64 s[22:23], 8, v15
	v_cndmask_b32_e64 v7, v8, v7, s[22:23]
	v_cndmask_b32_e64 v5, v5, v6, s[22:23]
	v_lshlrev_b32_e32 v6, 24, v14
	v_lshlrev_b32_e32 v5, 20, v5
	v_and_b32_e32 v6, 0x80000000, v6
	v_lshl_add_u32 v7, v7, 23, v51
	v_or3_b32 v5, v6, v7, v5
.LBB4_1069:                             ;   in Loop: Header=BB4_897 Depth=2
	s_or_b64 exec, exec, s[62:63]
.LBB4_1070:                             ;   in Loop: Header=BB4_897 Depth=2
	s_or_b64 exec, exec, s[60:61]
.LBB4_1071:                             ;   in Loop: Header=BB4_897 Depth=2
	s_or_b64 exec, exec, s[24:25]
	v_cmp_lt_u64_e64 s[22:23], s[46:47], v[10:11]
	s_and_saveexec_b64 s[24:25], s[22:23]
	s_cbranch_execz .LBB4_1077
; %bb.1072:                             ;   in Loop: Header=BB4_897 Depth=2
	v_lshrrev_b32_e32 v10, 24, v11
	v_cmp_ne_u32_e64 s[22:23], s75, v10
	v_bfrev_b32_e32 v4, 1
	s_and_saveexec_b64 s[60:61], s[22:23]
	s_cbranch_execz .LBB4_1076
; %bb.1073:                             ;   in Loop: Header=BB4_897 Depth=2
	v_bfe_u32 v11, v11, 24, 7
	v_cmp_ne_u32_e64 s[22:23], s76, v11
	v_mov_b32_e32 v4, 0x7f800001
	s_and_saveexec_b64 s[62:63], s[22:23]
	s_cbranch_execz .LBB4_1075
; %bb.1074:                             ;   in Loop: Header=BB4_897 Depth=2
	v_and_b32_e32 v4, 7, v10
	v_ffbh_u32_e32 v6, v4
	v_min_u32_e32 v9, 32, v6
	v_subrev_u32_e32 v6, 28, v9
	v_lshlrev_b64 v[6:7], v6, v[10:11]
	v_lshrrev_b32_e32 v8, 3, v11
	v_sub_u32_e32 v7, 29, v9
	v_and_b32_e32 v6, 7, v6
	v_cmp_gt_u32_e64 s[22:23], 8, v11
	v_cndmask_b32_e64 v7, v8, v7, s[22:23]
	v_cndmask_b32_e64 v4, v4, v6, s[22:23]
	v_lshlrev_b32_e32 v6, 24, v10
	v_lshlrev_b32_e32 v4, 20, v4
	v_and_b32_e32 v6, 0x80000000, v6
	v_lshl_add_u32 v7, v7, 23, v51
	v_or3_b32 v4, v6, v7, v4
.LBB4_1075:                             ;   in Loop: Header=BB4_897 Depth=2
	s_or_b64 exec, exec, s[62:63]
.LBB4_1076:                             ;   in Loop: Header=BB4_897 Depth=2
	s_or_b64 exec, exec, s[60:61]
.LBB4_1077:                             ;   in Loop: Header=BB4_897 Depth=2
	s_or_b64 exec, exec, s[24:25]
	v_add_f32_e32 v5, v5, v4
	v_and_b32_sdwa v4, v5, s75 dst_sel:DWORD dst_unused:UNUSED_PAD src0_sel:BYTE_3 src1_sel:DWORD
	v_and_b32_e32 v6, 0x7f800000, v5
	v_mov_b32_e32 v7, v57
	v_and_b32_e32 v56, 0x7fffff, v5
	v_or_b32_e32 v15, 0x7e, v4
	v_cmp_ne_u64_e64 s[22:23], s[42:43], v[6:7]
	s_and_saveexec_b64 s[24:25], s[22:23]
	s_xor_b64 s[60:61], exec, s[24:25]
	s_cbranch_execz .LBB4_1087
; %bb.1078:                             ;   in Loop: Header=BB4_897 Depth=2
	v_and_b32_e32 v6, 0x7fffffff, v5
	v_mov_b32_e32 v7, v57
	v_cmp_gt_u64_e64 s[22:23], s[44:45], v[6:7]
	s_and_saveexec_b64 s[62:63], s[22:23]
	s_cbranch_execz .LBB4_1086
; %bb.1079:                             ;   in Loop: Header=BB4_897 Depth=2
	v_cmp_ne_u32_e64 s[22:23], 0, v5
	v_mov_b32_e32 v15, 0
	s_and_saveexec_b64 s[64:65], s[22:23]
	s_cbranch_execz .LBB4_1085
; %bb.1080:                             ;   in Loop: Header=BB4_897 Depth=2
	v_bfe_u32 v5, v5, 23, 8
	v_sub_u32_e32 v7, 0x79, v5
	v_cmp_gt_u32_e64 s[22:23], s77, v5
	v_add_u32_e32 v6, 0xffffff81, v5
	v_cndmask_b32_e64 v7, 0, v7, s[22:23]
	v_cmp_eq_u32_e64 s[22:23], 0, v5
	v_mov_b32_e32 v5, 0xffffff82
	v_cndmask_b32_e64 v5, v6, v5, s[22:23]
	v_mov_b32_e32 v6, 0x78
	v_or_b32_e32 v8, 0x800000, v56
	v_cndmask_b32_e64 v14, v7, v6, s[22:23]
	v_cndmask_b32_e64 v56, v8, v56, s[22:23]
	v_add_u32_e32 v6, 20, v14
	v_lshlrev_b64 v[6:7], v6, -1
	v_lshrrev_b64 v[10:11], v14, v[56:57]
	v_not_b32_e32 v7, v7
	v_not_b32_e32 v6, v6
	v_add_u32_e32 v8, 19, v14
	v_lshrrev_b32_e32 v15, 23, v10
	v_and_b32_e32 v7, 0, v7
	v_and_b32_e32 v6, v56, v6
	v_lshlrev_b64 v[8:9], v8, 1
	v_add3_u32 v15, v14, v5, v15
	v_bfe_u32 v5, v10, 20, 1
	v_add_u32_e32 v5, -1, v5
	v_cmp_eq_u64_e64 s[22:23], v[6:7], v[8:9]
	v_cndmask_b32_e64 v5, 0, v5, s[22:23]
	v_add_u32_e32 v5, v5, v10
	v_and_b32_e32 v5, 0xfffff, v5
	v_add_co_u32_e64 v10, s[22:23], v5, v10
	v_add_u32_e32 v14, 6, v15
	v_addc_co_u32_e64 v11, s[22:23], 0, v11, s[22:23]
	v_cmp_ne_u32_e64 s[22:23], 0, v14
                                        ; implicit-def: $vgpr5
	s_and_saveexec_b64 s[24:25], s[22:23]
	s_xor_b64 s[24:25], exec, s[24:25]
; %bb.1081:                             ;   in Loop: Header=BB4_897 Depth=2
	v_cmp_lt_u64_e64 s[22:23], s[48:49], v[10:11]
	v_add_u32_e32 v5, 7, v15
	v_cndmask_b32_e64 v6, 0, 1, s[22:23]
	v_cndmask_b32_e64 v5, v14, v5, s[22:23]
	v_lshrrev_b64 v[10:11], v6, v[10:11]
; %bb.1082:                             ;   in Loop: Header=BB4_897 Depth=2
	s_andn2_saveexec_b64 s[22:23], s[24:25]
; %bb.1083:                             ;   in Loop: Header=BB4_897 Depth=2
	v_bfe_u32 v5, v10, 23, 1
; %bb.1084:                             ;   in Loop: Header=BB4_897 Depth=2
	s_or_b64 exec, exec, s[22:23]
	v_lshrrev_b64 v[6:7], 20, v[10:11]
	v_cmp_gt_i32_e64 s[22:23], 16, v5
	v_cndmask_b32_e64 v7, 0, v7, s[22:23]
	v_cndmask_b32_e64 v6, 7, v6, s[22:23]
	v_cmp_eq_u32_e64 s[22:23], 0, v5
	v_min_i32_e32 v5, 15, v5
	v_lshlrev_b32_e32 v5, 3, v5
	v_cmp_eq_u64_e64 s[24:25], 0, v[6:7]
	v_and_b32_e32 v5, 0xf8, v5
	v_and_or_b32 v5, v6, 7, v5
	s_and_b64 s[22:23], s[22:23], s[24:25]
	v_cndmask_b32_e64 v5, v5, 0, s[22:23]
	v_or_b32_e32 v15, v5, v4
.LBB4_1085:                             ;   in Loop: Header=BB4_897 Depth=2
	s_or_b64 exec, exec, s[64:65]
.LBB4_1086:                             ;   in Loop: Header=BB4_897 Depth=2
	s_or_b64 exec, exec, s[62:63]
                                        ; implicit-def: $vgpr5
.LBB4_1087:                             ;   in Loop: Header=BB4_897 Depth=2
	s_andn2_saveexec_b64 s[24:25], s[60:61]
; %bb.1088:                             ;   in Loop: Header=BB4_897 Depth=2
	v_or_b32_sdwa v4, v5, s76 dst_sel:DWORD dst_unused:UNUSED_PAD src0_sel:BYTE_3 src1_sel:DWORD
	v_cmp_eq_u64_e64 s[22:23], 0, v[56:57]
	v_cndmask_b32_e64 v15, v4, v15, s[22:23]
; %bb.1089:                             ;   in Loop: Header=BB4_897 Depth=2
	s_or_b64 exec, exec, s[24:25]
	v_cmp_ne_u16_sdwa s[22:23], v16, v57 src0_sel:BYTE_0 src1_sel:DWORD
	v_mov_b32_e32 v4, 0
	v_mov_b32_e32 v5, 0
	s_and_saveexec_b64 s[24:25], s[22:23]
	s_cbranch_execz .LBB4_1095
; %bb.1090:                             ;   in Loop: Header=BB4_897 Depth=2
	v_cmp_ne_u16_sdwa s[22:23], v16, s75 src0_sel:BYTE_0 src1_sel:DWORD
	v_bfrev_b32_e32 v5, 1
	s_and_saveexec_b64 s[60:61], s[22:23]
	s_cbranch_execz .LBB4_1094
; %bb.1091:                             ;   in Loop: Header=BB4_897 Depth=2
	v_and_b32_e32 v10, 0x7f, v16
	v_cmp_ne_u32_e64 s[22:23], s76, v10
	v_mov_b32_e32 v5, 0x7f800001
	s_and_saveexec_b64 s[62:63], s[22:23]
	s_cbranch_execz .LBB4_1093
; %bb.1092:                             ;   in Loop: Header=BB4_897 Depth=2
	v_and_b32_e32 v5, 7, v16
	v_ffbh_u32_e32 v5, v5
	v_min_u32_e32 v5, 32, v5
	v_lshrrev_b32_e32 v6, 3, v10
	v_subrev_u32_e32 v7, 28, v5
	v_sub_u32_e32 v5, 29, v5
	v_cmp_gt_u32_e64 s[22:23], 8, v10
	v_cndmask_b32_e64 v5, v6, v5, s[22:23]
	v_cndmask_b32_e64 v6, 0, v7, s[22:23]
	v_lshlrev_b64 v[6:7], v6, v[16:17]
	v_lshlrev_b32_e32 v6, 20, v6
	v_lshlrev_b32_e32 v7, 24, v16
	v_and_b32_e32 v6, 0x700000, v6
	v_and_b32_e32 v7, 0x80000000, v7
	v_lshl_add_u32 v5, v5, 23, v51
	v_or3_b32 v5, v7, v5, v6
.LBB4_1093:                             ;   in Loop: Header=BB4_897 Depth=2
	s_or_b64 exec, exec, s[62:63]
.LBB4_1094:                             ;   in Loop: Header=BB4_897 Depth=2
	s_or_b64 exec, exec, s[60:61]
.LBB4_1095:                             ;   in Loop: Header=BB4_897 Depth=2
	s_or_b64 exec, exec, s[24:25]
	v_cmp_ne_u16_sdwa s[22:23], v12, v57 src0_sel:BYTE_0 src1_sel:DWORD
	s_and_saveexec_b64 s[24:25], s[22:23]
	s_cbranch_execz .LBB4_1101
; %bb.1096:                             ;   in Loop: Header=BB4_897 Depth=2
	v_cmp_ne_u16_sdwa s[22:23], v12, s75 src0_sel:BYTE_0 src1_sel:DWORD
	v_bfrev_b32_e32 v4, 1
	s_and_saveexec_b64 s[60:61], s[22:23]
	s_cbranch_execz .LBB4_1100
; %bb.1097:                             ;   in Loop: Header=BB4_897 Depth=2
	v_and_b32_e32 v10, 0x7f, v12
	v_cmp_ne_u32_e64 s[22:23], s76, v10
	v_mov_b32_e32 v4, 0x7f800001
	s_and_saveexec_b64 s[62:63], s[22:23]
	s_cbranch_execz .LBB4_1099
; %bb.1098:                             ;   in Loop: Header=BB4_897 Depth=2
	v_and_b32_e32 v4, 7, v12
	v_ffbh_u32_e32 v4, v4
	v_min_u32_e32 v4, 32, v4
	v_lshrrev_b32_e32 v6, 3, v10
	v_subrev_u32_e32 v7, 28, v4
	v_sub_u32_e32 v4, 29, v4
	v_cmp_gt_u32_e64 s[22:23], 8, v10
	v_cndmask_b32_e64 v4, v6, v4, s[22:23]
	v_cndmask_b32_e64 v6, 0, v7, s[22:23]
	v_lshlrev_b64 v[6:7], v6, v[12:13]
	v_lshlrev_b32_e32 v6, 20, v6
	v_lshlrev_b32_e32 v7, 24, v12
	v_and_b32_e32 v6, 0x700000, v6
	v_and_b32_e32 v7, 0x80000000, v7
	v_lshl_add_u32 v4, v4, 23, v51
	v_or3_b32 v4, v7, v4, v6
.LBB4_1099:                             ;   in Loop: Header=BB4_897 Depth=2
	s_or_b64 exec, exec, s[62:63]
.LBB4_1100:                             ;   in Loop: Header=BB4_897 Depth=2
	s_or_b64 exec, exec, s[60:61]
.LBB4_1101:                             ;   in Loop: Header=BB4_897 Depth=2
	s_or_b64 exec, exec, s[24:25]
	v_add_f32_e32 v5, v5, v4
	v_and_b32_sdwa v4, v5, s75 dst_sel:DWORD dst_unused:UNUSED_PAD src0_sel:BYTE_3 src1_sel:DWORD
	v_and_b32_e32 v6, 0x7f800000, v5
	v_mov_b32_e32 v7, v57
	v_and_b32_e32 v56, 0x7fffff, v5
	v_or_b32_e32 v25, 0x7e, v4
	v_cmp_ne_u64_e64 s[22:23], s[42:43], v[6:7]
	s_and_saveexec_b64 s[24:25], s[22:23]
	s_xor_b64 s[60:61], exec, s[24:25]
	s_cbranch_execz .LBB4_1111
; %bb.1102:                             ;   in Loop: Header=BB4_897 Depth=2
	v_and_b32_e32 v6, 0x7fffffff, v5
	v_mov_b32_e32 v7, v57
	v_cmp_gt_u64_e64 s[22:23], s[44:45], v[6:7]
	s_and_saveexec_b64 s[62:63], s[22:23]
	s_cbranch_execz .LBB4_1110
; %bb.1103:                             ;   in Loop: Header=BB4_897 Depth=2
	v_cmp_ne_u32_e64 s[22:23], 0, v5
	v_mov_b32_e32 v25, 0
	s_and_saveexec_b64 s[64:65], s[22:23]
	s_cbranch_execz .LBB4_1109
; %bb.1104:                             ;   in Loop: Header=BB4_897 Depth=2
	v_bfe_u32 v5, v5, 23, 8
	v_sub_u32_e32 v7, 0x79, v5
	v_cmp_gt_u32_e64 s[22:23], s77, v5
	v_add_u32_e32 v6, 0xffffff81, v5
	v_cndmask_b32_e64 v7, 0, v7, s[22:23]
	v_cmp_eq_u32_e64 s[22:23], 0, v5
	v_mov_b32_e32 v5, 0xffffff82
	v_cndmask_b32_e64 v5, v6, v5, s[22:23]
	v_mov_b32_e32 v6, 0x78
	v_or_b32_e32 v8, 0x800000, v56
	v_cndmask_b32_e64 v14, v7, v6, s[22:23]
	v_cndmask_b32_e64 v56, v8, v56, s[22:23]
	v_add_u32_e32 v6, 20, v14
	v_lshlrev_b64 v[6:7], v6, -1
	v_lshrrev_b64 v[10:11], v14, v[56:57]
	v_not_b32_e32 v7, v7
	v_not_b32_e32 v6, v6
	v_add_u32_e32 v8, 19, v14
	v_lshrrev_b32_e32 v25, 23, v10
	v_and_b32_e32 v7, 0, v7
	v_and_b32_e32 v6, v56, v6
	v_lshlrev_b64 v[8:9], v8, 1
	v_add3_u32 v25, v14, v5, v25
	v_bfe_u32 v5, v10, 20, 1
	v_add_u32_e32 v5, -1, v5
	v_cmp_eq_u64_e64 s[22:23], v[6:7], v[8:9]
	v_cndmask_b32_e64 v5, 0, v5, s[22:23]
	v_add_u32_e32 v5, v5, v10
	v_and_b32_e32 v5, 0xfffff, v5
	v_add_co_u32_e64 v10, s[22:23], v5, v10
	v_add_u32_e32 v14, 6, v25
	v_addc_co_u32_e64 v11, s[22:23], 0, v11, s[22:23]
	v_cmp_ne_u32_e64 s[22:23], 0, v14
                                        ; implicit-def: $vgpr5
	s_and_saveexec_b64 s[24:25], s[22:23]
	s_xor_b64 s[24:25], exec, s[24:25]
; %bb.1105:                             ;   in Loop: Header=BB4_897 Depth=2
	v_cmp_lt_u64_e64 s[22:23], s[48:49], v[10:11]
	v_add_u32_e32 v5, 7, v25
	v_cndmask_b32_e64 v6, 0, 1, s[22:23]
	v_cndmask_b32_e64 v5, v14, v5, s[22:23]
	v_lshrrev_b64 v[10:11], v6, v[10:11]
; %bb.1106:                             ;   in Loop: Header=BB4_897 Depth=2
	s_andn2_saveexec_b64 s[22:23], s[24:25]
; %bb.1107:                             ;   in Loop: Header=BB4_897 Depth=2
	v_bfe_u32 v5, v10, 23, 1
; %bb.1108:                             ;   in Loop: Header=BB4_897 Depth=2
	s_or_b64 exec, exec, s[22:23]
	v_lshrrev_b64 v[6:7], 20, v[10:11]
	v_cmp_gt_i32_e64 s[22:23], 16, v5
	v_cndmask_b32_e64 v7, 0, v7, s[22:23]
	v_cndmask_b32_e64 v6, 7, v6, s[22:23]
	v_cmp_eq_u32_e64 s[22:23], 0, v5
	v_min_i32_e32 v5, 15, v5
	v_cmp_eq_u64_e64 s[24:25], 0, v[6:7]
	v_lshlrev_b32_e32 v5, 3, v5
	v_and_or_b32 v5, v6, 7, v5
	s_and_b64 s[22:23], s[22:23], s[24:25]
	v_cndmask_b32_e64 v5, v5, 0, s[22:23]
	v_or_b32_e32 v25, v5, v4
.LBB4_1109:                             ;   in Loop: Header=BB4_897 Depth=2
	s_or_b64 exec, exec, s[64:65]
.LBB4_1110:                             ;   in Loop: Header=BB4_897 Depth=2
	s_or_b64 exec, exec, s[62:63]
                                        ; implicit-def: $vgpr5
.LBB4_1111:                             ;   in Loop: Header=BB4_897 Depth=2
	s_andn2_saveexec_b64 s[24:25], s[60:61]
; %bb.1112:                             ;   in Loop: Header=BB4_897 Depth=2
	v_or_b32_sdwa v4, v5, s76 dst_sel:DWORD dst_unused:UNUSED_PAD src0_sel:BYTE_3 src1_sel:DWORD
	v_cmp_eq_u64_e64 s[22:23], 0, v[56:57]
	v_cndmask_b32_e64 v25, v4, v25, s[22:23]
; %bb.1113:                             ;   in Loop: Header=BB4_897 Depth=2
	s_or_b64 exec, exec, s[24:25]
	v_lshrrev_b16_e32 v10, 8, v16
	v_cmp_ne_u16_e64 s[22:23], 0, v10
	v_mov_b32_e32 v4, 0
	v_mov_b32_e32 v5, 0
	s_and_saveexec_b64 s[24:25], s[22:23]
	s_cbranch_execz .LBB4_1119
; %bb.1114:                             ;   in Loop: Header=BB4_897 Depth=2
	v_cmp_ne_u16_e64 s[22:23], s75, v10
	v_bfrev_b32_e32 v5, 1
	s_and_saveexec_b64 s[60:61], s[22:23]
	s_cbranch_execz .LBB4_1118
; %bb.1115:                             ;   in Loop: Header=BB4_897 Depth=2
	v_and_b32_e32 v11, 0x7f, v10
	v_cmp_ne_u32_e64 s[22:23], s76, v11
	v_mov_b32_e32 v5, 0x7f800001
	s_and_saveexec_b64 s[62:63], s[22:23]
	s_cbranch_execz .LBB4_1117
; %bb.1116:                             ;   in Loop: Header=BB4_897 Depth=2
	v_and_b32_e32 v5, 7, v10
	v_ffbh_u32_e32 v6, v5
	v_min_u32_e32 v9, 32, v6
	v_subrev_u32_e32 v6, 28, v9
	v_lshlrev_b64 v[6:7], v6, v[10:11]
	v_lshrrev_b32_e32 v8, 3, v11
	v_sub_u32_e32 v7, 29, v9
	v_and_b32_e32 v6, 7, v6
	v_cmp_gt_u32_e64 s[22:23], 8, v11
	v_cndmask_b32_e64 v7, v8, v7, s[22:23]
	v_cndmask_b32_e64 v5, v5, v6, s[22:23]
	v_lshlrev_b32_e32 v6, 16, v16
	v_lshlrev_b32_e32 v5, 20, v5
	v_and_b32_e32 v6, 0x80000000, v6
	v_lshl_add_u32 v7, v7, 23, v51
	v_or3_b32 v5, v6, v7, v5
.LBB4_1117:                             ;   in Loop: Header=BB4_897 Depth=2
	s_or_b64 exec, exec, s[62:63]
.LBB4_1118:                             ;   in Loop: Header=BB4_897 Depth=2
	s_or_b64 exec, exec, s[60:61]
.LBB4_1119:                             ;   in Loop: Header=BB4_897 Depth=2
	s_or_b64 exec, exec, s[24:25]
	v_lshrrev_b16_e32 v10, 8, v12
	v_cmp_ne_u16_e64 s[22:23], 0, v10
	s_and_saveexec_b64 s[24:25], s[22:23]
	s_cbranch_execz .LBB4_1125
; %bb.1120:                             ;   in Loop: Header=BB4_897 Depth=2
	v_cmp_ne_u16_e64 s[22:23], s75, v10
	v_bfrev_b32_e32 v4, 1
	s_and_saveexec_b64 s[60:61], s[22:23]
	s_cbranch_execz .LBB4_1124
; %bb.1121:                             ;   in Loop: Header=BB4_897 Depth=2
	v_and_b32_e32 v11, 0x7f, v10
	v_cmp_ne_u32_e64 s[22:23], s76, v11
	v_mov_b32_e32 v4, 0x7f800001
	s_and_saveexec_b64 s[62:63], s[22:23]
	s_cbranch_execz .LBB4_1123
; %bb.1122:                             ;   in Loop: Header=BB4_897 Depth=2
	v_and_b32_e32 v4, 7, v10
	v_ffbh_u32_e32 v6, v4
	v_min_u32_e32 v9, 32, v6
	v_subrev_u32_e32 v6, 28, v9
	v_lshlrev_b64 v[6:7], v6, v[10:11]
	v_lshrrev_b32_e32 v8, 3, v11
	v_sub_u32_e32 v7, 29, v9
	v_and_b32_e32 v6, 7, v6
	v_cmp_gt_u32_e64 s[22:23], 8, v11
	v_cndmask_b32_e64 v7, v8, v7, s[22:23]
	v_cndmask_b32_e64 v4, v4, v6, s[22:23]
	v_lshlrev_b32_e32 v6, 16, v12
	v_lshlrev_b32_e32 v4, 20, v4
	v_and_b32_e32 v6, 0x80000000, v6
	v_lshl_add_u32 v7, v7, 23, v51
	v_or3_b32 v4, v6, v7, v4
.LBB4_1123:                             ;   in Loop: Header=BB4_897 Depth=2
	s_or_b64 exec, exec, s[62:63]
.LBB4_1124:                             ;   in Loop: Header=BB4_897 Depth=2
	s_or_b64 exec, exec, s[60:61]
.LBB4_1125:                             ;   in Loop: Header=BB4_897 Depth=2
	s_or_b64 exec, exec, s[24:25]
	v_add_f32_e32 v5, v5, v4
	v_and_b32_sdwa v4, v5, s75 dst_sel:DWORD dst_unused:UNUSED_PAD src0_sel:BYTE_3 src1_sel:DWORD
	v_and_b32_e32 v6, 0x7f800000, v5
	v_mov_b32_e32 v7, v57
	v_and_b32_e32 v56, 0x7fffff, v5
	v_or_b32_e32 v26, 0x7e, v4
	v_cmp_ne_u64_e64 s[22:23], s[42:43], v[6:7]
	s_and_saveexec_b64 s[24:25], s[22:23]
	s_xor_b64 s[60:61], exec, s[24:25]
	s_cbranch_execz .LBB4_1135
; %bb.1126:                             ;   in Loop: Header=BB4_897 Depth=2
	v_and_b32_e32 v6, 0x7fffffff, v5
	v_mov_b32_e32 v7, v57
	v_cmp_gt_u64_e64 s[22:23], s[44:45], v[6:7]
	s_and_saveexec_b64 s[62:63], s[22:23]
	s_cbranch_execz .LBB4_1134
; %bb.1127:                             ;   in Loop: Header=BB4_897 Depth=2
	v_cmp_ne_u32_e64 s[22:23], 0, v5
	v_mov_b32_e32 v26, 0
	s_and_saveexec_b64 s[64:65], s[22:23]
	s_cbranch_execz .LBB4_1133
; %bb.1128:                             ;   in Loop: Header=BB4_897 Depth=2
	v_bfe_u32 v5, v5, 23, 8
	v_sub_u32_e32 v7, 0x79, v5
	v_cmp_gt_u32_e64 s[22:23], s77, v5
	v_add_u32_e32 v6, 0xffffff81, v5
	v_cndmask_b32_e64 v7, 0, v7, s[22:23]
	v_cmp_eq_u32_e64 s[22:23], 0, v5
	v_mov_b32_e32 v5, 0xffffff82
	v_cndmask_b32_e64 v5, v6, v5, s[22:23]
	v_mov_b32_e32 v6, 0x78
	v_or_b32_e32 v8, 0x800000, v56
	v_cndmask_b32_e64 v14, v7, v6, s[22:23]
	v_cndmask_b32_e64 v56, v8, v56, s[22:23]
	v_add_u32_e32 v6, 20, v14
	v_lshlrev_b64 v[6:7], v6, -1
	v_lshrrev_b64 v[10:11], v14, v[56:57]
	v_not_b32_e32 v7, v7
	v_not_b32_e32 v6, v6
	v_add_u32_e32 v8, 19, v14
	v_lshrrev_b32_e32 v26, 23, v10
	v_and_b32_e32 v7, 0, v7
	v_and_b32_e32 v6, v56, v6
	v_lshlrev_b64 v[8:9], v8, 1
	v_add3_u32 v26, v14, v5, v26
	v_bfe_u32 v5, v10, 20, 1
	v_add_u32_e32 v5, -1, v5
	v_cmp_eq_u64_e64 s[22:23], v[6:7], v[8:9]
	v_cndmask_b32_e64 v5, 0, v5, s[22:23]
	v_add_u32_e32 v5, v5, v10
	v_and_b32_e32 v5, 0xfffff, v5
	v_add_co_u32_e64 v10, s[22:23], v5, v10
	v_add_u32_e32 v14, 6, v26
	v_addc_co_u32_e64 v11, s[22:23], 0, v11, s[22:23]
	v_cmp_ne_u32_e64 s[22:23], 0, v14
                                        ; implicit-def: $vgpr5
	s_and_saveexec_b64 s[24:25], s[22:23]
	s_xor_b64 s[24:25], exec, s[24:25]
; %bb.1129:                             ;   in Loop: Header=BB4_897 Depth=2
	v_cmp_lt_u64_e64 s[22:23], s[48:49], v[10:11]
	v_add_u32_e32 v5, 7, v26
	v_cndmask_b32_e64 v6, 0, 1, s[22:23]
	v_cndmask_b32_e64 v5, v14, v5, s[22:23]
	v_lshrrev_b64 v[10:11], v6, v[10:11]
; %bb.1130:                             ;   in Loop: Header=BB4_897 Depth=2
	s_andn2_saveexec_b64 s[22:23], s[24:25]
; %bb.1131:                             ;   in Loop: Header=BB4_897 Depth=2
	v_bfe_u32 v5, v10, 23, 1
; %bb.1132:                             ;   in Loop: Header=BB4_897 Depth=2
	s_or_b64 exec, exec, s[22:23]
	v_lshrrev_b64 v[6:7], 20, v[10:11]
	v_cmp_gt_i32_e64 s[22:23], 16, v5
	v_cndmask_b32_e64 v7, 0, v7, s[22:23]
	v_cndmask_b32_e64 v6, 7, v6, s[22:23]
	v_cmp_eq_u32_e64 s[22:23], 0, v5
	v_min_i32_e32 v5, 15, v5
	v_cmp_eq_u64_e64 s[24:25], 0, v[6:7]
	v_lshlrev_b32_e32 v5, 3, v5
	v_and_or_b32 v5, v6, 7, v5
	s_and_b64 s[22:23], s[22:23], s[24:25]
	v_cndmask_b32_e64 v5, v5, 0, s[22:23]
	v_or_b32_e32 v26, v5, v4
.LBB4_1133:                             ;   in Loop: Header=BB4_897 Depth=2
	s_or_b64 exec, exec, s[64:65]
.LBB4_1134:                             ;   in Loop: Header=BB4_897 Depth=2
	s_or_b64 exec, exec, s[62:63]
                                        ; implicit-def: $vgpr5
.LBB4_1135:                             ;   in Loop: Header=BB4_897 Depth=2
	s_andn2_saveexec_b64 s[24:25], s[60:61]
; %bb.1136:                             ;   in Loop: Header=BB4_897 Depth=2
	v_or_b32_sdwa v4, v5, s76 dst_sel:DWORD dst_unused:UNUSED_PAD src0_sel:BYTE_3 src1_sel:DWORD
	v_cmp_eq_u64_e64 s[22:23], 0, v[56:57]
	v_cndmask_b32_e64 v26, v4, v26, s[22:23]
; %bb.1137:                             ;   in Loop: Header=BB4_897 Depth=2
	s_or_b64 exec, exec, s[24:25]
	v_lshrrev_b32_e32 v10, 16, v16
	v_cmp_ne_u16_sdwa s[22:23], v10, v57 src0_sel:BYTE_0 src1_sel:DWORD
	v_mov_b32_e32 v4, 0
	v_mov_b32_e32 v5, 0
	s_and_saveexec_b64 s[24:25], s[22:23]
	s_cbranch_execz .LBB4_1143
; %bb.1138:                             ;   in Loop: Header=BB4_897 Depth=2
	v_cmp_ne_u16_sdwa s[22:23], v10, s75 src0_sel:BYTE_0 src1_sel:DWORD
	v_bfrev_b32_e32 v5, 1
	s_and_saveexec_b64 s[60:61], s[22:23]
	s_cbranch_execz .LBB4_1142
; %bb.1139:                             ;   in Loop: Header=BB4_897 Depth=2
	v_bfe_u32 v11, v16, 16, 7
	v_cmp_ne_u32_e64 s[22:23], s76, v11
	v_mov_b32_e32 v5, 0x7f800001
	s_and_saveexec_b64 s[62:63], s[22:23]
	s_cbranch_execz .LBB4_1141
; %bb.1140:                             ;   in Loop: Header=BB4_897 Depth=2
	v_and_b32_e32 v5, 7, v10
	v_ffbh_u32_e32 v6, v5
	v_min_u32_e32 v9, 32, v6
	v_subrev_u32_e32 v6, 28, v9
	v_lshlrev_b64 v[6:7], v6, v[10:11]
	v_lshrrev_b32_e32 v8, 3, v11
	v_sub_u32_e32 v7, 29, v9
	v_and_b32_e32 v6, 7, v6
	v_cmp_gt_u32_e64 s[22:23], 8, v11
	v_cndmask_b32_e64 v7, v8, v7, s[22:23]
	v_cndmask_b32_e64 v5, v5, v6, s[22:23]
	v_lshlrev_b32_e32 v6, 24, v10
	v_lshlrev_b32_e32 v5, 20, v5
	v_and_b32_e32 v6, 0x80000000, v6
	v_lshl_add_u32 v7, v7, 23, v51
	v_or3_b32 v5, v6, v7, v5
.LBB4_1141:                             ;   in Loop: Header=BB4_897 Depth=2
	s_or_b64 exec, exec, s[62:63]
.LBB4_1142:                             ;   in Loop: Header=BB4_897 Depth=2
	s_or_b64 exec, exec, s[60:61]
.LBB4_1143:                             ;   in Loop: Header=BB4_897 Depth=2
	s_or_b64 exec, exec, s[24:25]
	v_lshrrev_b32_e32 v10, 16, v12
	v_cmp_ne_u16_sdwa s[22:23], v10, v57 src0_sel:BYTE_0 src1_sel:DWORD
	s_and_saveexec_b64 s[24:25], s[22:23]
	s_cbranch_execz .LBB4_1149
; %bb.1144:                             ;   in Loop: Header=BB4_897 Depth=2
	v_cmp_ne_u16_sdwa s[22:23], v10, s75 src0_sel:BYTE_0 src1_sel:DWORD
	v_bfrev_b32_e32 v4, 1
	s_and_saveexec_b64 s[60:61], s[22:23]
	s_cbranch_execz .LBB4_1148
; %bb.1145:                             ;   in Loop: Header=BB4_897 Depth=2
	v_bfe_u32 v11, v12, 16, 7
	v_cmp_ne_u32_e64 s[22:23], s76, v11
	v_mov_b32_e32 v4, 0x7f800001
	s_and_saveexec_b64 s[62:63], s[22:23]
	s_cbranch_execz .LBB4_1147
; %bb.1146:                             ;   in Loop: Header=BB4_897 Depth=2
	v_and_b32_e32 v4, 7, v10
	v_ffbh_u32_e32 v6, v4
	v_min_u32_e32 v9, 32, v6
	v_subrev_u32_e32 v6, 28, v9
	v_lshlrev_b64 v[6:7], v6, v[10:11]
	v_lshrrev_b32_e32 v8, 3, v11
	v_sub_u32_e32 v7, 29, v9
	v_and_b32_e32 v6, 7, v6
	v_cmp_gt_u32_e64 s[22:23], 8, v11
	v_cndmask_b32_e64 v7, v8, v7, s[22:23]
	v_cndmask_b32_e64 v4, v4, v6, s[22:23]
	v_lshlrev_b32_e32 v6, 8, v12
	v_lshlrev_b32_e32 v4, 20, v4
	v_and_b32_e32 v6, 0x80000000, v6
	v_lshl_add_u32 v7, v7, 23, v51
	v_or3_b32 v4, v6, v7, v4
.LBB4_1147:                             ;   in Loop: Header=BB4_897 Depth=2
	s_or_b64 exec, exec, s[62:63]
.LBB4_1148:                             ;   in Loop: Header=BB4_897 Depth=2
	s_or_b64 exec, exec, s[60:61]
.LBB4_1149:                             ;   in Loop: Header=BB4_897 Depth=2
	s_or_b64 exec, exec, s[24:25]
	v_add_f32_e32 v5, v5, v4
	v_and_b32_sdwa v4, v5, s75 dst_sel:DWORD dst_unused:UNUSED_PAD src0_sel:BYTE_3 src1_sel:DWORD
	v_and_b32_e32 v6, 0x7f800000, v5
	v_mov_b32_e32 v7, v57
	v_and_b32_e32 v56, 0x7fffff, v5
	v_or_b32_e32 v27, 0x7e, v4
	v_cmp_ne_u64_e64 s[22:23], s[42:43], v[6:7]
	s_and_saveexec_b64 s[24:25], s[22:23]
	s_xor_b64 s[60:61], exec, s[24:25]
	s_cbranch_execz .LBB4_1159
; %bb.1150:                             ;   in Loop: Header=BB4_897 Depth=2
	v_and_b32_e32 v6, 0x7fffffff, v5
	v_mov_b32_e32 v7, v57
	v_cmp_gt_u64_e64 s[22:23], s[44:45], v[6:7]
	s_and_saveexec_b64 s[62:63], s[22:23]
	s_cbranch_execz .LBB4_1158
; %bb.1151:                             ;   in Loop: Header=BB4_897 Depth=2
	v_cmp_ne_u32_e64 s[22:23], 0, v5
	v_mov_b32_e32 v27, 0
	s_and_saveexec_b64 s[64:65], s[22:23]
	s_cbranch_execz .LBB4_1157
; %bb.1152:                             ;   in Loop: Header=BB4_897 Depth=2
	v_bfe_u32 v5, v5, 23, 8
	v_sub_u32_e32 v7, 0x79, v5
	v_cmp_gt_u32_e64 s[22:23], s77, v5
	v_add_u32_e32 v6, 0xffffff81, v5
	v_cndmask_b32_e64 v7, 0, v7, s[22:23]
	v_cmp_eq_u32_e64 s[22:23], 0, v5
	v_mov_b32_e32 v5, 0xffffff82
	v_cndmask_b32_e64 v5, v6, v5, s[22:23]
	v_mov_b32_e32 v6, 0x78
	v_or_b32_e32 v8, 0x800000, v56
	v_cndmask_b32_e64 v14, v7, v6, s[22:23]
	v_cndmask_b32_e64 v56, v8, v56, s[22:23]
	v_add_u32_e32 v6, 20, v14
	v_lshlrev_b64 v[6:7], v6, -1
	v_lshrrev_b64 v[10:11], v14, v[56:57]
	v_not_b32_e32 v7, v7
	v_not_b32_e32 v6, v6
	v_add_u32_e32 v8, 19, v14
	v_lshrrev_b32_e32 v27, 23, v10
	v_and_b32_e32 v7, 0, v7
	v_and_b32_e32 v6, v56, v6
	v_lshlrev_b64 v[8:9], v8, 1
	v_add3_u32 v27, v14, v5, v27
	v_bfe_u32 v5, v10, 20, 1
	v_add_u32_e32 v5, -1, v5
	v_cmp_eq_u64_e64 s[22:23], v[6:7], v[8:9]
	v_cndmask_b32_e64 v5, 0, v5, s[22:23]
	v_add_u32_e32 v5, v5, v10
	v_and_b32_e32 v5, 0xfffff, v5
	v_add_co_u32_e64 v10, s[22:23], v5, v10
	v_add_u32_e32 v14, 6, v27
	v_addc_co_u32_e64 v11, s[22:23], 0, v11, s[22:23]
	v_cmp_ne_u32_e64 s[22:23], 0, v14
                                        ; implicit-def: $vgpr5
	s_and_saveexec_b64 s[24:25], s[22:23]
	s_xor_b64 s[24:25], exec, s[24:25]
; %bb.1153:                             ;   in Loop: Header=BB4_897 Depth=2
	v_cmp_lt_u64_e64 s[22:23], s[48:49], v[10:11]
	v_add_u32_e32 v5, 7, v27
	v_cndmask_b32_e64 v6, 0, 1, s[22:23]
	v_cndmask_b32_e64 v5, v14, v5, s[22:23]
	v_lshrrev_b64 v[10:11], v6, v[10:11]
; %bb.1154:                             ;   in Loop: Header=BB4_897 Depth=2
	s_andn2_saveexec_b64 s[22:23], s[24:25]
; %bb.1155:                             ;   in Loop: Header=BB4_897 Depth=2
	v_bfe_u32 v5, v10, 23, 1
; %bb.1156:                             ;   in Loop: Header=BB4_897 Depth=2
	s_or_b64 exec, exec, s[22:23]
	v_lshrrev_b64 v[6:7], 20, v[10:11]
	v_cmp_gt_i32_e64 s[22:23], 16, v5
	v_cndmask_b32_e64 v7, 0, v7, s[22:23]
	v_cndmask_b32_e64 v6, 7, v6, s[22:23]
	v_cmp_eq_u32_e64 s[22:23], 0, v5
	v_min_i32_e32 v5, 15, v5
	v_cmp_eq_u64_e64 s[24:25], 0, v[6:7]
	v_lshlrev_b32_e32 v5, 3, v5
	v_and_or_b32 v5, v6, 7, v5
	s_and_b64 s[22:23], s[22:23], s[24:25]
	v_cndmask_b32_e64 v5, v5, 0, s[22:23]
	v_or_b32_e32 v27, v5, v4
.LBB4_1157:                             ;   in Loop: Header=BB4_897 Depth=2
	s_or_b64 exec, exec, s[64:65]
.LBB4_1158:                             ;   in Loop: Header=BB4_897 Depth=2
	s_or_b64 exec, exec, s[62:63]
                                        ; implicit-def: $vgpr5
.LBB4_1159:                             ;   in Loop: Header=BB4_897 Depth=2
	s_andn2_saveexec_b64 s[24:25], s[60:61]
; %bb.1160:                             ;   in Loop: Header=BB4_897 Depth=2
	v_or_b32_sdwa v4, v5, s76 dst_sel:DWORD dst_unused:UNUSED_PAD src0_sel:BYTE_3 src1_sel:DWORD
	v_cmp_eq_u64_e64 s[22:23], 0, v[56:57]
	v_cndmask_b32_e64 v27, v4, v27, s[22:23]
; %bb.1161:                             ;   in Loop: Header=BB4_897 Depth=2
	s_or_b64 exec, exec, s[24:25]
	v_cmp_lt_u32_e64 s[22:23], s47, v16
	v_mov_b32_e32 v4, 0
	v_mov_b32_e32 v5, 0
	s_and_saveexec_b64 s[24:25], s[22:23]
	s_cbranch_execz .LBB4_1167
; %bb.1162:                             ;   in Loop: Header=BB4_897 Depth=2
	v_lshrrev_b32_e32 v10, 24, v16
	v_cmp_ne_u32_e64 s[22:23], s75, v10
	v_bfrev_b32_e32 v5, 1
	s_and_saveexec_b64 s[60:61], s[22:23]
	s_cbranch_execz .LBB4_1166
; %bb.1163:                             ;   in Loop: Header=BB4_897 Depth=2
	v_bfe_u32 v11, v16, 24, 7
	v_cmp_ne_u32_e64 s[22:23], s76, v11
	v_mov_b32_e32 v5, 0x7f800001
	s_and_saveexec_b64 s[62:63], s[22:23]
	s_cbranch_execz .LBB4_1165
; %bb.1164:                             ;   in Loop: Header=BB4_897 Depth=2
	v_and_b32_e32 v5, 7, v10
	v_ffbh_u32_e32 v6, v5
	v_min_u32_e32 v9, 32, v6
	v_subrev_u32_e32 v6, 28, v9
	v_lshlrev_b64 v[6:7], v6, v[10:11]
	v_lshrrev_b32_e32 v8, 3, v11
	v_sub_u32_e32 v7, 29, v9
	v_and_b32_e32 v6, 7, v6
	v_cmp_gt_u32_e64 s[22:23], 8, v11
	v_cndmask_b32_e64 v7, v8, v7, s[22:23]
	v_cndmask_b32_e64 v5, v5, v6, s[22:23]
	v_lshlrev_b32_e32 v6, 24, v10
	v_lshlrev_b32_e32 v5, 20, v5
	v_and_b32_e32 v6, 0x80000000, v6
	v_lshl_add_u32 v7, v7, 23, v51
	v_or3_b32 v5, v6, v7, v5
.LBB4_1165:                             ;   in Loop: Header=BB4_897 Depth=2
	s_or_b64 exec, exec, s[62:63]
.LBB4_1166:                             ;   in Loop: Header=BB4_897 Depth=2
	s_or_b64 exec, exec, s[60:61]
.LBB4_1167:                             ;   in Loop: Header=BB4_897 Depth=2
	s_or_b64 exec, exec, s[24:25]
	v_cmp_lt_u32_e64 s[22:23], s47, v12
	s_and_saveexec_b64 s[24:25], s[22:23]
	s_cbranch_execz .LBB4_1173
; %bb.1168:                             ;   in Loop: Header=BB4_897 Depth=2
	v_lshrrev_b32_e32 v10, 24, v12
	v_cmp_ne_u32_e64 s[22:23], s75, v10
	v_bfrev_b32_e32 v4, 1
	s_and_saveexec_b64 s[60:61], s[22:23]
	s_cbranch_execz .LBB4_1172
; %bb.1169:                             ;   in Loop: Header=BB4_897 Depth=2
	v_bfe_u32 v11, v12, 24, 7
	v_cmp_ne_u32_e64 s[22:23], s76, v11
	v_mov_b32_e32 v4, 0x7f800001
	s_and_saveexec_b64 s[62:63], s[22:23]
	s_cbranch_execz .LBB4_1171
; %bb.1170:                             ;   in Loop: Header=BB4_897 Depth=2
	v_and_b32_e32 v4, 7, v10
	v_ffbh_u32_e32 v6, v4
	v_min_u32_e32 v9, 32, v6
	v_subrev_u32_e32 v6, 28, v9
	v_lshlrev_b64 v[6:7], v6, v[10:11]
	v_lshrrev_b32_e32 v8, 3, v11
	v_sub_u32_e32 v7, 29, v9
	v_and_b32_e32 v6, 7, v6
	v_cmp_gt_u32_e64 s[22:23], 8, v11
	v_cndmask_b32_e64 v7, v8, v7, s[22:23]
	v_cndmask_b32_e64 v4, v4, v6, s[22:23]
	v_lshlrev_b32_e32 v6, 24, v10
	v_lshlrev_b32_e32 v4, 20, v4
	v_and_b32_e32 v6, 0x80000000, v6
	v_lshl_add_u32 v7, v7, 23, v51
	v_or3_b32 v4, v6, v7, v4
.LBB4_1171:                             ;   in Loop: Header=BB4_897 Depth=2
	s_or_b64 exec, exec, s[62:63]
.LBB4_1172:                             ;   in Loop: Header=BB4_897 Depth=2
	s_or_b64 exec, exec, s[60:61]
.LBB4_1173:                             ;   in Loop: Header=BB4_897 Depth=2
	s_or_b64 exec, exec, s[24:25]
	v_add_f32_e32 v10, v5, v4
	v_and_b32_sdwa v5, v10, s75 dst_sel:DWORD dst_unused:UNUSED_PAD src0_sel:BYTE_3 src1_sel:DWORD
	v_and_b32_e32 v6, 0x7f800000, v10
	v_mov_b32_e32 v7, v57
	v_and_b32_e32 v56, 0x7fffff, v10
	v_or_b32_e32 v4, 0x7e, v5
	v_cmp_ne_u64_e64 s[22:23], s[42:43], v[6:7]
	s_and_saveexec_b64 s[24:25], s[22:23]
	s_xor_b64 s[60:61], exec, s[24:25]
	s_cbranch_execz .LBB4_1183
; %bb.1174:                             ;   in Loop: Header=BB4_897 Depth=2
	v_and_b32_e32 v6, 0x7fffffff, v10
	v_mov_b32_e32 v7, v57
	v_cmp_gt_u64_e64 s[22:23], s[44:45], v[6:7]
	s_and_saveexec_b64 s[62:63], s[22:23]
	s_cbranch_execz .LBB4_1182
; %bb.1175:                             ;   in Loop: Header=BB4_897 Depth=2
	v_cmp_ne_u32_e64 s[22:23], 0, v10
	v_mov_b32_e32 v4, 0
	s_and_saveexec_b64 s[64:65], s[22:23]
	s_cbranch_execz .LBB4_1181
; %bb.1176:                             ;   in Loop: Header=BB4_897 Depth=2
	v_bfe_u32 v4, v10, 23, 8
	v_sub_u32_e32 v7, 0x79, v4
	v_cmp_gt_u32_e64 s[22:23], s77, v4
	v_add_u32_e32 v6, 0xffffff81, v4
	v_cndmask_b32_e64 v7, 0, v7, s[22:23]
	v_cmp_eq_u32_e64 s[22:23], 0, v4
	v_mov_b32_e32 v4, 0xffffff82
	v_cndmask_b32_e64 v4, v6, v4, s[22:23]
	v_mov_b32_e32 v6, 0x78
	v_or_b32_e32 v8, 0x800000, v56
	v_cndmask_b32_e64 v14, v7, v6, s[22:23]
	v_cndmask_b32_e64 v56, v8, v56, s[22:23]
	v_add_u32_e32 v6, 20, v14
	v_lshlrev_b64 v[6:7], v6, -1
	v_lshrrev_b64 v[10:11], v14, v[56:57]
	v_not_b32_e32 v7, v7
	v_not_b32_e32 v6, v6
	v_add_u32_e32 v8, 19, v14
	v_lshrrev_b32_e32 v29, 23, v10
	v_and_b32_e32 v7, 0, v7
	v_and_b32_e32 v6, v56, v6
	v_lshlrev_b64 v[8:9], v8, 1
	v_add3_u32 v29, v14, v4, v29
	v_bfe_u32 v4, v10, 20, 1
	v_add_u32_e32 v4, -1, v4
	v_cmp_eq_u64_e64 s[22:23], v[6:7], v[8:9]
	v_cndmask_b32_e64 v4, 0, v4, s[22:23]
	v_add_u32_e32 v4, v4, v10
	v_and_b32_e32 v4, 0xfffff, v4
	v_add_co_u32_e64 v10, s[22:23], v4, v10
	v_add_u32_e32 v14, 6, v29
	v_addc_co_u32_e64 v11, s[22:23], 0, v11, s[22:23]
	v_cmp_ne_u32_e64 s[22:23], 0, v14
                                        ; implicit-def: $vgpr4
	s_and_saveexec_b64 s[24:25], s[22:23]
	s_xor_b64 s[24:25], exec, s[24:25]
; %bb.1177:                             ;   in Loop: Header=BB4_897 Depth=2
	v_cmp_lt_u64_e64 s[22:23], s[48:49], v[10:11]
	v_add_u32_e32 v4, 7, v29
	v_cndmask_b32_e64 v6, 0, 1, s[22:23]
	v_cndmask_b32_e64 v4, v14, v4, s[22:23]
	v_lshrrev_b64 v[10:11], v6, v[10:11]
; %bb.1178:                             ;   in Loop: Header=BB4_897 Depth=2
	s_andn2_saveexec_b64 s[22:23], s[24:25]
; %bb.1179:                             ;   in Loop: Header=BB4_897 Depth=2
	v_bfe_u32 v4, v10, 23, 1
; %bb.1180:                             ;   in Loop: Header=BB4_897 Depth=2
	s_or_b64 exec, exec, s[22:23]
	v_lshrrev_b64 v[6:7], 20, v[10:11]
	v_cmp_gt_i32_e64 s[22:23], 16, v4
	v_cndmask_b32_e64 v7, 0, v7, s[22:23]
	v_cndmask_b32_e64 v6, 7, v6, s[22:23]
	v_cmp_eq_u32_e64 s[22:23], 0, v4
	v_min_i32_e32 v4, 15, v4
	v_cmp_eq_u64_e64 s[24:25], 0, v[6:7]
	v_lshlrev_b32_e32 v4, 3, v4
	v_and_or_b32 v4, v6, 7, v4
	s_and_b64 s[22:23], s[22:23], s[24:25]
	v_cndmask_b32_e64 v4, v4, 0, s[22:23]
	v_or_b32_e32 v4, v4, v5
.LBB4_1181:                             ;   in Loop: Header=BB4_897 Depth=2
	s_or_b64 exec, exec, s[64:65]
.LBB4_1182:                             ;   in Loop: Header=BB4_897 Depth=2
	s_or_b64 exec, exec, s[62:63]
                                        ; implicit-def: $vgpr10
.LBB4_1183:                             ;   in Loop: Header=BB4_897 Depth=2
	s_andn2_saveexec_b64 s[24:25], s[60:61]
; %bb.1184:                             ;   in Loop: Header=BB4_897 Depth=2
	v_or_b32_sdwa v5, v10, s76 dst_sel:DWORD dst_unused:UNUSED_PAD src0_sel:BYTE_3 src1_sel:DWORD
	v_cmp_eq_u64_e64 s[22:23], 0, v[56:57]
	v_cndmask_b32_e64 v4, v5, v4, s[22:23]
; %bb.1185:                             ;   in Loop: Header=BB4_897 Depth=2
	s_or_b64 exec, exec, s[24:25]
	v_mov_b32_e32 v56, v17
	v_cmp_ne_u16_sdwa s[22:23], v17, v57 src0_sel:BYTE_0 src1_sel:DWORD
	v_mov_b32_e32 v10, 0
	v_mov_b32_e32 v5, 0
	s_and_saveexec_b64 s[24:25], s[22:23]
	s_cbranch_execz .LBB4_1191
; %bb.1186:                             ;   in Loop: Header=BB4_897 Depth=2
	v_cmp_ne_u16_sdwa s[22:23], v17, s75 src0_sel:BYTE_0 src1_sel:DWORD
	v_bfrev_b32_e32 v5, 1
	s_and_saveexec_b64 s[60:61], s[22:23]
	s_cbranch_execz .LBB4_1190
; %bb.1187:                             ;   in Loop: Header=BB4_897 Depth=2
	v_and_b32_e32 v11, 0x7f, v17
	v_cmp_ne_u32_e64 s[22:23], s76, v11
	v_mov_b32_e32 v5, 0x7f800001
	s_and_saveexec_b64 s[62:63], s[22:23]
	s_cbranch_execz .LBB4_1189
; %bb.1188:                             ;   in Loop: Header=BB4_897 Depth=2
	v_and_b32_e32 v5, 7, v17
	v_ffbh_u32_e32 v5, v5
	v_min_u32_e32 v5, 32, v5
	v_lshrrev_b32_e32 v6, 3, v11
	v_subrev_u32_e32 v7, 28, v5
	v_sub_u32_e32 v5, 29, v5
	v_cmp_gt_u32_e64 s[22:23], 8, v11
	v_cndmask_b32_e64 v5, v6, v5, s[22:23]
	v_cndmask_b32_e64 v6, 0, v7, s[22:23]
	v_lshlrev_b64 v[6:7], v6, v[56:57]
	v_lshlrev_b32_e32 v6, 20, v6
	v_lshlrev_b32_e32 v7, 24, v56
	v_and_b32_e32 v6, 0x700000, v6
	v_and_b32_e32 v7, 0x80000000, v7
	v_lshl_add_u32 v5, v5, 23, v51
	v_or3_b32 v5, v7, v5, v6
.LBB4_1189:                             ;   in Loop: Header=BB4_897 Depth=2
	s_or_b64 exec, exec, s[62:63]
.LBB4_1190:                             ;   in Loop: Header=BB4_897 Depth=2
	s_or_b64 exec, exec, s[60:61]
.LBB4_1191:                             ;   in Loop: Header=BB4_897 Depth=2
	s_or_b64 exec, exec, s[24:25]
	v_cmp_ne_u16_sdwa s[22:23], v13, v57 src0_sel:BYTE_0 src1_sel:DWORD
	s_and_saveexec_b64 s[24:25], s[22:23]
	s_cbranch_execz .LBB4_1197
; %bb.1192:                             ;   in Loop: Header=BB4_897 Depth=2
	v_cmp_ne_u16_sdwa s[22:23], v13, s75 src0_sel:BYTE_0 src1_sel:DWORD
	v_bfrev_b32_e32 v10, 1
	s_and_saveexec_b64 s[60:61], s[22:23]
	s_cbranch_execz .LBB4_1196
; %bb.1193:                             ;   in Loop: Header=BB4_897 Depth=2
	v_and_b32_e32 v11, 0x7f, v13
	v_cmp_ne_u32_e64 s[22:23], s76, v11
	v_mov_b32_e32 v10, 0x7f800001
	s_and_saveexec_b64 s[62:63], s[22:23]
	s_cbranch_execz .LBB4_1195
; %bb.1194:                             ;   in Loop: Header=BB4_897 Depth=2
	v_and_b32_e32 v8, 7, v13
	v_ffbh_u32_e32 v8, v8
	v_min_u32_e32 v8, 32, v8
	v_lshrrev_b32_e32 v9, 3, v11
	v_subrev_u32_e32 v10, 28, v8
	v_sub_u32_e32 v8, 29, v8
	v_cmp_gt_u32_e64 s[22:23], 8, v11
	v_mov_b32_e32 v6, v13
	v_mov_b32_e32 v7, v57
	v_cndmask_b32_e64 v11, v9, v8, s[22:23]
	v_cndmask_b32_e64 v8, 0, v10, s[22:23]
	v_lshlrev_b64 v[8:9], v8, v[6:7]
	v_lshlrev_b32_e32 v7, 20, v8
	v_lshlrev_b32_e32 v6, 24, v6
	v_and_b32_e32 v7, 0x700000, v7
	v_and_b32_e32 v6, 0x80000000, v6
	v_lshl_add_u32 v8, v11, 23, v51
	v_or3_b32 v10, v6, v8, v7
.LBB4_1195:                             ;   in Loop: Header=BB4_897 Depth=2
	s_or_b64 exec, exec, s[62:63]
.LBB4_1196:                             ;   in Loop: Header=BB4_897 Depth=2
	s_or_b64 exec, exec, s[60:61]
.LBB4_1197:                             ;   in Loop: Header=BB4_897 Depth=2
	s_or_b64 exec, exec, s[24:25]
	v_add_f32_e32 v48, v5, v10
	v_and_b32_sdwa v14, v48, s75 dst_sel:DWORD dst_unused:UNUSED_PAD src0_sel:BYTE_3 src1_sel:DWORD
	v_and_b32_e32 v6, 0x7f800000, v48
	v_mov_b32_e32 v7, v57
	v_and_b32_e32 v10, 0x7fffff, v48
	v_mov_b32_e32 v11, v57
	v_or_b32_e32 v5, 0x7e, v14
	v_cmp_ne_u64_e64 s[22:23], s[42:43], v[6:7]
	s_and_saveexec_b64 s[24:25], s[22:23]
	s_xor_b64 s[60:61], exec, s[24:25]
	s_cbranch_execz .LBB4_1207
; %bb.1198:                             ;   in Loop: Header=BB4_897 Depth=2
	v_and_b32_e32 v6, 0x7fffffff, v48
	v_mov_b32_e32 v7, v57
	v_cmp_gt_u64_e64 s[22:23], s[44:45], v[6:7]
	s_and_saveexec_b64 s[62:63], s[22:23]
	s_cbranch_execz .LBB4_1206
; %bb.1199:                             ;   in Loop: Header=BB4_897 Depth=2
	v_cmp_ne_u32_e64 s[22:23], 0, v48
	v_mov_b32_e32 v5, 0
	s_and_saveexec_b64 s[64:65], s[22:23]
	s_cbranch_execz .LBB4_1205
; %bb.1200:                             ;   in Loop: Header=BB4_897 Depth=2
	v_bfe_u32 v5, v48, 23, 8
	v_sub_u32_e32 v7, 0x79, v5
	v_cmp_gt_u32_e64 s[22:23], s77, v5
	v_add_u32_e32 v6, 0xffffff81, v5
	v_cndmask_b32_e64 v7, 0, v7, s[22:23]
	v_cmp_eq_u32_e64 s[22:23], 0, v5
	v_mov_b32_e32 v5, 0xffffff82
	v_cndmask_b32_e64 v5, v6, v5, s[22:23]
	v_mov_b32_e32 v6, 0x78
	v_cndmask_b32_e64 v29, v7, v6, s[22:23]
	v_add_u32_e32 v6, 20, v29
	v_or_b32_e32 v8, 0x800000, v10
	v_lshlrev_b64 v[6:7], v6, -1
	v_cndmask_b32_e64 v10, v8, v10, s[22:23]
	v_not_b32_e32 v6, v6
	v_and_b32_e32 v6, v10, v6
	v_lshrrev_b64 v[10:11], v29, v[10:11]
	v_not_b32_e32 v7, v7
	v_add_u32_e32 v8, 19, v29
	v_lshrrev_b32_e32 v48, 23, v10
	v_and_b32_e32 v7, 0, v7
	v_lshlrev_b64 v[8:9], v8, 1
	v_add3_u32 v29, v29, v5, v48
	v_bfe_u32 v5, v10, 20, 1
	v_add_u32_e32 v5, -1, v5
	v_cmp_eq_u64_e64 s[22:23], v[6:7], v[8:9]
	v_cndmask_b32_e64 v5, 0, v5, s[22:23]
	v_add_u32_e32 v5, v5, v10
	v_and_b32_e32 v5, 0xfffff, v5
	v_add_co_u32_e64 v10, s[22:23], v5, v10
	v_add_u32_e32 v48, 6, v29
	v_addc_co_u32_e64 v11, s[22:23], 0, v11, s[22:23]
	v_cmp_ne_u32_e64 s[22:23], 0, v48
                                        ; implicit-def: $vgpr5
	s_and_saveexec_b64 s[24:25], s[22:23]
	s_xor_b64 s[24:25], exec, s[24:25]
; %bb.1201:                             ;   in Loop: Header=BB4_897 Depth=2
	v_cmp_lt_u64_e64 s[22:23], s[48:49], v[10:11]
	v_add_u32_e32 v5, 7, v29
	v_cndmask_b32_e64 v6, 0, 1, s[22:23]
	v_cndmask_b32_e64 v5, v48, v5, s[22:23]
	v_lshrrev_b64 v[10:11], v6, v[10:11]
; %bb.1202:                             ;   in Loop: Header=BB4_897 Depth=2
	s_andn2_saveexec_b64 s[22:23], s[24:25]
; %bb.1203:                             ;   in Loop: Header=BB4_897 Depth=2
	v_bfe_u32 v5, v10, 23, 1
; %bb.1204:                             ;   in Loop: Header=BB4_897 Depth=2
	s_or_b64 exec, exec, s[22:23]
	v_lshrrev_b64 v[6:7], 20, v[10:11]
	v_cmp_gt_i32_e64 s[22:23], 16, v5
	v_cndmask_b32_e64 v7, 0, v7, s[22:23]
	v_cndmask_b32_e64 v6, 7, v6, s[22:23]
	v_cmp_eq_u32_e64 s[22:23], 0, v5
	v_min_i32_e32 v5, 15, v5
	v_cmp_eq_u64_e64 s[24:25], 0, v[6:7]
	v_lshlrev_b32_e32 v5, 3, v5
	v_and_or_b32 v5, v6, 7, v5
	s_and_b64 s[22:23], s[22:23], s[24:25]
	v_cndmask_b32_e64 v5, v5, 0, s[22:23]
	v_or_b32_e32 v5, v5, v14
.LBB4_1205:                             ;   in Loop: Header=BB4_897 Depth=2
	s_or_b64 exec, exec, s[64:65]
.LBB4_1206:                             ;   in Loop: Header=BB4_897 Depth=2
	s_or_b64 exec, exec, s[62:63]
                                        ; implicit-def: $vgpr48
                                        ; implicit-def: $vgpr10_vgpr11
.LBB4_1207:                             ;   in Loop: Header=BB4_897 Depth=2
	s_andn2_saveexec_b64 s[24:25], s[60:61]
; %bb.1208:                             ;   in Loop: Header=BB4_897 Depth=2
	v_or_b32_sdwa v6, v48, s76 dst_sel:DWORD dst_unused:UNUSED_PAD src0_sel:BYTE_3 src1_sel:DWORD
	v_cmp_eq_u64_e64 s[22:23], 0, v[10:11]
	v_cndmask_b32_e64 v5, v6, v5, s[22:23]
; %bb.1209:                             ;   in Loop: Header=BB4_897 Depth=2
	s_or_b64 exec, exec, s[24:25]
	v_lshrrev_b16_e32 v10, 8, v56
	v_cmp_ne_u16_e64 s[22:23], 0, v10
	v_mov_b32_e32 v11, 0
	v_mov_b32_e32 v48, 0
	s_and_saveexec_b64 s[24:25], s[22:23]
	s_cbranch_execz .LBB4_1215
; %bb.1210:                             ;   in Loop: Header=BB4_897 Depth=2
	v_cmp_ne_u16_e64 s[22:23], s75, v10
	v_bfrev_b32_e32 v48, 1
	s_and_saveexec_b64 s[60:61], s[22:23]
	s_cbranch_execz .LBB4_1214
; %bb.1211:                             ;   in Loop: Header=BB4_897 Depth=2
	v_and_b32_e32 v14, 0x7f, v10
	v_cmp_ne_u32_e64 s[22:23], s76, v14
	v_mov_b32_e32 v48, 0x7f800001
	s_and_saveexec_b64 s[62:63], s[22:23]
	s_cbranch_execz .LBB4_1213
; %bb.1212:                             ;   in Loop: Header=BB4_897 Depth=2
	v_and_b32_e32 v8, 7, v10
	v_ffbh_u32_e32 v6, v8
	v_min_u32_e32 v29, 32, v6
	v_subrev_u32_e32 v6, 28, v29
	v_lshlrev_b64 v[6:7], v6, v[10:11]
	v_lshrrev_b32_e32 v9, 3, v14
	v_sub_u32_e32 v7, 29, v29
	v_and_b32_e32 v6, 7, v6
	v_cmp_gt_u32_e64 s[22:23], 8, v14
	v_cndmask_b32_e64 v7, v9, v7, s[22:23]
	v_cndmask_b32_e64 v6, v8, v6, s[22:23]
	v_lshlrev_b32_e32 v8, 16, v56
	v_lshlrev_b32_e32 v6, 20, v6
	v_and_b32_e32 v8, 0x80000000, v8
	v_lshl_add_u32 v7, v7, 23, v51
	v_or3_b32 v48, v8, v7, v6
.LBB4_1213:                             ;   in Loop: Header=BB4_897 Depth=2
	s_or_b64 exec, exec, s[62:63]
.LBB4_1214:                             ;   in Loop: Header=BB4_897 Depth=2
	s_or_b64 exec, exec, s[60:61]
.LBB4_1215:                             ;   in Loop: Header=BB4_897 Depth=2
	s_or_b64 exec, exec, s[24:25]
	v_mov_b32_e32 v10, v13
	v_lshrrev_b16_e32 v14, 8, v10
	v_cmp_ne_u16_e64 s[22:23], 0, v14
	s_and_saveexec_b64 s[24:25], s[22:23]
	s_cbranch_execz .LBB4_1221
; %bb.1216:                             ;   in Loop: Header=BB4_897 Depth=2
	v_cmp_ne_u16_e64 s[22:23], s75, v14
	v_bfrev_b32_e32 v11, 1
	s_and_saveexec_b64 s[60:61], s[22:23]
	s_cbranch_execz .LBB4_1220
; %bb.1217:                             ;   in Loop: Header=BB4_897 Depth=2
	v_and_b32_e32 v29, 0x7f, v14
	v_cmp_ne_u32_e64 s[22:23], s76, v29
	v_mov_b32_e32 v11, 0x7f800001
	s_and_saveexec_b64 s[62:63], s[22:23]
	s_cbranch_execz .LBB4_1219
; %bb.1218:                             ;   in Loop: Header=BB4_897 Depth=2
	v_and_b32_e32 v8, 7, v14
	v_ffbh_u32_e32 v6, v8
	v_min_u32_e32 v11, 32, v6
	v_subrev_u32_e32 v6, 28, v11
	v_lshlrev_b64 v[6:7], v6, v[14:15]
	v_lshrrev_b32_e32 v9, 3, v29
	v_sub_u32_e32 v7, 29, v11
	v_and_b32_e32 v6, 7, v6
	v_cmp_gt_u32_e64 s[22:23], 8, v29
	v_cndmask_b32_e64 v7, v9, v7, s[22:23]
	v_cndmask_b32_e64 v6, v8, v6, s[22:23]
	v_lshlrev_b32_e32 v8, 16, v10
	v_lshlrev_b32_e32 v6, 20, v6
	v_and_b32_e32 v8, 0x80000000, v8
	v_lshl_add_u32 v7, v7, 23, v51
	v_or3_b32 v11, v8, v7, v6
.LBB4_1219:                             ;   in Loop: Header=BB4_897 Depth=2
	s_or_b64 exec, exec, s[62:63]
.LBB4_1220:                             ;   in Loop: Header=BB4_897 Depth=2
	s_or_b64 exec, exec, s[60:61]
.LBB4_1221:                             ;   in Loop: Header=BB4_897 Depth=2
	s_or_b64 exec, exec, s[24:25]
	v_add_f32_e32 v10, v48, v11
	v_and_b32_sdwa v48, v10, s75 dst_sel:DWORD dst_unused:UNUSED_PAD src0_sel:BYTE_3 src1_sel:DWORD
	v_and_b32_e32 v6, 0x7f800000, v10
	v_mov_b32_e32 v7, v57
	v_and_b32_e32 v56, 0x7fffff, v10
	v_or_b32_e32 v14, 0x7e, v48
	v_cmp_ne_u64_e64 s[22:23], s[42:43], v[6:7]
	s_and_saveexec_b64 s[24:25], s[22:23]
	s_xor_b64 s[60:61], exec, s[24:25]
	s_cbranch_execz .LBB4_1231
; %bb.1222:                             ;   in Loop: Header=BB4_897 Depth=2
	v_and_b32_e32 v6, 0x7fffffff, v10
	v_mov_b32_e32 v7, v57
	v_cmp_gt_u64_e64 s[22:23], s[44:45], v[6:7]
	s_and_saveexec_b64 s[62:63], s[22:23]
	s_cbranch_execz .LBB4_1230
; %bb.1223:                             ;   in Loop: Header=BB4_897 Depth=2
	v_cmp_ne_u32_e64 s[22:23], 0, v10
	v_mov_b32_e32 v14, 0
	s_and_saveexec_b64 s[64:65], s[22:23]
	s_cbranch_execz .LBB4_1229
; %bb.1224:                             ;   in Loop: Header=BB4_897 Depth=2
	v_bfe_u32 v6, v10, 23, 8
	v_sub_u32_e32 v8, 0x79, v6
	v_cmp_gt_u32_e64 s[22:23], s77, v6
	v_add_u32_e32 v7, 0xffffff81, v6
	v_cndmask_b32_e64 v8, 0, v8, s[22:23]
	v_cmp_eq_u32_e64 s[22:23], 0, v6
	v_mov_b32_e32 v6, 0xffffff82
	v_cndmask_b32_e64 v14, v7, v6, s[22:23]
	v_mov_b32_e32 v6, 0x78
	v_or_b32_e32 v9, 0x800000, v56
	v_cndmask_b32_e64 v29, v8, v6, s[22:23]
	v_cndmask_b32_e64 v56, v9, v56, s[22:23]
	v_add_u32_e32 v6, 20, v29
	v_lshlrev_b64 v[6:7], v6, -1
	v_lshrrev_b64 v[10:11], v29, v[56:57]
	v_not_b32_e32 v7, v7
	v_not_b32_e32 v6, v6
	v_add_u32_e32 v8, 19, v29
	v_lshrrev_b32_e32 v49, 23, v10
	v_and_b32_e32 v7, 0, v7
	v_and_b32_e32 v6, v56, v6
	v_lshlrev_b64 v[8:9], v8, 1
	v_add3_u32 v29, v29, v14, v49
	v_bfe_u32 v14, v10, 20, 1
	v_add_u32_e32 v14, -1, v14
	v_cmp_eq_u64_e64 s[22:23], v[6:7], v[8:9]
	v_cndmask_b32_e64 v6, 0, v14, s[22:23]
	v_add_u32_e32 v6, v6, v10
	v_and_b32_e32 v6, 0xfffff, v6
	v_add_co_u32_e64 v10, s[22:23], v6, v10
	v_add_u32_e32 v49, 6, v29
	v_addc_co_u32_e64 v11, s[22:23], 0, v11, s[22:23]
	v_cmp_ne_u32_e64 s[22:23], 0, v49
                                        ; implicit-def: $vgpr14
	s_and_saveexec_b64 s[24:25], s[22:23]
	s_xor_b64 s[24:25], exec, s[24:25]
; %bb.1225:                             ;   in Loop: Header=BB4_897 Depth=2
	v_add_u32_e32 v6, 7, v29
	v_cmp_lt_u64_e64 s[22:23], s[48:49], v[10:11]
	v_cndmask_b32_e64 v14, v49, v6, s[22:23]
	v_cndmask_b32_e64 v6, 0, 1, s[22:23]
	v_lshrrev_b64 v[10:11], v6, v[10:11]
; %bb.1226:                             ;   in Loop: Header=BB4_897 Depth=2
	s_andn2_saveexec_b64 s[22:23], s[24:25]
; %bb.1227:                             ;   in Loop: Header=BB4_897 Depth=2
	v_bfe_u32 v14, v10, 23, 1
; %bb.1228:                             ;   in Loop: Header=BB4_897 Depth=2
	s_or_b64 exec, exec, s[22:23]
	v_lshrrev_b64 v[6:7], 20, v[10:11]
	v_cmp_gt_i32_e64 s[22:23], 16, v14
	v_cndmask_b32_e64 v7, 0, v7, s[22:23]
	v_cndmask_b32_e64 v6, 7, v6, s[22:23]
	v_cmp_eq_u64_e64 s[24:25], 0, v[6:7]
	v_min_i32_e32 v7, 15, v14
	v_cmp_eq_u32_e64 s[22:23], 0, v14
	v_lshlrev_b32_e32 v7, 3, v7
	v_and_or_b32 v6, v6, 7, v7
	s_and_b64 s[22:23], s[22:23], s[24:25]
	v_cndmask_b32_e64 v6, v6, 0, s[22:23]
	v_or_b32_e32 v14, v6, v48
.LBB4_1229:                             ;   in Loop: Header=BB4_897 Depth=2
	s_or_b64 exec, exec, s[64:65]
.LBB4_1230:                             ;   in Loop: Header=BB4_897 Depth=2
	s_or_b64 exec, exec, s[62:63]
                                        ; implicit-def: $vgpr10
.LBB4_1231:                             ;   in Loop: Header=BB4_897 Depth=2
	s_andn2_saveexec_b64 s[24:25], s[60:61]
; %bb.1232:                             ;   in Loop: Header=BB4_897 Depth=2
	v_or_b32_sdwa v6, v10, s76 dst_sel:DWORD dst_unused:UNUSED_PAD src0_sel:BYTE_3 src1_sel:DWORD
	v_cmp_eq_u64_e64 s[22:23], 0, v[56:57]
	v_cndmask_b32_e64 v14, v6, v14, s[22:23]
; %bb.1233:                             ;   in Loop: Header=BB4_897 Depth=2
	s_or_b64 exec, exec, s[24:25]
	v_lshrrev_b32_e32 v10, 16, v17
	v_cmp_ne_u16_sdwa s[22:23], v10, v57 src0_sel:BYTE_0 src1_sel:DWORD
	v_mov_b32_e32 v11, 0
	v_mov_b32_e32 v48, 0
	s_and_saveexec_b64 s[24:25], s[22:23]
	s_cbranch_execz .LBB4_1239
; %bb.1234:                             ;   in Loop: Header=BB4_897 Depth=2
	v_cmp_ne_u16_sdwa s[22:23], v10, s75 src0_sel:BYTE_0 src1_sel:DWORD
	v_bfrev_b32_e32 v48, 1
	s_and_saveexec_b64 s[60:61], s[22:23]
	s_cbranch_execz .LBB4_1238
; %bb.1235:                             ;   in Loop: Header=BB4_897 Depth=2
	v_bfe_u32 v29, v17, 16, 7
	v_cmp_ne_u32_e64 s[22:23], s76, v29
	v_mov_b32_e32 v48, 0x7f800001
	s_and_saveexec_b64 s[62:63], s[22:23]
	s_cbranch_execz .LBB4_1237
; %bb.1236:                             ;   in Loop: Header=BB4_897 Depth=2
	v_and_b32_e32 v8, 7, v10
	v_ffbh_u32_e32 v6, v8
	v_min_u32_e32 v48, 32, v6
	v_subrev_u32_e32 v6, 28, v48
	v_lshlrev_b64 v[6:7], v6, v[10:11]
	v_lshrrev_b32_e32 v9, 3, v29
	v_sub_u32_e32 v7, 29, v48
	v_and_b32_e32 v6, 7, v6
	v_cmp_gt_u32_e64 s[22:23], 8, v29
	v_cndmask_b32_e64 v7, v9, v7, s[22:23]
	v_cndmask_b32_e64 v6, v8, v6, s[22:23]
	v_lshlrev_b32_e32 v8, 24, v10
	v_lshlrev_b32_e32 v6, 20, v6
	v_and_b32_e32 v8, 0x80000000, v8
	v_lshl_add_u32 v7, v7, 23, v51
	v_or3_b32 v48, v8, v7, v6
.LBB4_1237:                             ;   in Loop: Header=BB4_897 Depth=2
	s_or_b64 exec, exec, s[62:63]
.LBB4_1238:                             ;   in Loop: Header=BB4_897 Depth=2
	s_or_b64 exec, exec, s[60:61]
.LBB4_1239:                             ;   in Loop: Header=BB4_897 Depth=2
	s_or_b64 exec, exec, s[24:25]
	v_lshrrev_b32_e32 v10, 16, v13
	v_cmp_ne_u16_sdwa s[22:23], v10, v57 src0_sel:BYTE_0 src1_sel:DWORD
	s_and_saveexec_b64 s[24:25], s[22:23]
	s_cbranch_execz .LBB4_1245
; %bb.1240:                             ;   in Loop: Header=BB4_897 Depth=2
	v_cmp_ne_u16_sdwa s[22:23], v10, s75 src0_sel:BYTE_0 src1_sel:DWORD
	v_bfrev_b32_e32 v11, 1
	s_and_saveexec_b64 s[60:61], s[22:23]
	s_cbranch_execz .LBB4_1244
; %bb.1241:                             ;   in Loop: Header=BB4_897 Depth=2
	v_bfe_u32 v29, v13, 16, 7
	v_cmp_ne_u32_e64 s[22:23], s76, v29
	v_mov_b32_e32 v11, 0x7f800001
	s_and_saveexec_b64 s[62:63], s[22:23]
	s_cbranch_execz .LBB4_1243
; %bb.1242:                             ;   in Loop: Header=BB4_897 Depth=2
	v_and_b32_e32 v8, 7, v10
	v_ffbh_u32_e32 v6, v8
	v_min_u32_e32 v11, 32, v6
	v_subrev_u32_e32 v6, 28, v11
	v_lshlrev_b64 v[6:7], v6, v[10:11]
	v_lshrrev_b32_e32 v9, 3, v29
	v_sub_u32_e32 v7, 29, v11
	v_and_b32_e32 v6, 7, v6
	v_cmp_gt_u32_e64 s[22:23], 8, v29
	v_cndmask_b32_e64 v7, v9, v7, s[22:23]
	v_cndmask_b32_e64 v6, v8, v6, s[22:23]
	v_lshlrev_b32_e32 v8, 8, v13
	v_lshlrev_b32_e32 v6, 20, v6
	v_and_b32_e32 v8, 0x80000000, v8
	v_lshl_add_u32 v7, v7, 23, v51
	v_or3_b32 v11, v8, v7, v6
.LBB4_1243:                             ;   in Loop: Header=BB4_897 Depth=2
	s_or_b64 exec, exec, s[62:63]
.LBB4_1244:                             ;   in Loop: Header=BB4_897 Depth=2
	s_or_b64 exec, exec, s[60:61]
.LBB4_1245:                             ;   in Loop: Header=BB4_897 Depth=2
	s_or_b64 exec, exec, s[24:25]
	v_add_f32_e32 v10, v48, v11
	v_and_b32_sdwa v49, v10, s75 dst_sel:DWORD dst_unused:UNUSED_PAD src0_sel:BYTE_3 src1_sel:DWORD
	v_and_b32_e32 v6, 0x7f800000, v10
	v_mov_b32_e32 v7, v57
	v_and_b32_e32 v56, 0x7fffff, v10
	v_or_b32_e32 v48, 0x7e, v49
	v_cmp_ne_u64_e64 s[22:23], s[42:43], v[6:7]
	s_and_saveexec_b64 s[24:25], s[22:23]
	s_xor_b64 s[60:61], exec, s[24:25]
	s_cbranch_execz .LBB4_1255
; %bb.1246:                             ;   in Loop: Header=BB4_897 Depth=2
	v_and_b32_e32 v6, 0x7fffffff, v10
	v_mov_b32_e32 v7, v57
	v_cmp_gt_u64_e64 s[22:23], s[44:45], v[6:7]
	s_and_saveexec_b64 s[62:63], s[22:23]
	s_cbranch_execz .LBB4_1254
; %bb.1247:                             ;   in Loop: Header=BB4_897 Depth=2
	v_cmp_ne_u32_e64 s[22:23], 0, v10
	v_mov_b32_e32 v48, 0
	s_and_saveexec_b64 s[64:65], s[22:23]
	s_cbranch_execz .LBB4_1253
; %bb.1248:                             ;   in Loop: Header=BB4_897 Depth=2
	v_bfe_u32 v6, v10, 23, 8
	v_sub_u32_e32 v8, 0x79, v6
	v_cmp_gt_u32_e64 s[22:23], s77, v6
	v_add_u32_e32 v7, 0xffffff81, v6
	v_cndmask_b32_e64 v8, 0, v8, s[22:23]
	v_cmp_eq_u32_e64 s[22:23], 0, v6
	v_mov_b32_e32 v6, 0xffffff82
	v_cndmask_b32_e64 v29, v7, v6, s[22:23]
	v_mov_b32_e32 v6, 0x78
	v_or_b32_e32 v9, 0x800000, v56
	v_cndmask_b32_e64 v48, v8, v6, s[22:23]
	v_cndmask_b32_e64 v56, v9, v56, s[22:23]
	v_add_u32_e32 v6, 20, v48
	v_lshlrev_b64 v[6:7], v6, -1
	v_lshrrev_b64 v[10:11], v48, v[56:57]
	v_not_b32_e32 v7, v7
	v_not_b32_e32 v6, v6
	v_add_u32_e32 v8, 19, v48
	v_lshrrev_b32_e32 v53, 23, v10
	v_and_b32_e32 v7, 0, v7
	v_and_b32_e32 v6, v56, v6
	v_lshlrev_b64 v[8:9], v8, 1
	v_add3_u32 v29, v48, v29, v53
	v_bfe_u32 v48, v10, 20, 1
	v_add_u32_e32 v48, -1, v48
	v_cmp_eq_u64_e64 s[22:23], v[6:7], v[8:9]
	v_cndmask_b32_e64 v6, 0, v48, s[22:23]
	v_add_u32_e32 v6, v6, v10
	v_and_b32_e32 v6, 0xfffff, v6
	v_add_co_u32_e64 v10, s[22:23], v6, v10
	v_add_u32_e32 v53, 6, v29
	v_addc_co_u32_e64 v11, s[22:23], 0, v11, s[22:23]
	v_cmp_ne_u32_e64 s[22:23], 0, v53
                                        ; implicit-def: $vgpr48
	s_and_saveexec_b64 s[24:25], s[22:23]
	s_xor_b64 s[24:25], exec, s[24:25]
; %bb.1249:                             ;   in Loop: Header=BB4_897 Depth=2
	v_add_u32_e32 v6, 7, v29
	v_cmp_lt_u64_e64 s[22:23], s[48:49], v[10:11]
	v_cndmask_b32_e64 v48, v53, v6, s[22:23]
	v_cndmask_b32_e64 v6, 0, 1, s[22:23]
	v_lshrrev_b64 v[10:11], v6, v[10:11]
; %bb.1250:                             ;   in Loop: Header=BB4_897 Depth=2
	s_andn2_saveexec_b64 s[22:23], s[24:25]
; %bb.1251:                             ;   in Loop: Header=BB4_897 Depth=2
	v_bfe_u32 v48, v10, 23, 1
; %bb.1252:                             ;   in Loop: Header=BB4_897 Depth=2
	s_or_b64 exec, exec, s[22:23]
	v_lshrrev_b64 v[6:7], 20, v[10:11]
	v_cmp_gt_i32_e64 s[22:23], 16, v48
	v_cndmask_b32_e64 v7, 0, v7, s[22:23]
	v_cndmask_b32_e64 v6, 7, v6, s[22:23]
	v_cmp_eq_u64_e64 s[24:25], 0, v[6:7]
	v_min_i32_e32 v7, 15, v48
	v_lshlrev_b32_e32 v7, 3, v7
	v_cmp_eq_u32_e64 s[22:23], 0, v48
	v_and_b32_e32 v7, 0xf8, v7
	v_and_or_b32 v6, v6, 7, v7
	s_and_b64 s[22:23], s[22:23], s[24:25]
	v_cndmask_b32_e64 v6, v6, 0, s[22:23]
	v_or_b32_e32 v48, v6, v49
.LBB4_1253:                             ;   in Loop: Header=BB4_897 Depth=2
	s_or_b64 exec, exec, s[64:65]
.LBB4_1254:                             ;   in Loop: Header=BB4_897 Depth=2
	s_or_b64 exec, exec, s[62:63]
                                        ; implicit-def: $vgpr10
.LBB4_1255:                             ;   in Loop: Header=BB4_897 Depth=2
	s_andn2_saveexec_b64 s[24:25], s[60:61]
; %bb.1256:                             ;   in Loop: Header=BB4_897 Depth=2
	v_or_b32_sdwa v6, v10, s76 dst_sel:DWORD dst_unused:UNUSED_PAD src0_sel:BYTE_3 src1_sel:DWORD
	v_cmp_eq_u64_e64 s[22:23], 0, v[56:57]
	v_cndmask_b32_e64 v48, v6, v48, s[22:23]
; %bb.1257:                             ;   in Loop: Header=BB4_897 Depth=2
	s_or_b64 exec, exec, s[24:25]
	v_cmp_lt_u64_e64 s[22:23], s[46:47], v[16:17]
	v_mov_b32_e32 v11, 0
	v_mov_b32_e32 v16, 0
	s_and_saveexec_b64 s[24:25], s[22:23]
	s_cbranch_execz .LBB4_1263
; %bb.1258:                             ;   in Loop: Header=BB4_897 Depth=2
	v_lshrrev_b32_e32 v10, 24, v17
	v_cmp_ne_u32_e64 s[22:23], s75, v10
	v_bfrev_b32_e32 v16, 1
	s_and_saveexec_b64 s[60:61], s[22:23]
	s_cbranch_execz .LBB4_1262
; %bb.1259:                             ;   in Loop: Header=BB4_897 Depth=2
	v_bfe_u32 v17, v17, 24, 7
	v_cmp_ne_u32_e64 s[22:23], s76, v17
	v_mov_b32_e32 v16, 0x7f800001
	s_and_saveexec_b64 s[62:63], s[22:23]
	s_cbranch_execz .LBB4_1261
; %bb.1260:                             ;   in Loop: Header=BB4_897 Depth=2
	v_and_b32_e32 v8, 7, v10
	v_ffbh_u32_e32 v6, v8
	v_min_u32_e32 v16, 32, v6
	v_subrev_u32_e32 v6, 28, v16
	v_lshlrev_b64 v[6:7], v6, v[10:11]
	v_lshrrev_b32_e32 v9, 3, v17
	v_sub_u32_e32 v7, 29, v16
	v_and_b32_e32 v6, 7, v6
	v_cmp_gt_u32_e64 s[22:23], 8, v17
	v_cndmask_b32_e64 v7, v9, v7, s[22:23]
	v_cndmask_b32_e64 v6, v8, v6, s[22:23]
	v_lshlrev_b32_e32 v8, 24, v10
	v_lshlrev_b32_e32 v6, 20, v6
	v_and_b32_e32 v8, 0x80000000, v8
	v_lshl_add_u32 v7, v7, 23, v51
	v_or3_b32 v16, v8, v7, v6
.LBB4_1261:                             ;   in Loop: Header=BB4_897 Depth=2
	s_or_b64 exec, exec, s[62:63]
.LBB4_1262:                             ;   in Loop: Header=BB4_897 Depth=2
	s_or_b64 exec, exec, s[60:61]
.LBB4_1263:                             ;   in Loop: Header=BB4_897 Depth=2
	s_or_b64 exec, exec, s[24:25]
	v_cmp_lt_u64_e64 s[22:23], s[46:47], v[12:13]
	s_and_saveexec_b64 s[24:25], s[22:23]
	s_cbranch_execz .LBB4_1269
; %bb.1264:                             ;   in Loop: Header=BB4_897 Depth=2
	v_lshrrev_b32_e32 v10, 24, v13
	v_cmp_ne_u32_e64 s[22:23], s75, v10
	v_bfrev_b32_e32 v11, 1
	s_and_saveexec_b64 s[60:61], s[22:23]
	s_cbranch_execz .LBB4_1268
; %bb.1265:                             ;   in Loop: Header=BB4_897 Depth=2
	v_bfe_u32 v12, v13, 24, 7
	v_cmp_ne_u32_e64 s[22:23], s76, v12
	v_mov_b32_e32 v11, 0x7f800001
	s_and_saveexec_b64 s[62:63], s[22:23]
	s_cbranch_execz .LBB4_1267
; %bb.1266:                             ;   in Loop: Header=BB4_897 Depth=2
	v_and_b32_e32 v8, 7, v10
	v_ffbh_u32_e32 v6, v8
	v_min_u32_e32 v11, 32, v6
	v_subrev_u32_e32 v6, 28, v11
	v_lshlrev_b64 v[6:7], v6, v[10:11]
	v_lshrrev_b32_e32 v9, 3, v12
	v_sub_u32_e32 v7, 29, v11
	v_and_b32_e32 v6, 7, v6
	v_cmp_gt_u32_e64 s[22:23], 8, v12
	v_cndmask_b32_e64 v7, v9, v7, s[22:23]
	v_cndmask_b32_e64 v6, v8, v6, s[22:23]
	v_lshlrev_b32_e32 v8, 24, v10
	v_lshlrev_b32_e32 v6, 20, v6
	v_and_b32_e32 v8, 0x80000000, v8
	v_lshl_add_u32 v7, v7, 23, v51
	v_or3_b32 v11, v8, v7, v6
.LBB4_1267:                             ;   in Loop: Header=BB4_897 Depth=2
	s_or_b64 exec, exec, s[62:63]
.LBB4_1268:                             ;   in Loop: Header=BB4_897 Depth=2
	s_or_b64 exec, exec, s[60:61]
.LBB4_1269:                             ;   in Loop: Header=BB4_897 Depth=2
	s_or_b64 exec, exec, s[24:25]
	v_add_f32_e32 v11, v16, v11
	v_and_b32_sdwa v12, v11, s75 dst_sel:DWORD dst_unused:UNUSED_PAD src0_sel:BYTE_3 src1_sel:DWORD
	v_and_b32_e32 v6, 0x7f800000, v11
	v_mov_b32_e32 v7, v57
	v_and_b32_e32 v56, 0x7fffff, v11
	v_or_b32_e32 v10, 0x7e, v12
	v_cmp_ne_u64_e64 s[22:23], s[42:43], v[6:7]
	s_and_saveexec_b64 s[24:25], s[22:23]
	s_xor_b64 s[60:61], exec, s[24:25]
	s_cbranch_execz .LBB4_1279
; %bb.1270:                             ;   in Loop: Header=BB4_897 Depth=2
	v_and_b32_e32 v6, 0x7fffffff, v11
	v_mov_b32_e32 v7, v57
	v_cmp_gt_u64_e64 s[22:23], s[44:45], v[6:7]
	s_and_saveexec_b64 s[62:63], s[22:23]
	s_cbranch_execz .LBB4_1278
; %bb.1271:                             ;   in Loop: Header=BB4_897 Depth=2
	v_cmp_ne_u32_e64 s[22:23], 0, v11
	v_mov_b32_e32 v10, 0
	s_and_saveexec_b64 s[64:65], s[22:23]
	s_cbranch_execz .LBB4_1277
; %bb.1272:                             ;   in Loop: Header=BB4_897 Depth=2
	v_bfe_u32 v6, v11, 23, 8
	v_sub_u32_e32 v8, 0x79, v6
	v_cmp_gt_u32_e64 s[22:23], s77, v6
	v_add_u32_e32 v7, 0xffffff81, v6
	v_cndmask_b32_e64 v8, 0, v8, s[22:23]
	v_cmp_eq_u32_e64 s[22:23], 0, v6
	v_mov_b32_e32 v6, 0xffffff82
	v_cndmask_b32_e64 v13, v7, v6, s[22:23]
	v_mov_b32_e32 v6, 0x78
	v_or_b32_e32 v9, 0x800000, v56
	v_cndmask_b32_e64 v16, v8, v6, s[22:23]
	v_cndmask_b32_e64 v56, v9, v56, s[22:23]
	v_add_u32_e32 v6, 20, v16
	v_lshlrev_b64 v[6:7], v6, -1
	v_lshrrev_b64 v[10:11], v16, v[56:57]
	v_not_b32_e32 v7, v7
	v_not_b32_e32 v6, v6
	v_add_u32_e32 v8, 19, v16
	v_lshrrev_b32_e32 v17, 23, v10
	v_and_b32_e32 v7, 0, v7
	v_and_b32_e32 v6, v56, v6
	v_lshlrev_b64 v[8:9], v8, 1
	v_add3_u32 v17, v16, v13, v17
	v_bfe_u32 v13, v10, 20, 1
	v_add_u32_e32 v13, -1, v13
	v_cmp_eq_u64_e64 s[22:23], v[6:7], v[8:9]
	v_cndmask_b32_e64 v6, 0, v13, s[22:23]
	v_add_u32_e32 v6, v6, v10
	v_and_b32_e32 v6, 0xfffff, v6
	v_add_co_u32_e64 v10, s[22:23], v6, v10
	v_add_u32_e32 v16, 6, v17
	v_addc_co_u32_e64 v11, s[22:23], 0, v11, s[22:23]
	v_cmp_ne_u32_e64 s[22:23], 0, v16
                                        ; implicit-def: $vgpr13
	s_and_saveexec_b64 s[24:25], s[22:23]
	s_xor_b64 s[24:25], exec, s[24:25]
; %bb.1273:                             ;   in Loop: Header=BB4_897 Depth=2
	v_add_u32_e32 v6, 7, v17
	v_cmp_lt_u64_e64 s[22:23], s[48:49], v[10:11]
	v_cndmask_b32_e64 v13, v16, v6, s[22:23]
	v_cndmask_b32_e64 v6, 0, 1, s[22:23]
	v_lshrrev_b64 v[10:11], v6, v[10:11]
; %bb.1274:                             ;   in Loop: Header=BB4_897 Depth=2
	s_andn2_saveexec_b64 s[22:23], s[24:25]
; %bb.1275:                             ;   in Loop: Header=BB4_897 Depth=2
	v_bfe_u32 v13, v10, 23, 1
; %bb.1276:                             ;   in Loop: Header=BB4_897 Depth=2
	s_or_b64 exec, exec, s[22:23]
	v_lshrrev_b64 v[6:7], 20, v[10:11]
	v_cmp_gt_i32_e64 s[22:23], 16, v13
	v_cndmask_b32_e64 v7, 0, v7, s[22:23]
	v_cndmask_b32_e64 v6, 7, v6, s[22:23]
	v_cmp_eq_u64_e64 s[24:25], 0, v[6:7]
	v_min_i32_e32 v7, 15, v13
	v_lshlrev_b32_e32 v7, 3, v7
	v_cmp_eq_u32_e64 s[22:23], 0, v13
	v_and_b32_e32 v7, 0xf8, v7
	v_and_or_b32 v6, v6, 7, v7
	s_and_b64 s[22:23], s[22:23], s[24:25]
	v_cndmask_b32_e64 v6, v6, 0, s[22:23]
	v_or_b32_e32 v10, v6, v12
.LBB4_1277:                             ;   in Loop: Header=BB4_897 Depth=2
	s_or_b64 exec, exec, s[64:65]
.LBB4_1278:                             ;   in Loop: Header=BB4_897 Depth=2
	s_or_b64 exec, exec, s[62:63]
                                        ; implicit-def: $vgpr11
.LBB4_1279:                             ;   in Loop: Header=BB4_897 Depth=2
	s_andn2_saveexec_b64 s[24:25], s[60:61]
	s_cbranch_execz .LBB4_896
; %bb.1280:                             ;   in Loop: Header=BB4_897 Depth=2
	v_or_b32_sdwa v6, v11, s76 dst_sel:DWORD dst_unused:UNUSED_PAD src0_sel:BYTE_3 src1_sel:DWORD
	v_cmp_eq_u64_e64 s[22:23], 0, v[56:57]
	v_cndmask_b32_e64 v10, v6, v10, s[22:23]
	s_branch .LBB4_896
.LBB4_1281:                             ;   in Loop: Header=BB4_49 Depth=1
	s_or_b64 exec, exec, s[58:59]
.LBB4_1282:                             ;   in Loop: Header=BB4_49 Depth=1
	s_or_b64 exec, exec, s[56:57]
	v_accvgpr_read_b32 v2, a37
	v_and_b32_e32 v5, 15, v2
	v_cndmask_b32_e32 v18, v3, v5, vcc
	s_mov_b64 s[24:25], 0
	v_mov_b32_e32 v2, 0
	v_cmp_ne_u32_e64 s[22:23], 0, v18
                                        ; implicit-def: $vgpr19
                                        ; implicit-def: $vgpr4
	s_mov_b64 s[56:57], exec
	s_and_b64 s[22:23], s[56:57], s[22:23]
	v_accvgpr_read_b32 v6, a4
	s_mov_b64 exec, s[22:23]
	s_cbranch_execz .LBB4_1284
; %bb.1283:                             ;   in Loop: Header=BB4_49 Depth=1
	v_accvgpr_read_b32 v2, a37
	v_sub_u32_e32 v3, v3, v5
	v_and_b32_e32 v2, 0x3ffffc00, v2
	v_cndmask_b32_e32 v3, 0, v3, vcc
	v_cmp_lt_i32_e32 vcc, 0, v1
	v_add_u32_e32 v2, v3, v2
	v_cndmask_b32_e32 v3, 0, v42, vcc
	v_sub_u32_e32 v1, v3, v1
	v_lshl_add_u32 v19, v1, 6, v0
	v_ashrrev_i32_e32 v0, 31, v19
	v_lshrrev_b32_e32 v0, 26, v0
	v_add_u32_e32 v0, v19, v0
	s_mov_b64 s[24:25], exec
	v_ashrrev_i32_e32 v4, 6, v0
.LBB4_1284:                             ;   in Loop: Header=BB4_49 Depth=1
	s_or_b64 exec, exec, s[56:57]
	s_and_b64 s[22:23], s[24:25], exec
.LBB4_1285:                             ;   in Loop: Header=BB4_49 Depth=1
	s_or_b64 exec, exec, s[54:55]
	v_accvgpr_read_b32 v53, a21
	v_accvgpr_read_b32 v52, a20
	v_accvgpr_read_b32 v55, a17
	v_accvgpr_read_b32 v54, a24
	v_accvgpr_read_b32 v42, a34
	v_mov_b32_e32 v47, 1
	s_and_saveexec_b64 s[24:25], s[22:23]
	s_cbranch_execz .LBB4_1546
.LBB4_1286:                             ;   in Loop: Header=BB4_49 Depth=1
	v_ashrrev_i32_e32 v0, 31, v18
	v_lshrrev_b32_e32 v0, 23, v0
	v_add_u32_e32 v0, v18, v0
	v_ashrrev_i32_e32 v3, 9, v0
	v_sub_u32_e32 v0, v3, v4
	v_ashrrev_i32_e32 v1, 31, v19
	v_cmp_lt_i32_e32 vcc, 0, v0
	v_lshrrev_b32_e32 v1, 26, v1
	s_and_saveexec_b64 s[54:55], vcc
	s_cbranch_execz .LBB4_1514
; %bb.1287:                             ;   in Loop: Header=BB4_49 Depth=1
	v_add_u32_e32 v5, v19, v1
	v_and_b32_e32 v5, 0xffffffc0, v5
	v_accvgpr_write_b32 a4, v6
	s_trap 2
	v_sub_u32_e32 v8, v19, v5
	v_lshlrev_b32_e32 v9, 9, v4
	ds_read_b128 v[4:7], v0
	v_add3_u32 v14, v2, v8, v9
	ds_read_b64 v[8:9], v0
	v_ashrrev_i32_e32 v15, 31, v14
	s_mov_b64 s[56:57], 0
	s_waitcnt lgkmcnt(0)
	v_add_co_u32_e32 v10, vcc, v4, v14
	v_addc_co_u32_e32 v11, vcc, v5, v15, vcc
	v_add_co_u32_e32 v12, vcc, v6, v14
	v_addc_co_u32_e32 v13, vcc, v7, v15, vcc
	;; [unrolled: 2-line block ×4, first 2 shown]
	s_branch .LBB4_1289
.LBB4_1288:                             ;   in Loop: Header=BB4_1289 Depth=2
	s_or_b64 exec, exec, s[22:23]
	v_add_co_u32_e32 v6, vcc, 0xfffffe40, v14
	v_addc_co_u32_e32 v7, vcc, -1, v15, vcc
	flat_store_byte v[6:7], v20 glc slc
	v_add_co_u32_e32 v6, vcc, 0xfffffe80, v14
	v_addc_co_u32_e32 v7, vcc, -1, v15, vcc
	flat_store_byte v[6:7], v23 glc slc
	;; [unrolled: 3-line block ×5, first 2 shown]
	v_add_co_u32_e32 v6, vcc, 0xffffff80, v14
	v_addc_co_u32_e32 v7, vcc, -1, v15, vcc
	v_add_co_u32_e32 v4, vcc, s72, v14
	flat_store_byte v[6:7], v5 glc slc
	v_addc_co_u32_e32 v5, vcc, -1, v15, vcc
	v_add_co_u32_e32 v10, vcc, v10, v42
	v_addc_co_u32_e32 v11, vcc, v11, v50, vcc
	v_add_co_u32_e32 v12, vcc, v12, v42
	v_addc_co_u32_e32 v13, vcc, v13, v50, vcc
	v_sub_u32_e32 v0, v0, v54
	v_cmp_gt_i32_e32 vcc, 1, v0
	flat_store_byte v[4:5], v24 glc slc
	flat_store_byte v[14:15], v17 glc slc
	s_or_b64 s[56:57], vcc, s[56:57]
	v_add_co_u32_e32 v14, vcc, v14, v42
	v_addc_co_u32_e32 v15, vcc, v15, v50, vcc
	s_andn2_b64 exec, exec, s[56:57]
	s_cbranch_execz .LBB4_1513
.LBB4_1289:                             ;   Parent Loop BB4_49 Depth=1
                                        ; =>  This Inner Loop Header: Depth=2
	flat_load_ubyte v49, v[10:11] glc slc
	flat_load_ubyte v35, v[10:11] offset:64 glc slc
	flat_load_ubyte v27, v[10:11] offset:128 glc slc
	;; [unrolled: 1-line block ×7, first 2 shown]
	flat_load_ubyte v17, v[12:13] glc slc
	flat_load_ubyte v23, v[12:13] offset:64 glc slc
	flat_load_ubyte v26, v[12:13] offset:128 glc slc
	flat_load_ubyte v4, v[12:13] offset:192 glc slc
	flat_load_ubyte v31, v[12:13] offset:256 glc slc
	flat_load_ubyte v28, v[12:13] offset:320 glc slc
	flat_load_ubyte v24, v[12:13] offset:384 glc slc
	flat_load_ubyte v21, v[12:13] offset:448 glc slc
	v_mov_b32_e32 v20, 0
	v_mov_b32_e32 v48, 0
	s_waitcnt vmcnt(0) lgkmcnt(0)
	v_cmp_ne_u16_e32 vcc, 0, v49
	s_and_saveexec_b64 s[22:23], vcc
	s_cbranch_execz .LBB4_1295
; %bb.1290:                             ;   in Loop: Header=BB4_1289 Depth=2
	v_cmp_ne_u16_e32 vcc, s75, v49
	v_bfrev_b32_e32 v48, 1
	s_and_saveexec_b64 s[58:59], vcc
	s_cbranch_execz .LBB4_1294
; %bb.1291:                             ;   in Loop: Header=BB4_1289 Depth=2
	v_and_b32_e32 v16, 0xffff, v49
	v_and_b32_e32 v29, 0x7f, v16
	v_cmp_ne_u32_e32 vcc, s76, v29
	v_mov_b32_e32 v48, 0x7f800001
	s_and_saveexec_b64 s[60:61], vcc
	s_cbranch_execz .LBB4_1293
; %bb.1292:                             ;   in Loop: Header=BB4_1289 Depth=2
	v_and_b32_e32 v8, 7, v16
	v_ffbh_u32_e32 v6, v8
	v_min_u32_e32 v48, 32, v6
	v_subrev_u32_e32 v6, 28, v48
	v_lshlrev_b64 v[6:7], v6, v[16:17]
	v_lshrrev_b32_e32 v9, 3, v29
	v_sub_u32_e32 v7, 29, v48
	v_and_b32_e32 v6, 7, v6
	v_cmp_gt_u32_e32 vcc, 8, v29
	v_cndmask_b32_e32 v7, v9, v7, vcc
	v_cndmask_b32_e32 v6, v8, v6, vcc
	v_lshlrev_b32_e32 v8, 24, v49
	v_lshlrev_b32_e32 v6, 20, v6
	v_and_b32_e32 v8, 0x80000000, v8
	v_lshl_add_u32 v7, v7, 23, v51
	v_or3_b32 v48, v8, v7, v6
.LBB4_1293:                             ;   in Loop: Header=BB4_1289 Depth=2
	s_or_b64 exec, exec, s[60:61]
.LBB4_1294:                             ;   in Loop: Header=BB4_1289 Depth=2
	s_or_b64 exec, exec, s[58:59]
.LBB4_1295:                             ;   in Loop: Header=BB4_1289 Depth=2
	s_or_b64 exec, exec, s[22:23]
	v_and_b32_e32 v16, 0xff, v17
	v_cmp_ne_u16_e32 vcc, 0, v16
	s_and_saveexec_b64 s[22:23], vcc
	s_cbranch_execz .LBB4_1301
; %bb.1296:                             ;   in Loop: Header=BB4_1289 Depth=2
	v_cmp_ne_u16_e32 vcc, s75, v16
	v_bfrev_b32_e32 v20, 1
	s_and_saveexec_b64 s[58:59], vcc
	s_cbranch_execz .LBB4_1300
; %bb.1297:                             ;   in Loop: Header=BB4_1289 Depth=2
	v_and_b32_e32 v29, 0x7f, v17
	v_cmp_ne_u32_e32 vcc, s76, v29
	v_mov_b32_e32 v20, 0x7f800001
	s_and_saveexec_b64 s[60:61], vcc
	s_cbranch_execz .LBB4_1299
; %bb.1298:                             ;   in Loop: Header=BB4_1289 Depth=2
	v_and_b32_e32 v8, 7, v16
	v_ffbh_u32_e32 v6, v8
	v_min_u32_e32 v20, 32, v6
	v_subrev_u32_e32 v6, 28, v20
	v_lshlrev_b64 v[6:7], v6, v[16:17]
	v_lshrrev_b32_e32 v9, 3, v29
	v_sub_u32_e32 v7, 29, v20
	v_and_b32_e32 v6, 7, v6
	v_cmp_gt_u32_e32 vcc, 8, v29
	v_cndmask_b32_e32 v7, v9, v7, vcc
	v_cndmask_b32_e32 v6, v8, v6, vcc
	v_lshlrev_b32_e32 v8, 24, v17
	v_lshlrev_b32_e32 v6, 20, v6
	v_and_b32_e32 v8, 0x80000000, v8
	v_lshl_add_u32 v7, v7, 23, v51
	v_or3_b32 v20, v8, v7, v6
.LBB4_1299:                             ;   in Loop: Header=BB4_1289 Depth=2
	s_or_b64 exec, exec, s[60:61]
.LBB4_1300:                             ;   in Loop: Header=BB4_1289 Depth=2
	s_or_b64 exec, exec, s[58:59]
.LBB4_1301:                             ;   in Loop: Header=BB4_1289 Depth=2
	s_or_b64 exec, exec, s[22:23]
	v_add_f32_e32 v16, v48, v20
	v_and_b32_sdwa v48, v16, s75 dst_sel:DWORD dst_unused:UNUSED_PAD src0_sel:BYTE_3 src1_sel:DWORD
	v_and_b32_e32 v6, 0x7f800000, v16
	v_mov_b32_e32 v7, v57
	v_and_b32_e32 v56, 0x7fffff, v16
	v_or_b32_e32 v20, 0x7e, v48
	v_cmp_ne_u64_e32 vcc, s[42:43], v[6:7]
	s_and_saveexec_b64 s[22:23], vcc
	s_xor_b64 s[58:59], exec, s[22:23]
	s_cbranch_execz .LBB4_1315
; %bb.1302:                             ;   in Loop: Header=BB4_1289 Depth=2
	v_and_b32_e32 v6, 0x7fffffff, v16
	v_mov_b32_e32 v7, v57
	v_cmp_gt_u64_e32 vcc, s[44:45], v[6:7]
	s_and_saveexec_b64 s[22:23], vcc
	s_xor_b64 s[60:61], exec, s[22:23]
	s_cbranch_execz .LBB4_1314
; %bb.1303:                             ;   in Loop: Header=BB4_1289 Depth=2
	v_cmp_ne_u32_e32 vcc, 0, v16
	v_mov_b32_e32 v20, 0
	s_and_saveexec_b64 s[62:63], vcc
	s_cbranch_execz .LBB4_1313
; %bb.1304:                             ;   in Loop: Header=BB4_1289 Depth=2
	v_bfe_u32 v6, v16, 23, 8
	v_sub_u32_e32 v8, 0x79, v6
	v_cmp_gt_u32_e32 vcc, s77, v6
	v_add_u32_e32 v7, 0xffffff81, v6
	v_cndmask_b32_e32 v8, 0, v8, vcc
	v_cmp_eq_u32_e32 vcc, 0, v6
	v_mov_b32_e32 v6, 0xffffff82
	v_cndmask_b32_e32 v20, v7, v6, vcc
	v_mov_b32_e32 v6, 0x78
	v_or_b32_e32 v9, 0x800000, v56
	v_cndmask_b32_e32 v29, v8, v6, vcc
	v_cndmask_b32_e32 v56, v9, v56, vcc
	v_add_u32_e32 v6, 20, v29
	v_lshlrev_b64 v[6:7], v6, -1
	v_lshrrev_b64 v[16:17], v29, v[56:57]
	v_not_b32_e32 v7, v7
	v_not_b32_e32 v6, v6
	v_add_u32_e32 v8, 19, v29
	v_lshrrev_b32_e32 v49, 23, v16
	v_and_b32_e32 v7, 0, v7
	v_and_b32_e32 v6, v56, v6
	v_lshlrev_b64 v[8:9], v8, 1
	v_add3_u32 v29, v29, v20, v49
	v_bfe_u32 v49, v16, 20, 1
	v_add_u32_e32 v49, -1, v49
	v_cmp_eq_u64_e32 vcc, v[6:7], v[8:9]
	v_cndmask_b32_e32 v6, 0, v49, vcc
	v_add_u32_e32 v6, v6, v16
	v_and_b32_e32 v6, 0xfffff, v6
	v_add_co_u32_e32 v16, vcc, v6, v16
	v_add_u32_e32 v20, 6, v29
	v_addc_co_u32_e32 v17, vcc, 0, v17, vcc
	v_cmp_ne_u32_e32 vcc, 0, v20
                                        ; implicit-def: $vgpr49
	s_and_saveexec_b64 s[22:23], vcc
	s_xor_b64 s[22:23], exec, s[22:23]
; %bb.1305:                             ;   in Loop: Header=BB4_1289 Depth=2
	v_add_u32_e32 v6, 7, v29
	v_cmp_lt_u64_e32 vcc, s[48:49], v[16:17]
	v_cndmask_b32_e32 v49, v20, v6, vcc
	v_cndmask_b32_e64 v6, 0, 1, vcc
	v_lshrrev_b64 v[16:17], v6, v[16:17]
; %bb.1306:                             ;   in Loop: Header=BB4_1289 Depth=2
	s_andn2_saveexec_b64 s[22:23], s[22:23]
; %bb.1307:                             ;   in Loop: Header=BB4_1289 Depth=2
	v_bfe_u32 v49, v16, 23, 1
; %bb.1308:                             ;   in Loop: Header=BB4_1289 Depth=2
	s_or_b64 exec, exec, s[22:23]
	v_lshrrev_b64 v[6:7], 20, v[16:17]
	v_cmp_gt_i32_e32 vcc, 16, v49
	v_cndmask_b32_e32 v17, 0, v7, vcc
	v_cndmask_b32_e32 v16, 7, v6, vcc
	v_cmp_ne_u32_e32 vcc, 0, v49
	v_cmp_ne_u64_e64 s[22:23], 0, v[16:17]
	s_or_b64 s[22:23], vcc, s[22:23]
                                        ; implicit-def: $vgpr20
	s_and_saveexec_b64 vcc, s[22:23]
	s_xor_b64 s[22:23], exec, vcc
; %bb.1309:                             ;   in Loop: Header=BB4_1289 Depth=2
	v_min_i32_e32 v6, 15, v49
	v_lshl_or_b32 v6, v6, 3, v48
	v_and_or_b32 v20, v16, 7, v6
                                        ; implicit-def: $vgpr48
; %bb.1310:                             ;   in Loop: Header=BB4_1289 Depth=2
	s_andn2_saveexec_b64 s[22:23], s[22:23]
; %bb.1311:                             ;   in Loop: Header=BB4_1289 Depth=2
	v_mov_b32_e32 v20, v48
; %bb.1312:                             ;   in Loop: Header=BB4_1289 Depth=2
	s_or_b64 exec, exec, s[22:23]
.LBB4_1313:                             ;   in Loop: Header=BB4_1289 Depth=2
	s_or_b64 exec, exec, s[62:63]
.LBB4_1314:                             ;   in Loop: Header=BB4_1289 Depth=2
	s_andn2_saveexec_b64 s[22:23], s[60:61]
	s_or_b64 exec, exec, s[22:23]
                                        ; implicit-def: $vgpr16
.LBB4_1315:                             ;   in Loop: Header=BB4_1289 Depth=2
	s_andn2_saveexec_b64 s[22:23], s[58:59]
; %bb.1316:                             ;   in Loop: Header=BB4_1289 Depth=2
	v_or_b32_sdwa v6, v16, s76 dst_sel:DWORD dst_unused:UNUSED_PAD src0_sel:BYTE_3 src1_sel:DWORD
	v_cmp_eq_u64_e32 vcc, 0, v[56:57]
	v_cndmask_b32_e32 v20, v6, v20, vcc
; %bb.1317:                             ;   in Loop: Header=BB4_1289 Depth=2
	s_or_b64 exec, exec, s[22:23]
	v_and_b32_e32 v16, 0xff, v35
	v_cmp_ne_u16_e32 vcc, 0, v16
	v_mov_b32_e32 v17, 0
	v_mov_b32_e32 v48, 0
	s_and_saveexec_b64 s[22:23], vcc
	s_cbranch_execz .LBB4_1323
; %bb.1318:                             ;   in Loop: Header=BB4_1289 Depth=2
	v_cmp_ne_u16_e32 vcc, s75, v16
	v_bfrev_b32_e32 v48, 1
	s_and_saveexec_b64 s[58:59], vcc
	s_cbranch_execz .LBB4_1322
; %bb.1319:                             ;   in Loop: Header=BB4_1289 Depth=2
	v_and_b32_e32 v29, 0x7f, v35
	v_cmp_ne_u32_e32 vcc, s76, v29
	v_mov_b32_e32 v48, 0x7f800001
	s_and_saveexec_b64 s[60:61], vcc
	s_cbranch_execz .LBB4_1321
; %bb.1320:                             ;   in Loop: Header=BB4_1289 Depth=2
	v_and_b32_e32 v8, 7, v16
	v_ffbh_u32_e32 v6, v8
	v_min_u32_e32 v48, 32, v6
	v_subrev_u32_e32 v6, 28, v48
	v_lshlrev_b64 v[6:7], v6, v[16:17]
	v_lshrrev_b32_e32 v9, 3, v29
	v_sub_u32_e32 v7, 29, v48
	v_and_b32_e32 v6, 7, v6
	v_cmp_gt_u32_e32 vcc, 8, v29
	v_cndmask_b32_e32 v7, v9, v7, vcc
	v_cndmask_b32_e32 v6, v8, v6, vcc
	v_lshlrev_b32_e32 v8, 24, v35
	v_lshlrev_b32_e32 v6, 20, v6
	v_and_b32_e32 v8, 0x80000000, v8
	v_lshl_add_u32 v7, v7, 23, v51
	v_or3_b32 v48, v8, v7, v6
.LBB4_1321:                             ;   in Loop: Header=BB4_1289 Depth=2
	s_or_b64 exec, exec, s[60:61]
.LBB4_1322:                             ;   in Loop: Header=BB4_1289 Depth=2
	s_or_b64 exec, exec, s[58:59]
.LBB4_1323:                             ;   in Loop: Header=BB4_1289 Depth=2
	s_or_b64 exec, exec, s[22:23]
	v_and_b32_e32 v16, 0xff, v23
	v_cmp_ne_u16_e32 vcc, 0, v16
	s_and_saveexec_b64 s[22:23], vcc
	s_cbranch_execz .LBB4_1329
; %bb.1324:                             ;   in Loop: Header=BB4_1289 Depth=2
	v_cmp_ne_u16_e32 vcc, s75, v16
	v_bfrev_b32_e32 v17, 1
	s_and_saveexec_b64 s[58:59], vcc
	s_cbranch_execz .LBB4_1328
; %bb.1325:                             ;   in Loop: Header=BB4_1289 Depth=2
	v_and_b32_e32 v29, 0x7f, v23
	v_cmp_ne_u32_e32 vcc, s76, v29
	v_mov_b32_e32 v17, 0x7f800001
	s_and_saveexec_b64 s[60:61], vcc
	s_cbranch_execz .LBB4_1327
; %bb.1326:                             ;   in Loop: Header=BB4_1289 Depth=2
	v_and_b32_e32 v8, 7, v16
	v_ffbh_u32_e32 v6, v8
	v_min_u32_e32 v17, 32, v6
	v_subrev_u32_e32 v6, 28, v17
	v_lshlrev_b64 v[6:7], v6, v[16:17]
	v_lshrrev_b32_e32 v9, 3, v29
	v_sub_u32_e32 v7, 29, v17
	v_and_b32_e32 v6, 7, v6
	v_cmp_gt_u32_e32 vcc, 8, v29
	v_cndmask_b32_e32 v7, v9, v7, vcc
	v_cndmask_b32_e32 v6, v8, v6, vcc
	v_lshlrev_b32_e32 v8, 24, v23
	v_lshlrev_b32_e32 v6, 20, v6
	v_and_b32_e32 v8, 0x80000000, v8
	v_lshl_add_u32 v7, v7, 23, v51
	v_or3_b32 v17, v8, v7, v6
.LBB4_1327:                             ;   in Loop: Header=BB4_1289 Depth=2
	s_or_b64 exec, exec, s[60:61]
.LBB4_1328:                             ;   in Loop: Header=BB4_1289 Depth=2
	s_or_b64 exec, exec, s[58:59]
.LBB4_1329:                             ;   in Loop: Header=BB4_1289 Depth=2
	s_or_b64 exec, exec, s[22:23]
	v_add_f32_e32 v16, v48, v17
	v_and_b32_sdwa v35, v16, s75 dst_sel:DWORD dst_unused:UNUSED_PAD src0_sel:BYTE_3 src1_sel:DWORD
	v_and_b32_e32 v6, 0x7f800000, v16
	v_mov_b32_e32 v7, v57
	v_and_b32_e32 v56, 0x7fffff, v16
	v_or_b32_e32 v23, 0x7e, v35
	v_cmp_ne_u64_e32 vcc, s[42:43], v[6:7]
	s_and_saveexec_b64 s[22:23], vcc
	s_xor_b64 s[58:59], exec, s[22:23]
	s_cbranch_execz .LBB4_1343
; %bb.1330:                             ;   in Loop: Header=BB4_1289 Depth=2
	v_and_b32_e32 v6, 0x7fffffff, v16
	v_mov_b32_e32 v7, v57
	v_cmp_gt_u64_e32 vcc, s[44:45], v[6:7]
	s_and_saveexec_b64 s[22:23], vcc
	s_xor_b64 s[60:61], exec, s[22:23]
	s_cbranch_execz .LBB4_1342
; %bb.1331:                             ;   in Loop: Header=BB4_1289 Depth=2
	v_cmp_ne_u32_e32 vcc, 0, v16
	v_mov_b32_e32 v23, 0
	s_and_saveexec_b64 s[62:63], vcc
	s_cbranch_execz .LBB4_1341
; %bb.1332:                             ;   in Loop: Header=BB4_1289 Depth=2
	v_bfe_u32 v6, v16, 23, 8
	v_sub_u32_e32 v8, 0x79, v6
	v_cmp_gt_u32_e32 vcc, s77, v6
	v_add_u32_e32 v7, 0xffffff81, v6
	v_cndmask_b32_e32 v8, 0, v8, vcc
	v_cmp_eq_u32_e32 vcc, 0, v6
	v_mov_b32_e32 v6, 0xffffff82
	v_cndmask_b32_e32 v23, v7, v6, vcc
	v_mov_b32_e32 v6, 0x78
	v_or_b32_e32 v9, 0x800000, v56
	v_cndmask_b32_e32 v29, v8, v6, vcc
	v_cndmask_b32_e32 v56, v9, v56, vcc
	v_add_u32_e32 v6, 20, v29
	v_lshlrev_b64 v[6:7], v6, -1
	v_lshrrev_b64 v[16:17], v29, v[56:57]
	v_not_b32_e32 v7, v7
	v_not_b32_e32 v6, v6
	v_add_u32_e32 v8, 19, v29
	v_lshrrev_b32_e32 v48, 23, v16
	v_and_b32_e32 v7, 0, v7
	v_and_b32_e32 v6, v56, v6
	v_lshlrev_b64 v[8:9], v8, 1
	v_add3_u32 v29, v29, v23, v48
	v_bfe_u32 v48, v16, 20, 1
	v_add_u32_e32 v48, -1, v48
	v_cmp_eq_u64_e32 vcc, v[6:7], v[8:9]
	v_cndmask_b32_e32 v6, 0, v48, vcc
	v_add_u32_e32 v6, v6, v16
	v_and_b32_e32 v6, 0xfffff, v6
	v_add_co_u32_e32 v16, vcc, v6, v16
	v_add_u32_e32 v23, 6, v29
	v_addc_co_u32_e32 v17, vcc, 0, v17, vcc
	v_cmp_ne_u32_e32 vcc, 0, v23
                                        ; implicit-def: $vgpr48
	s_and_saveexec_b64 s[22:23], vcc
	s_xor_b64 s[22:23], exec, s[22:23]
; %bb.1333:                             ;   in Loop: Header=BB4_1289 Depth=2
	v_add_u32_e32 v6, 7, v29
	v_cmp_lt_u64_e32 vcc, s[48:49], v[16:17]
	v_cndmask_b32_e32 v48, v23, v6, vcc
	v_cndmask_b32_e64 v6, 0, 1, vcc
	v_lshrrev_b64 v[16:17], v6, v[16:17]
; %bb.1334:                             ;   in Loop: Header=BB4_1289 Depth=2
	s_andn2_saveexec_b64 s[22:23], s[22:23]
; %bb.1335:                             ;   in Loop: Header=BB4_1289 Depth=2
	v_bfe_u32 v48, v16, 23, 1
; %bb.1336:                             ;   in Loop: Header=BB4_1289 Depth=2
	s_or_b64 exec, exec, s[22:23]
	v_lshrrev_b64 v[6:7], 20, v[16:17]
	v_cmp_gt_i32_e32 vcc, 16, v48
	v_cndmask_b32_e32 v17, 0, v7, vcc
	v_cndmask_b32_e32 v16, 7, v6, vcc
	v_cmp_ne_u32_e32 vcc, 0, v48
	v_cmp_ne_u64_e64 s[22:23], 0, v[16:17]
	s_or_b64 s[22:23], vcc, s[22:23]
                                        ; implicit-def: $vgpr23
	s_and_saveexec_b64 vcc, s[22:23]
	s_xor_b64 s[22:23], exec, vcc
; %bb.1337:                             ;   in Loop: Header=BB4_1289 Depth=2
	v_min_i32_e32 v6, 15, v48
	v_lshl_or_b32 v6, v6, 3, v35
	v_and_or_b32 v23, v16, 7, v6
                                        ; implicit-def: $vgpr35
; %bb.1338:                             ;   in Loop: Header=BB4_1289 Depth=2
	s_andn2_saveexec_b64 s[22:23], s[22:23]
; %bb.1339:                             ;   in Loop: Header=BB4_1289 Depth=2
	v_mov_b32_e32 v23, v35
; %bb.1340:                             ;   in Loop: Header=BB4_1289 Depth=2
	s_or_b64 exec, exec, s[22:23]
.LBB4_1341:                             ;   in Loop: Header=BB4_1289 Depth=2
	s_or_b64 exec, exec, s[62:63]
.LBB4_1342:                             ;   in Loop: Header=BB4_1289 Depth=2
	s_andn2_saveexec_b64 s[22:23], s[60:61]
	s_or_b64 exec, exec, s[22:23]
                                        ; implicit-def: $vgpr16
.LBB4_1343:                             ;   in Loop: Header=BB4_1289 Depth=2
	s_andn2_saveexec_b64 s[22:23], s[58:59]
; %bb.1344:                             ;   in Loop: Header=BB4_1289 Depth=2
	v_or_b32_sdwa v6, v16, s76 dst_sel:DWORD dst_unused:UNUSED_PAD src0_sel:BYTE_3 src1_sel:DWORD
	v_cmp_eq_u64_e32 vcc, 0, v[56:57]
	v_cndmask_b32_e32 v23, v6, v23, vcc
; %bb.1345:                             ;   in Loop: Header=BB4_1289 Depth=2
	s_or_b64 exec, exec, s[22:23]
	v_and_b32_e32 v16, 0xff, v27
	v_cmp_ne_u16_e32 vcc, 0, v16
	v_mov_b32_e32 v17, 0
	v_mov_b32_e32 v35, 0
	s_and_saveexec_b64 s[22:23], vcc
	s_cbranch_execz .LBB4_1351
; %bb.1346:                             ;   in Loop: Header=BB4_1289 Depth=2
	v_cmp_ne_u16_e32 vcc, s75, v16
	v_bfrev_b32_e32 v35, 1
	s_and_saveexec_b64 s[58:59], vcc
	s_cbranch_execz .LBB4_1350
; %bb.1347:                             ;   in Loop: Header=BB4_1289 Depth=2
	v_and_b32_e32 v29, 0x7f, v27
	v_cmp_ne_u32_e32 vcc, s76, v29
	v_mov_b32_e32 v35, 0x7f800001
	s_and_saveexec_b64 s[60:61], vcc
	s_cbranch_execz .LBB4_1349
; %bb.1348:                             ;   in Loop: Header=BB4_1289 Depth=2
	v_and_b32_e32 v8, 7, v16
	v_ffbh_u32_e32 v6, v8
	v_min_u32_e32 v35, 32, v6
	v_subrev_u32_e32 v6, 28, v35
	v_lshlrev_b64 v[6:7], v6, v[16:17]
	v_lshrrev_b32_e32 v9, 3, v29
	v_sub_u32_e32 v7, 29, v35
	v_and_b32_e32 v6, 7, v6
	v_cmp_gt_u32_e32 vcc, 8, v29
	v_cndmask_b32_e32 v7, v9, v7, vcc
	v_cndmask_b32_e32 v6, v8, v6, vcc
	v_lshlrev_b32_e32 v8, 24, v27
	v_lshlrev_b32_e32 v6, 20, v6
	v_and_b32_e32 v8, 0x80000000, v8
	v_lshl_add_u32 v7, v7, 23, v51
	v_or3_b32 v35, v8, v7, v6
.LBB4_1349:                             ;   in Loop: Header=BB4_1289 Depth=2
	s_or_b64 exec, exec, s[60:61]
.LBB4_1350:                             ;   in Loop: Header=BB4_1289 Depth=2
	s_or_b64 exec, exec, s[58:59]
.LBB4_1351:                             ;   in Loop: Header=BB4_1289 Depth=2
	s_or_b64 exec, exec, s[22:23]
	v_and_b32_e32 v16, 0xff, v26
	v_cmp_ne_u16_e32 vcc, 0, v16
	s_and_saveexec_b64 s[22:23], vcc
	s_cbranch_execz .LBB4_1357
; %bb.1352:                             ;   in Loop: Header=BB4_1289 Depth=2
	v_cmp_ne_u16_e32 vcc, s75, v16
	v_bfrev_b32_e32 v17, 1
	s_and_saveexec_b64 s[58:59], vcc
	s_cbranch_execz .LBB4_1356
; %bb.1353:                             ;   in Loop: Header=BB4_1289 Depth=2
	v_and_b32_e32 v27, 0x7f, v26
	v_cmp_ne_u32_e32 vcc, s76, v27
	v_mov_b32_e32 v17, 0x7f800001
	s_and_saveexec_b64 s[60:61], vcc
	s_cbranch_execz .LBB4_1355
; %bb.1354:                             ;   in Loop: Header=BB4_1289 Depth=2
	v_and_b32_e32 v8, 7, v16
	v_ffbh_u32_e32 v6, v8
	v_min_u32_e32 v17, 32, v6
	v_subrev_u32_e32 v6, 28, v17
	v_lshlrev_b64 v[6:7], v6, v[16:17]
	v_lshrrev_b32_e32 v9, 3, v27
	v_sub_u32_e32 v7, 29, v17
	v_and_b32_e32 v6, 7, v6
	v_cmp_gt_u32_e32 vcc, 8, v27
	v_cndmask_b32_e32 v7, v9, v7, vcc
	v_cndmask_b32_e32 v6, v8, v6, vcc
	v_lshlrev_b32_e32 v8, 24, v26
	v_lshlrev_b32_e32 v6, 20, v6
	v_and_b32_e32 v8, 0x80000000, v8
	v_lshl_add_u32 v7, v7, 23, v51
	v_or3_b32 v17, v8, v7, v6
.LBB4_1355:                             ;   in Loop: Header=BB4_1289 Depth=2
	s_or_b64 exec, exec, s[60:61]
.LBB4_1356:                             ;   in Loop: Header=BB4_1289 Depth=2
	s_or_b64 exec, exec, s[58:59]
.LBB4_1357:                             ;   in Loop: Header=BB4_1289 Depth=2
	s_or_b64 exec, exec, s[22:23]
	v_add_f32_e32 v16, v35, v17
	v_and_b32_sdwa v27, v16, s75 dst_sel:DWORD dst_unused:UNUSED_PAD src0_sel:BYTE_3 src1_sel:DWORD
	v_and_b32_e32 v6, 0x7f800000, v16
	v_mov_b32_e32 v7, v57
	v_and_b32_e32 v56, 0x7fffff, v16
	v_or_b32_e32 v26, 0x7e, v27
	v_cmp_ne_u64_e32 vcc, s[42:43], v[6:7]
	s_and_saveexec_b64 s[22:23], vcc
	s_xor_b64 s[58:59], exec, s[22:23]
	s_cbranch_execz .LBB4_1371
; %bb.1358:                             ;   in Loop: Header=BB4_1289 Depth=2
	v_and_b32_e32 v6, 0x7fffffff, v16
	v_mov_b32_e32 v7, v57
	v_cmp_gt_u64_e32 vcc, s[44:45], v[6:7]
	s_and_saveexec_b64 s[22:23], vcc
	s_xor_b64 s[60:61], exec, s[22:23]
	s_cbranch_execz .LBB4_1370
; %bb.1359:                             ;   in Loop: Header=BB4_1289 Depth=2
	v_cmp_ne_u32_e32 vcc, 0, v16
	v_mov_b32_e32 v26, 0
	s_and_saveexec_b64 s[62:63], vcc
	s_cbranch_execz .LBB4_1369
; %bb.1360:                             ;   in Loop: Header=BB4_1289 Depth=2
	v_bfe_u32 v6, v16, 23, 8
	v_sub_u32_e32 v8, 0x79, v6
	v_cmp_gt_u32_e32 vcc, s77, v6
	v_add_u32_e32 v7, 0xffffff81, v6
	v_cndmask_b32_e32 v8, 0, v8, vcc
	v_cmp_eq_u32_e32 vcc, 0, v6
	v_mov_b32_e32 v6, 0xffffff82
	v_cndmask_b32_e32 v26, v7, v6, vcc
	v_mov_b32_e32 v6, 0x78
	v_or_b32_e32 v9, 0x800000, v56
	v_cndmask_b32_e32 v29, v8, v6, vcc
	v_cndmask_b32_e32 v56, v9, v56, vcc
	v_add_u32_e32 v6, 20, v29
	v_lshlrev_b64 v[6:7], v6, -1
	v_lshrrev_b64 v[16:17], v29, v[56:57]
	v_not_b32_e32 v7, v7
	v_not_b32_e32 v6, v6
	v_add_u32_e32 v8, 19, v29
	v_lshrrev_b32_e32 v35, 23, v16
	v_and_b32_e32 v7, 0, v7
	v_and_b32_e32 v6, v56, v6
	v_lshlrev_b64 v[8:9], v8, 1
	v_add3_u32 v29, v29, v26, v35
	v_bfe_u32 v35, v16, 20, 1
	v_add_u32_e32 v35, -1, v35
	v_cmp_eq_u64_e32 vcc, v[6:7], v[8:9]
	v_cndmask_b32_e32 v6, 0, v35, vcc
	v_add_u32_e32 v6, v6, v16
	v_and_b32_e32 v6, 0xfffff, v6
	v_add_co_u32_e32 v16, vcc, v6, v16
	v_add_u32_e32 v26, 6, v29
	v_addc_co_u32_e32 v17, vcc, 0, v17, vcc
	v_cmp_ne_u32_e32 vcc, 0, v26
                                        ; implicit-def: $vgpr35
	s_and_saveexec_b64 s[22:23], vcc
	s_xor_b64 s[22:23], exec, s[22:23]
; %bb.1361:                             ;   in Loop: Header=BB4_1289 Depth=2
	v_add_u32_e32 v6, 7, v29
	v_cmp_lt_u64_e32 vcc, s[48:49], v[16:17]
	v_cndmask_b32_e32 v35, v26, v6, vcc
	v_cndmask_b32_e64 v6, 0, 1, vcc
	v_lshrrev_b64 v[16:17], v6, v[16:17]
; %bb.1362:                             ;   in Loop: Header=BB4_1289 Depth=2
	s_andn2_saveexec_b64 s[22:23], s[22:23]
; %bb.1363:                             ;   in Loop: Header=BB4_1289 Depth=2
	v_bfe_u32 v35, v16, 23, 1
; %bb.1364:                             ;   in Loop: Header=BB4_1289 Depth=2
	s_or_b64 exec, exec, s[22:23]
	v_lshrrev_b64 v[6:7], 20, v[16:17]
	v_cmp_gt_i32_e32 vcc, 16, v35
	v_cndmask_b32_e32 v17, 0, v7, vcc
	v_cndmask_b32_e32 v16, 7, v6, vcc
	v_cmp_ne_u32_e32 vcc, 0, v35
	v_cmp_ne_u64_e64 s[22:23], 0, v[16:17]
	s_or_b64 s[22:23], vcc, s[22:23]
                                        ; implicit-def: $vgpr26
	s_and_saveexec_b64 vcc, s[22:23]
	s_xor_b64 s[22:23], exec, vcc
; %bb.1365:                             ;   in Loop: Header=BB4_1289 Depth=2
	v_min_i32_e32 v6, 15, v35
	v_lshl_or_b32 v6, v6, 3, v27
	v_and_or_b32 v26, v16, 7, v6
                                        ; implicit-def: $vgpr27
; %bb.1366:                             ;   in Loop: Header=BB4_1289 Depth=2
	s_andn2_saveexec_b64 s[22:23], s[22:23]
; %bb.1367:                             ;   in Loop: Header=BB4_1289 Depth=2
	v_mov_b32_e32 v26, v27
; %bb.1368:                             ;   in Loop: Header=BB4_1289 Depth=2
	s_or_b64 exec, exec, s[22:23]
.LBB4_1369:                             ;   in Loop: Header=BB4_1289 Depth=2
	s_or_b64 exec, exec, s[62:63]
.LBB4_1370:                             ;   in Loop: Header=BB4_1289 Depth=2
	s_andn2_saveexec_b64 s[22:23], s[60:61]
	s_or_b64 exec, exec, s[22:23]
                                        ; implicit-def: $vgpr16
.LBB4_1371:                             ;   in Loop: Header=BB4_1289 Depth=2
	s_andn2_saveexec_b64 s[22:23], s[58:59]
; %bb.1372:                             ;   in Loop: Header=BB4_1289 Depth=2
	v_or_b32_sdwa v6, v16, s76 dst_sel:DWORD dst_unused:UNUSED_PAD src0_sel:BYTE_3 src1_sel:DWORD
	v_cmp_eq_u64_e32 vcc, 0, v[56:57]
	v_cndmask_b32_e32 v26, v6, v26, vcc
; %bb.1373:                             ;   in Loop: Header=BB4_1289 Depth=2
	s_or_b64 exec, exec, s[22:23]
	v_and_b32_e32 v16, 0xff, v5
	v_cmp_ne_u16_e32 vcc, 0, v16
	v_mov_b32_e32 v17, 0
	v_mov_b32_e32 v27, 0
	s_and_saveexec_b64 s[22:23], vcc
	s_cbranch_execz .LBB4_1379
; %bb.1374:                             ;   in Loop: Header=BB4_1289 Depth=2
	v_cmp_ne_u16_e32 vcc, s75, v16
	v_bfrev_b32_e32 v27, 1
	s_and_saveexec_b64 s[58:59], vcc
	s_cbranch_execz .LBB4_1378
; %bb.1375:                             ;   in Loop: Header=BB4_1289 Depth=2
	v_and_b32_e32 v29, 0x7f, v5
	v_cmp_ne_u32_e32 vcc, s76, v29
	v_mov_b32_e32 v27, 0x7f800001
	s_and_saveexec_b64 s[60:61], vcc
	s_cbranch_execz .LBB4_1377
; %bb.1376:                             ;   in Loop: Header=BB4_1289 Depth=2
	v_and_b32_e32 v8, 7, v16
	v_ffbh_u32_e32 v6, v8
	v_min_u32_e32 v27, 32, v6
	v_subrev_u32_e32 v6, 28, v27
	v_lshlrev_b64 v[6:7], v6, v[16:17]
	v_lshrrev_b32_e32 v9, 3, v29
	v_sub_u32_e32 v7, 29, v27
	v_and_b32_e32 v6, 7, v6
	v_cmp_gt_u32_e32 vcc, 8, v29
	v_cndmask_b32_e32 v7, v9, v7, vcc
	v_cndmask_b32_e32 v6, v8, v6, vcc
	v_lshlrev_b32_e32 v5, 24, v5
	v_lshlrev_b32_e32 v6, 20, v6
	v_and_b32_e32 v5, 0x80000000, v5
	v_lshl_add_u32 v7, v7, 23, v51
	v_or3_b32 v27, v5, v7, v6
.LBB4_1377:                             ;   in Loop: Header=BB4_1289 Depth=2
	s_or_b64 exec, exec, s[60:61]
.LBB4_1378:                             ;   in Loop: Header=BB4_1289 Depth=2
	s_or_b64 exec, exec, s[58:59]
.LBB4_1379:                             ;   in Loop: Header=BB4_1289 Depth=2
	s_or_b64 exec, exec, s[22:23]
	v_and_b32_e32 v16, 0xff, v4
	v_cmp_ne_u16_e32 vcc, 0, v16
	s_and_saveexec_b64 s[22:23], vcc
	s_cbranch_execz .LBB4_1385
; %bb.1380:                             ;   in Loop: Header=BB4_1289 Depth=2
	v_cmp_ne_u16_e32 vcc, s75, v16
	v_bfrev_b32_e32 v17, 1
	s_and_saveexec_b64 s[58:59], vcc
	s_cbranch_execz .LBB4_1384
; %bb.1381:                             ;   in Loop: Header=BB4_1289 Depth=2
	v_and_b32_e32 v5, 0x7f, v4
	v_cmp_ne_u32_e32 vcc, s76, v5
	v_mov_b32_e32 v17, 0x7f800001
	s_and_saveexec_b64 s[60:61], vcc
	s_cbranch_execz .LBB4_1383
; %bb.1382:                             ;   in Loop: Header=BB4_1289 Depth=2
	v_and_b32_e32 v8, 7, v16
	v_ffbh_u32_e32 v6, v8
	v_min_u32_e32 v17, 32, v6
	v_subrev_u32_e32 v6, 28, v17
	v_lshlrev_b64 v[6:7], v6, v[16:17]
	v_lshrrev_b32_e32 v9, 3, v5
	v_sub_u32_e32 v7, 29, v17
	v_and_b32_e32 v6, 7, v6
	v_cmp_gt_u32_e32 vcc, 8, v5
	v_cndmask_b32_e32 v5, v9, v7, vcc
	v_cndmask_b32_e32 v6, v8, v6, vcc
	v_lshlrev_b32_e32 v4, 24, v4
	v_lshlrev_b32_e32 v6, 20, v6
	v_and_b32_e32 v4, 0x80000000, v4
	v_lshl_add_u32 v5, v5, 23, v51
	v_or3_b32 v17, v4, v5, v6
.LBB4_1383:                             ;   in Loop: Header=BB4_1289 Depth=2
	s_or_b64 exec, exec, s[60:61]
.LBB4_1384:                             ;   in Loop: Header=BB4_1289 Depth=2
	s_or_b64 exec, exec, s[58:59]
.LBB4_1385:                             ;   in Loop: Header=BB4_1289 Depth=2
	s_or_b64 exec, exec, s[22:23]
	v_add_f32_e32 v5, v27, v17
	v_and_b32_sdwa v4, v5, s75 dst_sel:DWORD dst_unused:UNUSED_PAD src0_sel:BYTE_3 src1_sel:DWORD
	v_and_b32_e32 v6, 0x7f800000, v5
	v_mov_b32_e32 v7, v57
	v_and_b32_e32 v56, 0x7fffff, v5
	v_or_b32_e32 v27, 0x7e, v4
	v_cmp_ne_u64_e32 vcc, s[42:43], v[6:7]
	s_and_saveexec_b64 s[22:23], vcc
	s_xor_b64 s[58:59], exec, s[22:23]
	s_cbranch_execz .LBB4_1399
; %bb.1386:                             ;   in Loop: Header=BB4_1289 Depth=2
	v_and_b32_e32 v6, 0x7fffffff, v5
	v_mov_b32_e32 v7, v57
	v_cmp_gt_u64_e32 vcc, s[44:45], v[6:7]
	s_and_saveexec_b64 s[22:23], vcc
	s_xor_b64 s[60:61], exec, s[22:23]
	s_cbranch_execz .LBB4_1398
; %bb.1387:                             ;   in Loop: Header=BB4_1289 Depth=2
	v_cmp_ne_u32_e32 vcc, 0, v5
	v_mov_b32_e32 v27, 0
	s_and_saveexec_b64 s[62:63], vcc
	s_cbranch_execz .LBB4_1397
; %bb.1388:                             ;   in Loop: Header=BB4_1289 Depth=2
	v_bfe_u32 v5, v5, 23, 8
	v_sub_u32_e32 v7, 0x79, v5
	v_cmp_gt_u32_e32 vcc, s77, v5
	v_add_u32_e32 v6, 0xffffff81, v5
	v_cndmask_b32_e32 v7, 0, v7, vcc
	v_cmp_eq_u32_e32 vcc, 0, v5
	v_mov_b32_e32 v5, 0xffffff82
	v_cndmask_b32_e32 v5, v6, v5, vcc
	v_mov_b32_e32 v6, 0x78
	v_or_b32_e32 v8, 0x800000, v56
	v_cndmask_b32_e32 v27, v7, v6, vcc
	v_cndmask_b32_e32 v56, v8, v56, vcc
	v_add_u32_e32 v6, 20, v27
	v_lshlrev_b64 v[6:7], v6, -1
	v_lshrrev_b64 v[16:17], v27, v[56:57]
	v_not_b32_e32 v7, v7
	v_not_b32_e32 v6, v6
	v_add_u32_e32 v8, 19, v27
	v_lshrrev_b32_e32 v29, 23, v16
	v_and_b32_e32 v7, 0, v7
	v_and_b32_e32 v6, v56, v6
	v_lshlrev_b64 v[8:9], v8, 1
	v_add3_u32 v29, v27, v5, v29
	v_bfe_u32 v5, v16, 20, 1
	v_add_u32_e32 v5, -1, v5
	v_cmp_eq_u64_e32 vcc, v[6:7], v[8:9]
	v_cndmask_b32_e32 v5, 0, v5, vcc
	v_add_u32_e32 v5, v5, v16
	v_and_b32_e32 v5, 0xfffff, v5
	v_add_co_u32_e32 v16, vcc, v5, v16
	v_add_u32_e32 v27, 6, v29
	v_addc_co_u32_e32 v17, vcc, 0, v17, vcc
	v_cmp_ne_u32_e32 vcc, 0, v27
                                        ; implicit-def: $vgpr5
	s_and_saveexec_b64 s[22:23], vcc
	s_xor_b64 s[22:23], exec, s[22:23]
; %bb.1389:                             ;   in Loop: Header=BB4_1289 Depth=2
	v_cmp_lt_u64_e32 vcc, s[48:49], v[16:17]
	v_add_u32_e32 v5, 7, v29
	v_cndmask_b32_e64 v6, 0, 1, vcc
	v_cndmask_b32_e32 v5, v27, v5, vcc
	v_lshrrev_b64 v[16:17], v6, v[16:17]
; %bb.1390:                             ;   in Loop: Header=BB4_1289 Depth=2
	s_andn2_saveexec_b64 s[22:23], s[22:23]
; %bb.1391:                             ;   in Loop: Header=BB4_1289 Depth=2
	v_bfe_u32 v5, v16, 23, 1
; %bb.1392:                             ;   in Loop: Header=BB4_1289 Depth=2
	s_or_b64 exec, exec, s[22:23]
	v_lshrrev_b64 v[6:7], 20, v[16:17]
	v_cmp_gt_i32_e32 vcc, 16, v5
	v_cndmask_b32_e32 v17, 0, v7, vcc
	v_cndmask_b32_e32 v16, 7, v6, vcc
	v_cmp_ne_u32_e32 vcc, 0, v5
	v_cmp_ne_u64_e64 s[22:23], 0, v[16:17]
	s_or_b64 s[22:23], vcc, s[22:23]
                                        ; implicit-def: $vgpr27
	s_and_saveexec_b64 vcc, s[22:23]
	s_xor_b64 s[22:23], exec, vcc
; %bb.1393:                             ;   in Loop: Header=BB4_1289 Depth=2
	v_min_i32_e32 v5, 15, v5
	v_lshl_or_b32 v4, v5, 3, v4
	v_and_or_b32 v27, v16, 7, v4
                                        ; implicit-def: $vgpr4
; %bb.1394:                             ;   in Loop: Header=BB4_1289 Depth=2
	s_andn2_saveexec_b64 s[22:23], s[22:23]
; %bb.1395:                             ;   in Loop: Header=BB4_1289 Depth=2
	v_mov_b32_e32 v27, v4
; %bb.1396:                             ;   in Loop: Header=BB4_1289 Depth=2
	s_or_b64 exec, exec, s[22:23]
.LBB4_1397:                             ;   in Loop: Header=BB4_1289 Depth=2
	s_or_b64 exec, exec, s[62:63]
.LBB4_1398:                             ;   in Loop: Header=BB4_1289 Depth=2
	s_andn2_saveexec_b64 s[22:23], s[60:61]
	s_or_b64 exec, exec, s[22:23]
                                        ; implicit-def: $vgpr5
.LBB4_1399:                             ;   in Loop: Header=BB4_1289 Depth=2
	s_andn2_saveexec_b64 s[22:23], s[58:59]
; %bb.1400:                             ;   in Loop: Header=BB4_1289 Depth=2
	v_or_b32_sdwa v4, v5, s76 dst_sel:DWORD dst_unused:UNUSED_PAD src0_sel:BYTE_3 src1_sel:DWORD
	v_cmp_eq_u64_e32 vcc, 0, v[56:57]
	v_cndmask_b32_e32 v27, v4, v27, vcc
; %bb.1401:                             ;   in Loop: Header=BB4_1289 Depth=2
	s_or_b64 exec, exec, s[22:23]
	v_and_b32_e32 v16, 0xff, v34
	v_cmp_ne_u16_e32 vcc, 0, v16
	v_mov_b32_e32 v4, 0
	v_mov_b32_e32 v5, 0
	s_and_saveexec_b64 s[22:23], vcc
	s_cbranch_execz .LBB4_1407
; %bb.1402:                             ;   in Loop: Header=BB4_1289 Depth=2
	v_cmp_ne_u16_e32 vcc, s75, v16
	v_bfrev_b32_e32 v5, 1
	s_and_saveexec_b64 s[58:59], vcc
	s_cbranch_execz .LBB4_1406
; %bb.1403:                             ;   in Loop: Header=BB4_1289 Depth=2
	v_and_b32_e32 v17, 0x7f, v34
	v_cmp_ne_u32_e32 vcc, s76, v17
	v_mov_b32_e32 v5, 0x7f800001
	s_and_saveexec_b64 s[60:61], vcc
	s_cbranch_execz .LBB4_1405
; %bb.1404:                             ;   in Loop: Header=BB4_1289 Depth=2
	v_and_b32_e32 v5, 7, v16
	v_ffbh_u32_e32 v6, v5
	v_min_u32_e32 v9, 32, v6
	v_subrev_u32_e32 v6, 28, v9
	v_lshlrev_b64 v[6:7], v6, v[16:17]
	v_lshrrev_b32_e32 v8, 3, v17
	v_sub_u32_e32 v7, 29, v9
	v_and_b32_e32 v6, 7, v6
	v_cmp_gt_u32_e32 vcc, 8, v17
	v_cndmask_b32_e32 v7, v8, v7, vcc
	v_cndmask_b32_e32 v5, v5, v6, vcc
	v_lshlrev_b32_e32 v6, 24, v34
	v_lshlrev_b32_e32 v5, 20, v5
	v_and_b32_e32 v6, 0x80000000, v6
	v_lshl_add_u32 v7, v7, 23, v51
	v_or3_b32 v5, v6, v7, v5
.LBB4_1405:                             ;   in Loop: Header=BB4_1289 Depth=2
	s_or_b64 exec, exec, s[60:61]
.LBB4_1406:                             ;   in Loop: Header=BB4_1289 Depth=2
	s_or_b64 exec, exec, s[58:59]
.LBB4_1407:                             ;   in Loop: Header=BB4_1289 Depth=2
	s_or_b64 exec, exec, s[22:23]
	v_and_b32_e32 v16, 0xff, v31
	v_cmp_ne_u16_e32 vcc, 0, v16
	s_and_saveexec_b64 s[22:23], vcc
	s_cbranch_execz .LBB4_1413
; %bb.1408:                             ;   in Loop: Header=BB4_1289 Depth=2
	v_cmp_ne_u16_e32 vcc, s75, v16
	v_bfrev_b32_e32 v4, 1
	s_and_saveexec_b64 s[58:59], vcc
	s_cbranch_execz .LBB4_1412
; %bb.1409:                             ;   in Loop: Header=BB4_1289 Depth=2
	v_and_b32_e32 v17, 0x7f, v31
	v_cmp_ne_u32_e32 vcc, s76, v17
	v_mov_b32_e32 v4, 0x7f800001
	s_and_saveexec_b64 s[60:61], vcc
	s_cbranch_execz .LBB4_1411
; %bb.1410:                             ;   in Loop: Header=BB4_1289 Depth=2
	v_and_b32_e32 v4, 7, v16
	v_ffbh_u32_e32 v6, v4
	v_min_u32_e32 v9, 32, v6
	v_subrev_u32_e32 v6, 28, v9
	v_lshlrev_b64 v[6:7], v6, v[16:17]
	v_lshrrev_b32_e32 v8, 3, v17
	v_sub_u32_e32 v7, 29, v9
	v_and_b32_e32 v6, 7, v6
	v_cmp_gt_u32_e32 vcc, 8, v17
	v_cndmask_b32_e32 v7, v8, v7, vcc
	v_cndmask_b32_e32 v4, v4, v6, vcc
	v_lshlrev_b32_e32 v6, 24, v31
	v_lshlrev_b32_e32 v4, 20, v4
	v_and_b32_e32 v6, 0x80000000, v6
	v_lshl_add_u32 v7, v7, 23, v51
	v_or3_b32 v4, v6, v7, v4
.LBB4_1411:                             ;   in Loop: Header=BB4_1289 Depth=2
	s_or_b64 exec, exec, s[60:61]
.LBB4_1412:                             ;   in Loop: Header=BB4_1289 Depth=2
	s_or_b64 exec, exec, s[58:59]
.LBB4_1413:                             ;   in Loop: Header=BB4_1289 Depth=2
	s_or_b64 exec, exec, s[22:23]
	v_add_f32_e32 v16, v5, v4
	v_and_b32_sdwa v5, v16, s75 dst_sel:DWORD dst_unused:UNUSED_PAD src0_sel:BYTE_3 src1_sel:DWORD
	v_and_b32_e32 v6, 0x7f800000, v16
	v_mov_b32_e32 v7, v57
	v_and_b32_e32 v56, 0x7fffff, v16
	v_or_b32_e32 v4, 0x7e, v5
	v_cmp_ne_u64_e32 vcc, s[42:43], v[6:7]
	s_and_saveexec_b64 s[22:23], vcc
	s_xor_b64 s[58:59], exec, s[22:23]
	s_cbranch_execz .LBB4_1427
; %bb.1414:                             ;   in Loop: Header=BB4_1289 Depth=2
	v_and_b32_e32 v6, 0x7fffffff, v16
	v_mov_b32_e32 v7, v57
	v_cmp_gt_u64_e32 vcc, s[44:45], v[6:7]
	s_and_saveexec_b64 s[22:23], vcc
	s_xor_b64 s[60:61], exec, s[22:23]
	s_cbranch_execz .LBB4_1426
; %bb.1415:                             ;   in Loop: Header=BB4_1289 Depth=2
	v_cmp_ne_u32_e32 vcc, 0, v16
	v_mov_b32_e32 v4, 0
	s_and_saveexec_b64 s[62:63], vcc
	s_cbranch_execz .LBB4_1425
; %bb.1416:                             ;   in Loop: Header=BB4_1289 Depth=2
	v_bfe_u32 v4, v16, 23, 8
	v_sub_u32_e32 v7, 0x79, v4
	v_cmp_gt_u32_e32 vcc, s77, v4
	v_add_u32_e32 v6, 0xffffff81, v4
	v_cndmask_b32_e32 v7, 0, v7, vcc
	v_cmp_eq_u32_e32 vcc, 0, v4
	v_mov_b32_e32 v4, 0xffffff82
	v_cndmask_b32_e32 v4, v6, v4, vcc
	v_mov_b32_e32 v6, 0x78
	v_or_b32_e32 v8, 0x800000, v56
	v_cndmask_b32_e32 v29, v7, v6, vcc
	v_cndmask_b32_e32 v56, v8, v56, vcc
	v_add_u32_e32 v6, 20, v29
	v_lshlrev_b64 v[6:7], v6, -1
	v_lshrrev_b64 v[16:17], v29, v[56:57]
	v_not_b32_e32 v7, v7
	v_not_b32_e32 v6, v6
	v_add_u32_e32 v8, 19, v29
	v_lshrrev_b32_e32 v31, 23, v16
	v_and_b32_e32 v7, 0, v7
	v_and_b32_e32 v6, v56, v6
	v_lshlrev_b64 v[8:9], v8, 1
	v_add3_u32 v29, v29, v4, v31
	v_bfe_u32 v31, v16, 20, 1
	v_add_u32_e32 v31, -1, v31
	v_cmp_eq_u64_e32 vcc, v[6:7], v[8:9]
	v_cndmask_b32_e32 v6, 0, v31, vcc
	v_add_u32_e32 v6, v6, v16
	v_and_b32_e32 v6, 0xfffff, v6
	v_add_co_u32_e32 v16, vcc, v6, v16
	v_add_u32_e32 v4, 6, v29
	v_addc_co_u32_e32 v17, vcc, 0, v17, vcc
	v_cmp_ne_u32_e32 vcc, 0, v4
                                        ; implicit-def: $vgpr31
	s_and_saveexec_b64 s[22:23], vcc
	s_xor_b64 s[22:23], exec, s[22:23]
; %bb.1417:                             ;   in Loop: Header=BB4_1289 Depth=2
	v_add_u32_e32 v6, 7, v29
	v_cmp_lt_u64_e32 vcc, s[48:49], v[16:17]
	v_cndmask_b32_e32 v31, v4, v6, vcc
	v_cndmask_b32_e64 v4, 0, 1, vcc
	v_lshrrev_b64 v[16:17], v4, v[16:17]
; %bb.1418:                             ;   in Loop: Header=BB4_1289 Depth=2
	s_andn2_saveexec_b64 s[22:23], s[22:23]
; %bb.1419:                             ;   in Loop: Header=BB4_1289 Depth=2
	v_bfe_u32 v31, v16, 23, 1
; %bb.1420:                             ;   in Loop: Header=BB4_1289 Depth=2
	s_or_b64 exec, exec, s[22:23]
	v_lshrrev_b64 v[6:7], 20, v[16:17]
	v_cmp_gt_i32_e32 vcc, 16, v31
	v_cndmask_b32_e32 v17, 0, v7, vcc
	v_cndmask_b32_e32 v16, 7, v6, vcc
	v_cmp_ne_u32_e32 vcc, 0, v31
	v_cmp_ne_u64_e64 s[22:23], 0, v[16:17]
	s_or_b64 s[22:23], vcc, s[22:23]
                                        ; implicit-def: $vgpr4
	s_and_saveexec_b64 vcc, s[22:23]
	s_xor_b64 s[22:23], exec, vcc
; %bb.1421:                             ;   in Loop: Header=BB4_1289 Depth=2
	v_min_i32_e32 v4, 15, v31
	v_lshl_or_b32 v4, v4, 3, v5
	v_and_or_b32 v4, v16, 7, v4
                                        ; implicit-def: $vgpr5
; %bb.1422:                             ;   in Loop: Header=BB4_1289 Depth=2
	s_andn2_saveexec_b64 s[22:23], s[22:23]
; %bb.1423:                             ;   in Loop: Header=BB4_1289 Depth=2
	v_mov_b32_e32 v4, v5
; %bb.1424:                             ;   in Loop: Header=BB4_1289 Depth=2
	s_or_b64 exec, exec, s[22:23]
.LBB4_1425:                             ;   in Loop: Header=BB4_1289 Depth=2
	s_or_b64 exec, exec, s[62:63]
.LBB4_1426:                             ;   in Loop: Header=BB4_1289 Depth=2
	s_andn2_saveexec_b64 s[22:23], s[60:61]
	s_or_b64 exec, exec, s[22:23]
                                        ; implicit-def: $vgpr16
.LBB4_1427:                             ;   in Loop: Header=BB4_1289 Depth=2
	s_andn2_saveexec_b64 s[22:23], s[58:59]
; %bb.1428:                             ;   in Loop: Header=BB4_1289 Depth=2
	v_or_b32_sdwa v5, v16, s76 dst_sel:DWORD dst_unused:UNUSED_PAD src0_sel:BYTE_3 src1_sel:DWORD
	v_cmp_eq_u64_e32 vcc, 0, v[56:57]
	v_cndmask_b32_e32 v4, v5, v4, vcc
; %bb.1429:                             ;   in Loop: Header=BB4_1289 Depth=2
	s_or_b64 exec, exec, s[22:23]
	v_and_b32_e32 v16, 0xff, v30
	v_cmp_ne_u16_e32 vcc, 0, v16
	v_mov_b32_e32 v5, 0
	v_mov_b32_e32 v17, 0
	s_and_saveexec_b64 s[22:23], vcc
	s_cbranch_execz .LBB4_1435
; %bb.1430:                             ;   in Loop: Header=BB4_1289 Depth=2
	v_cmp_ne_u16_e32 vcc, s75, v16
	v_bfrev_b32_e32 v17, 1
	s_and_saveexec_b64 s[58:59], vcc
	s_cbranch_execz .LBB4_1434
; %bb.1431:                             ;   in Loop: Header=BB4_1289 Depth=2
	v_and_b32_e32 v29, 0x7f, v30
	v_cmp_ne_u32_e32 vcc, s76, v29
	v_mov_b32_e32 v17, 0x7f800001
	s_and_saveexec_b64 s[60:61], vcc
	s_cbranch_execz .LBB4_1433
; %bb.1432:                             ;   in Loop: Header=BB4_1289 Depth=2
	v_and_b32_e32 v8, 7, v16
	v_ffbh_u32_e32 v6, v8
	v_min_u32_e32 v17, 32, v6
	v_subrev_u32_e32 v6, 28, v17
	v_lshlrev_b64 v[6:7], v6, v[16:17]
	v_lshrrev_b32_e32 v9, 3, v29
	v_sub_u32_e32 v7, 29, v17
	v_and_b32_e32 v6, 7, v6
	v_cmp_gt_u32_e32 vcc, 8, v29
	v_cndmask_b32_e32 v7, v9, v7, vcc
	v_cndmask_b32_e32 v6, v8, v6, vcc
	v_lshlrev_b32_e32 v8, 24, v30
	v_lshlrev_b32_e32 v6, 20, v6
	v_and_b32_e32 v8, 0x80000000, v8
	v_lshl_add_u32 v7, v7, 23, v51
	v_or3_b32 v17, v8, v7, v6
.LBB4_1433:                             ;   in Loop: Header=BB4_1289 Depth=2
	s_or_b64 exec, exec, s[60:61]
.LBB4_1434:                             ;   in Loop: Header=BB4_1289 Depth=2
	s_or_b64 exec, exec, s[58:59]
.LBB4_1435:                             ;   in Loop: Header=BB4_1289 Depth=2
	s_or_b64 exec, exec, s[22:23]
	v_and_b32_e32 v16, 0xff, v28
	v_cmp_ne_u16_e32 vcc, 0, v16
	s_and_saveexec_b64 s[22:23], vcc
	s_cbranch_execz .LBB4_1441
; %bb.1436:                             ;   in Loop: Header=BB4_1289 Depth=2
	v_cmp_ne_u16_e32 vcc, s75, v16
	v_bfrev_b32_e32 v5, 1
	s_and_saveexec_b64 s[58:59], vcc
	s_cbranch_execz .LBB4_1440
; %bb.1437:                             ;   in Loop: Header=BB4_1289 Depth=2
	v_and_b32_e32 v29, 0x7f, v28
	v_cmp_ne_u32_e32 vcc, s76, v29
	v_mov_b32_e32 v5, 0x7f800001
	s_and_saveexec_b64 s[60:61], vcc
	s_cbranch_execz .LBB4_1439
; %bb.1438:                             ;   in Loop: Header=BB4_1289 Depth=2
	v_and_b32_e32 v5, 7, v16
	v_ffbh_u32_e32 v6, v5
	v_min_u32_e32 v9, 32, v6
	v_subrev_u32_e32 v6, 28, v9
	v_lshlrev_b64 v[6:7], v6, v[16:17]
	v_lshrrev_b32_e32 v8, 3, v29
	v_sub_u32_e32 v7, 29, v9
	v_and_b32_e32 v6, 7, v6
	v_cmp_gt_u32_e32 vcc, 8, v29
	v_cndmask_b32_e32 v7, v8, v7, vcc
	v_cndmask_b32_e32 v5, v5, v6, vcc
	v_lshlrev_b32_e32 v6, 24, v28
	v_lshlrev_b32_e32 v5, 20, v5
	v_and_b32_e32 v6, 0x80000000, v6
	v_lshl_add_u32 v7, v7, 23, v51
	v_or3_b32 v5, v6, v7, v5
.LBB4_1439:                             ;   in Loop: Header=BB4_1289 Depth=2
	s_or_b64 exec, exec, s[60:61]
.LBB4_1440:                             ;   in Loop: Header=BB4_1289 Depth=2
	s_or_b64 exec, exec, s[58:59]
.LBB4_1441:                             ;   in Loop: Header=BB4_1289 Depth=2
	s_or_b64 exec, exec, s[22:23]
	v_add_f32_e32 v16, v17, v5
	v_and_b32_sdwa v28, v16, s75 dst_sel:DWORD dst_unused:UNUSED_PAD src0_sel:BYTE_3 src1_sel:DWORD
	v_and_b32_e32 v6, 0x7f800000, v16
	v_mov_b32_e32 v7, v57
	v_and_b32_e32 v56, 0x7fffff, v16
	v_or_b32_e32 v5, 0x7e, v28
	v_cmp_ne_u64_e32 vcc, s[42:43], v[6:7]
	s_and_saveexec_b64 s[22:23], vcc
	s_xor_b64 s[58:59], exec, s[22:23]
	s_cbranch_execz .LBB4_1455
; %bb.1442:                             ;   in Loop: Header=BB4_1289 Depth=2
	v_and_b32_e32 v6, 0x7fffffff, v16
	v_mov_b32_e32 v7, v57
	v_cmp_gt_u64_e32 vcc, s[44:45], v[6:7]
	s_and_saveexec_b64 s[22:23], vcc
	s_xor_b64 s[60:61], exec, s[22:23]
	s_cbranch_execz .LBB4_1454
; %bb.1443:                             ;   in Loop: Header=BB4_1289 Depth=2
	v_cmp_ne_u32_e32 vcc, 0, v16
	v_mov_b32_e32 v5, 0
	s_and_saveexec_b64 s[62:63], vcc
	s_cbranch_execz .LBB4_1453
; %bb.1444:                             ;   in Loop: Header=BB4_1289 Depth=2
	v_bfe_u32 v5, v16, 23, 8
	v_sub_u32_e32 v7, 0x79, v5
	v_cmp_gt_u32_e32 vcc, s77, v5
	v_add_u32_e32 v6, 0xffffff81, v5
	v_cndmask_b32_e32 v7, 0, v7, vcc
	v_cmp_eq_u32_e32 vcc, 0, v5
	v_mov_b32_e32 v5, 0xffffff82
	v_cndmask_b32_e32 v5, v6, v5, vcc
	v_mov_b32_e32 v6, 0x78
	v_or_b32_e32 v8, 0x800000, v56
	v_cndmask_b32_e32 v29, v7, v6, vcc
	v_cndmask_b32_e32 v56, v8, v56, vcc
	v_add_u32_e32 v6, 20, v29
	v_lshlrev_b64 v[6:7], v6, -1
	v_lshrrev_b64 v[16:17], v29, v[56:57]
	v_not_b32_e32 v7, v7
	v_not_b32_e32 v6, v6
	v_add_u32_e32 v8, 19, v29
	v_lshrrev_b32_e32 v30, 23, v16
	v_and_b32_e32 v7, 0, v7
	v_and_b32_e32 v6, v56, v6
	v_lshlrev_b64 v[8:9], v8, 1
	v_add3_u32 v29, v29, v5, v30
	v_bfe_u32 v30, v16, 20, 1
	v_add_u32_e32 v30, -1, v30
	v_cmp_eq_u64_e32 vcc, v[6:7], v[8:9]
	v_cndmask_b32_e32 v6, 0, v30, vcc
	v_add_u32_e32 v6, v6, v16
	v_and_b32_e32 v6, 0xfffff, v6
	v_add_co_u32_e32 v16, vcc, v6, v16
	v_add_u32_e32 v5, 6, v29
	v_addc_co_u32_e32 v17, vcc, 0, v17, vcc
	v_cmp_ne_u32_e32 vcc, 0, v5
                                        ; implicit-def: $vgpr30
	s_and_saveexec_b64 s[22:23], vcc
	s_xor_b64 s[22:23], exec, s[22:23]
; %bb.1445:                             ;   in Loop: Header=BB4_1289 Depth=2
	v_add_u32_e32 v6, 7, v29
	v_cmp_lt_u64_e32 vcc, s[48:49], v[16:17]
	v_cndmask_b32_e32 v30, v5, v6, vcc
	v_cndmask_b32_e64 v5, 0, 1, vcc
	v_lshrrev_b64 v[16:17], v5, v[16:17]
; %bb.1446:                             ;   in Loop: Header=BB4_1289 Depth=2
	s_andn2_saveexec_b64 s[22:23], s[22:23]
; %bb.1447:                             ;   in Loop: Header=BB4_1289 Depth=2
	v_bfe_u32 v30, v16, 23, 1
; %bb.1448:                             ;   in Loop: Header=BB4_1289 Depth=2
	s_or_b64 exec, exec, s[22:23]
	v_lshrrev_b64 v[6:7], 20, v[16:17]
	v_cmp_gt_i32_e32 vcc, 16, v30
	v_cndmask_b32_e32 v17, 0, v7, vcc
	v_cndmask_b32_e32 v16, 7, v6, vcc
	v_cmp_ne_u32_e32 vcc, 0, v30
	v_cmp_ne_u64_e64 s[22:23], 0, v[16:17]
	s_or_b64 s[22:23], vcc, s[22:23]
                                        ; implicit-def: $vgpr5
	s_and_saveexec_b64 vcc, s[22:23]
	s_xor_b64 s[22:23], exec, vcc
; %bb.1449:                             ;   in Loop: Header=BB4_1289 Depth=2
	v_min_i32_e32 v5, 15, v30
	v_lshl_or_b32 v5, v5, 3, v28
	v_and_or_b32 v5, v16, 7, v5
                                        ; implicit-def: $vgpr28
; %bb.1450:                             ;   in Loop: Header=BB4_1289 Depth=2
	s_andn2_saveexec_b64 s[22:23], s[22:23]
; %bb.1451:                             ;   in Loop: Header=BB4_1289 Depth=2
	v_mov_b32_e32 v5, v28
; %bb.1452:                             ;   in Loop: Header=BB4_1289 Depth=2
	s_or_b64 exec, exec, s[22:23]
.LBB4_1453:                             ;   in Loop: Header=BB4_1289 Depth=2
	s_or_b64 exec, exec, s[62:63]
.LBB4_1454:                             ;   in Loop: Header=BB4_1289 Depth=2
	s_andn2_saveexec_b64 s[22:23], s[60:61]
	s_or_b64 exec, exec, s[22:23]
                                        ; implicit-def: $vgpr16
.LBB4_1455:                             ;   in Loop: Header=BB4_1289 Depth=2
	s_andn2_saveexec_b64 s[22:23], s[58:59]
; %bb.1456:                             ;   in Loop: Header=BB4_1289 Depth=2
	v_or_b32_sdwa v6, v16, s76 dst_sel:DWORD dst_unused:UNUSED_PAD src0_sel:BYTE_3 src1_sel:DWORD
	v_cmp_eq_u64_e32 vcc, 0, v[56:57]
	v_cndmask_b32_e32 v5, v6, v5, vcc
; %bb.1457:                             ;   in Loop: Header=BB4_1289 Depth=2
	s_or_b64 exec, exec, s[22:23]
	v_and_b32_e32 v16, 0xff, v25
	v_cmp_ne_u16_e32 vcc, 0, v16
	v_mov_b32_e32 v17, 0
	v_mov_b32_e32 v28, 0
	s_and_saveexec_b64 s[22:23], vcc
	s_cbranch_execz .LBB4_1463
; %bb.1458:                             ;   in Loop: Header=BB4_1289 Depth=2
	v_cmp_ne_u16_e32 vcc, s75, v16
	v_bfrev_b32_e32 v28, 1
	s_and_saveexec_b64 s[58:59], vcc
	s_cbranch_execz .LBB4_1462
; %bb.1459:                             ;   in Loop: Header=BB4_1289 Depth=2
	v_and_b32_e32 v29, 0x7f, v25
	v_cmp_ne_u32_e32 vcc, s76, v29
	v_mov_b32_e32 v28, 0x7f800001
	s_and_saveexec_b64 s[60:61], vcc
	s_cbranch_execz .LBB4_1461
; %bb.1460:                             ;   in Loop: Header=BB4_1289 Depth=2
	v_and_b32_e32 v8, 7, v16
	v_ffbh_u32_e32 v6, v8
	v_min_u32_e32 v28, 32, v6
	v_subrev_u32_e32 v6, 28, v28
	v_lshlrev_b64 v[6:7], v6, v[16:17]
	v_lshrrev_b32_e32 v9, 3, v29
	v_sub_u32_e32 v7, 29, v28
	v_and_b32_e32 v6, 7, v6
	v_cmp_gt_u32_e32 vcc, 8, v29
	v_cndmask_b32_e32 v7, v9, v7, vcc
	v_cndmask_b32_e32 v6, v8, v6, vcc
	v_lshlrev_b32_e32 v8, 24, v25
	v_lshlrev_b32_e32 v6, 20, v6
	v_and_b32_e32 v8, 0x80000000, v8
	v_lshl_add_u32 v7, v7, 23, v51
	v_or3_b32 v28, v8, v7, v6
.LBB4_1461:                             ;   in Loop: Header=BB4_1289 Depth=2
	s_or_b64 exec, exec, s[60:61]
.LBB4_1462:                             ;   in Loop: Header=BB4_1289 Depth=2
	s_or_b64 exec, exec, s[58:59]
.LBB4_1463:                             ;   in Loop: Header=BB4_1289 Depth=2
	s_or_b64 exec, exec, s[22:23]
	v_and_b32_e32 v16, 0xff, v24
	v_cmp_ne_u16_e32 vcc, 0, v16
	s_and_saveexec_b64 s[22:23], vcc
	s_cbranch_execz .LBB4_1469
; %bb.1464:                             ;   in Loop: Header=BB4_1289 Depth=2
	v_cmp_ne_u16_e32 vcc, s75, v16
	v_bfrev_b32_e32 v17, 1
	s_and_saveexec_b64 s[58:59], vcc
	s_cbranch_execz .LBB4_1468
; %bb.1465:                             ;   in Loop: Header=BB4_1289 Depth=2
	v_and_b32_e32 v25, 0x7f, v24
	v_cmp_ne_u32_e32 vcc, s76, v25
	v_mov_b32_e32 v17, 0x7f800001
	s_and_saveexec_b64 s[60:61], vcc
	s_cbranch_execz .LBB4_1467
; %bb.1466:                             ;   in Loop: Header=BB4_1289 Depth=2
	v_and_b32_e32 v8, 7, v16
	v_ffbh_u32_e32 v6, v8
	v_min_u32_e32 v17, 32, v6
	v_subrev_u32_e32 v6, 28, v17
	v_lshlrev_b64 v[6:7], v6, v[16:17]
	v_lshrrev_b32_e32 v9, 3, v25
	v_sub_u32_e32 v7, 29, v17
	v_and_b32_e32 v6, 7, v6
	v_cmp_gt_u32_e32 vcc, 8, v25
	v_cndmask_b32_e32 v7, v9, v7, vcc
	v_cndmask_b32_e32 v6, v8, v6, vcc
	v_lshlrev_b32_e32 v8, 24, v24
	v_lshlrev_b32_e32 v6, 20, v6
	v_and_b32_e32 v8, 0x80000000, v8
	v_lshl_add_u32 v7, v7, 23, v51
	v_or3_b32 v17, v8, v7, v6
.LBB4_1467:                             ;   in Loop: Header=BB4_1289 Depth=2
	s_or_b64 exec, exec, s[60:61]
.LBB4_1468:                             ;   in Loop: Header=BB4_1289 Depth=2
	s_or_b64 exec, exec, s[58:59]
.LBB4_1469:                             ;   in Loop: Header=BB4_1289 Depth=2
	s_or_b64 exec, exec, s[22:23]
	v_add_f32_e32 v16, v28, v17
	v_and_b32_sdwa v25, v16, s75 dst_sel:DWORD dst_unused:UNUSED_PAD src0_sel:BYTE_3 src1_sel:DWORD
	v_and_b32_e32 v6, 0x7f800000, v16
	v_mov_b32_e32 v7, v57
	v_and_b32_e32 v56, 0x7fffff, v16
	v_or_b32_e32 v24, 0x7e, v25
	v_cmp_ne_u64_e32 vcc, s[42:43], v[6:7]
	s_and_saveexec_b64 s[22:23], vcc
	s_xor_b64 s[58:59], exec, s[22:23]
	s_cbranch_execz .LBB4_1483
; %bb.1470:                             ;   in Loop: Header=BB4_1289 Depth=2
	v_and_b32_e32 v6, 0x7fffffff, v16
	v_mov_b32_e32 v7, v57
	v_cmp_gt_u64_e32 vcc, s[44:45], v[6:7]
	s_and_saveexec_b64 s[22:23], vcc
	s_xor_b64 s[60:61], exec, s[22:23]
	s_cbranch_execz .LBB4_1482
; %bb.1471:                             ;   in Loop: Header=BB4_1289 Depth=2
	v_cmp_ne_u32_e32 vcc, 0, v16
	v_mov_b32_e32 v24, 0
	s_and_saveexec_b64 s[62:63], vcc
	s_cbranch_execz .LBB4_1481
; %bb.1472:                             ;   in Loop: Header=BB4_1289 Depth=2
	v_bfe_u32 v6, v16, 23, 8
	v_sub_u32_e32 v8, 0x79, v6
	v_cmp_gt_u32_e32 vcc, s77, v6
	v_add_u32_e32 v7, 0xffffff81, v6
	v_cndmask_b32_e32 v8, 0, v8, vcc
	v_cmp_eq_u32_e32 vcc, 0, v6
	v_mov_b32_e32 v6, 0xffffff82
	v_cndmask_b32_e32 v24, v7, v6, vcc
	v_mov_b32_e32 v6, 0x78
	v_or_b32_e32 v9, 0x800000, v56
	v_cndmask_b32_e32 v28, v8, v6, vcc
	v_cndmask_b32_e32 v56, v9, v56, vcc
	v_add_u32_e32 v6, 20, v28
	v_lshlrev_b64 v[6:7], v6, -1
	v_lshrrev_b64 v[16:17], v28, v[56:57]
	v_not_b32_e32 v7, v7
	v_not_b32_e32 v6, v6
	v_add_u32_e32 v8, 19, v28
	v_lshrrev_b32_e32 v29, 23, v16
	v_and_b32_e32 v7, 0, v7
	v_and_b32_e32 v6, v56, v6
	v_lshlrev_b64 v[8:9], v8, 1
	v_add3_u32 v29, v28, v24, v29
	v_bfe_u32 v28, v16, 20, 1
	v_add_u32_e32 v28, -1, v28
	v_cmp_eq_u64_e32 vcc, v[6:7], v[8:9]
	v_cndmask_b32_e32 v6, 0, v28, vcc
	v_add_u32_e32 v6, v6, v16
	v_and_b32_e32 v6, 0xfffff, v6
	v_add_co_u32_e32 v16, vcc, v6, v16
	v_add_u32_e32 v24, 6, v29
	v_addc_co_u32_e32 v17, vcc, 0, v17, vcc
	v_cmp_ne_u32_e32 vcc, 0, v24
                                        ; implicit-def: $vgpr28
	s_and_saveexec_b64 s[22:23], vcc
	s_xor_b64 s[22:23], exec, s[22:23]
; %bb.1473:                             ;   in Loop: Header=BB4_1289 Depth=2
	v_add_u32_e32 v6, 7, v29
	v_cmp_lt_u64_e32 vcc, s[48:49], v[16:17]
	v_cndmask_b32_e32 v28, v24, v6, vcc
	v_cndmask_b32_e64 v6, 0, 1, vcc
	v_lshrrev_b64 v[16:17], v6, v[16:17]
; %bb.1474:                             ;   in Loop: Header=BB4_1289 Depth=2
	s_andn2_saveexec_b64 s[22:23], s[22:23]
; %bb.1475:                             ;   in Loop: Header=BB4_1289 Depth=2
	v_bfe_u32 v28, v16, 23, 1
; %bb.1476:                             ;   in Loop: Header=BB4_1289 Depth=2
	s_or_b64 exec, exec, s[22:23]
	v_lshrrev_b64 v[6:7], 20, v[16:17]
	v_cmp_gt_i32_e32 vcc, 16, v28
	v_cndmask_b32_e32 v17, 0, v7, vcc
	v_cndmask_b32_e32 v16, 7, v6, vcc
	v_cmp_ne_u32_e32 vcc, 0, v28
	v_cmp_ne_u64_e64 s[22:23], 0, v[16:17]
	s_or_b64 s[22:23], vcc, s[22:23]
                                        ; implicit-def: $vgpr24
	s_and_saveexec_b64 vcc, s[22:23]
	s_xor_b64 s[22:23], exec, vcc
; %bb.1477:                             ;   in Loop: Header=BB4_1289 Depth=2
	v_min_i32_e32 v6, 15, v28
	v_lshl_or_b32 v6, v6, 3, v25
	v_and_or_b32 v24, v16, 7, v6
                                        ; implicit-def: $vgpr25
; %bb.1478:                             ;   in Loop: Header=BB4_1289 Depth=2
	s_andn2_saveexec_b64 s[22:23], s[22:23]
; %bb.1479:                             ;   in Loop: Header=BB4_1289 Depth=2
	v_mov_b32_e32 v24, v25
; %bb.1480:                             ;   in Loop: Header=BB4_1289 Depth=2
	s_or_b64 exec, exec, s[22:23]
.LBB4_1481:                             ;   in Loop: Header=BB4_1289 Depth=2
	s_or_b64 exec, exec, s[62:63]
.LBB4_1482:                             ;   in Loop: Header=BB4_1289 Depth=2
	s_andn2_saveexec_b64 s[22:23], s[60:61]
	s_or_b64 exec, exec, s[22:23]
                                        ; implicit-def: $vgpr16
.LBB4_1483:                             ;   in Loop: Header=BB4_1289 Depth=2
	s_andn2_saveexec_b64 s[22:23], s[58:59]
; %bb.1484:                             ;   in Loop: Header=BB4_1289 Depth=2
	v_or_b32_sdwa v6, v16, s76 dst_sel:DWORD dst_unused:UNUSED_PAD src0_sel:BYTE_3 src1_sel:DWORD
	v_cmp_eq_u64_e32 vcc, 0, v[56:57]
	v_cndmask_b32_e32 v24, v6, v24, vcc
; %bb.1485:                             ;   in Loop: Header=BB4_1289 Depth=2
	s_or_b64 exec, exec, s[22:23]
	v_and_b32_e32 v16, 0xff, v22
	v_cmp_ne_u16_e32 vcc, 0, v16
	v_mov_b32_e32 v17, 0
	v_mov_b32_e32 v25, 0
	s_and_saveexec_b64 s[22:23], vcc
	s_cbranch_execz .LBB4_1491
; %bb.1486:                             ;   in Loop: Header=BB4_1289 Depth=2
	v_cmp_ne_u16_e32 vcc, s75, v16
	v_bfrev_b32_e32 v25, 1
	s_and_saveexec_b64 s[58:59], vcc
	s_cbranch_execz .LBB4_1490
; %bb.1487:                             ;   in Loop: Header=BB4_1289 Depth=2
	v_and_b32_e32 v28, 0x7f, v22
	v_cmp_ne_u32_e32 vcc, s76, v28
	v_mov_b32_e32 v25, 0x7f800001
	s_and_saveexec_b64 s[60:61], vcc
	s_cbranch_execz .LBB4_1489
; %bb.1488:                             ;   in Loop: Header=BB4_1289 Depth=2
	v_and_b32_e32 v8, 7, v16
	v_ffbh_u32_e32 v6, v8
	v_min_u32_e32 v25, 32, v6
	v_subrev_u32_e32 v6, 28, v25
	v_lshlrev_b64 v[6:7], v6, v[16:17]
	v_lshrrev_b32_e32 v9, 3, v28
	v_sub_u32_e32 v7, 29, v25
	v_and_b32_e32 v6, 7, v6
	v_cmp_gt_u32_e32 vcc, 8, v28
	v_cndmask_b32_e32 v7, v9, v7, vcc
	v_cndmask_b32_e32 v6, v8, v6, vcc
	v_lshlrev_b32_e32 v8, 24, v22
	v_lshlrev_b32_e32 v6, 20, v6
	v_and_b32_e32 v8, 0x80000000, v8
	v_lshl_add_u32 v7, v7, 23, v51
	v_or3_b32 v25, v8, v7, v6
.LBB4_1489:                             ;   in Loop: Header=BB4_1289 Depth=2
	s_or_b64 exec, exec, s[60:61]
.LBB4_1490:                             ;   in Loop: Header=BB4_1289 Depth=2
	s_or_b64 exec, exec, s[58:59]
.LBB4_1491:                             ;   in Loop: Header=BB4_1289 Depth=2
	s_or_b64 exec, exec, s[22:23]
	v_and_b32_e32 v16, 0xff, v21
	v_cmp_ne_u16_e32 vcc, 0, v16
	s_and_saveexec_b64 s[22:23], vcc
	s_cbranch_execz .LBB4_1497
; %bb.1492:                             ;   in Loop: Header=BB4_1289 Depth=2
	v_cmp_ne_u16_e32 vcc, s75, v16
	v_bfrev_b32_e32 v17, 1
	s_and_saveexec_b64 s[58:59], vcc
	s_cbranch_execz .LBB4_1496
; %bb.1493:                             ;   in Loop: Header=BB4_1289 Depth=2
	v_and_b32_e32 v22, 0x7f, v21
	v_cmp_ne_u32_e32 vcc, s76, v22
	v_mov_b32_e32 v17, 0x7f800001
	s_and_saveexec_b64 s[60:61], vcc
	s_cbranch_execz .LBB4_1495
; %bb.1494:                             ;   in Loop: Header=BB4_1289 Depth=2
	v_and_b32_e32 v8, 7, v16
	v_ffbh_u32_e32 v6, v8
	v_min_u32_e32 v17, 32, v6
	v_subrev_u32_e32 v6, 28, v17
	v_lshlrev_b64 v[6:7], v6, v[16:17]
	v_lshrrev_b32_e32 v9, 3, v22
	v_sub_u32_e32 v7, 29, v17
	v_and_b32_e32 v6, 7, v6
	v_cmp_gt_u32_e32 vcc, 8, v22
	v_cndmask_b32_e32 v7, v9, v7, vcc
	v_cndmask_b32_e32 v6, v8, v6, vcc
	v_lshlrev_b32_e32 v8, 24, v21
	v_lshlrev_b32_e32 v6, 20, v6
	v_and_b32_e32 v8, 0x80000000, v8
	v_lshl_add_u32 v7, v7, 23, v51
	v_or3_b32 v17, v8, v7, v6
.LBB4_1495:                             ;   in Loop: Header=BB4_1289 Depth=2
	s_or_b64 exec, exec, s[60:61]
.LBB4_1496:                             ;   in Loop: Header=BB4_1289 Depth=2
	s_or_b64 exec, exec, s[58:59]
.LBB4_1497:                             ;   in Loop: Header=BB4_1289 Depth=2
	s_or_b64 exec, exec, s[22:23]
	v_add_f32_e32 v16, v25, v17
	v_and_b32_sdwa v21, v16, s75 dst_sel:DWORD dst_unused:UNUSED_PAD src0_sel:BYTE_3 src1_sel:DWORD
	v_and_b32_e32 v6, 0x7f800000, v16
	v_mov_b32_e32 v7, v57
	v_and_b32_e32 v56, 0x7fffff, v16
	v_or_b32_e32 v17, 0x7e, v21
	v_cmp_ne_u64_e32 vcc, s[42:43], v[6:7]
	s_and_saveexec_b64 s[22:23], vcc
	s_xor_b64 s[58:59], exec, s[22:23]
	s_cbranch_execz .LBB4_1511
; %bb.1498:                             ;   in Loop: Header=BB4_1289 Depth=2
	v_and_b32_e32 v6, 0x7fffffff, v16
	v_mov_b32_e32 v7, v57
	v_cmp_gt_u64_e32 vcc, s[44:45], v[6:7]
	s_and_saveexec_b64 s[22:23], vcc
	s_xor_b64 s[60:61], exec, s[22:23]
	s_cbranch_execz .LBB4_1510
; %bb.1499:                             ;   in Loop: Header=BB4_1289 Depth=2
	v_cmp_ne_u32_e32 vcc, 0, v16
	v_mov_b32_e32 v17, 0
	s_and_saveexec_b64 s[62:63], vcc
	s_cbranch_execz .LBB4_1509
; %bb.1500:                             ;   in Loop: Header=BB4_1289 Depth=2
	v_bfe_u32 v6, v16, 23, 8
	v_sub_u32_e32 v8, 0x79, v6
	v_cmp_gt_u32_e32 vcc, s77, v6
	v_add_u32_e32 v7, 0xffffff81, v6
	v_cndmask_b32_e32 v8, 0, v8, vcc
	v_cmp_eq_u32_e32 vcc, 0, v6
	v_mov_b32_e32 v6, 0xffffff82
	v_cndmask_b32_e32 v22, v7, v6, vcc
	v_mov_b32_e32 v6, 0x78
	v_or_b32_e32 v9, 0x800000, v56
	v_cndmask_b32_e32 v25, v8, v6, vcc
	v_cndmask_b32_e32 v56, v9, v56, vcc
	v_add_u32_e32 v6, 20, v25
	v_lshlrev_b64 v[6:7], v6, -1
	v_lshrrev_b64 v[16:17], v25, v[56:57]
	v_not_b32_e32 v7, v7
	v_not_b32_e32 v6, v6
	v_add_u32_e32 v8, 19, v25
	v_lshrrev_b32_e32 v28, 23, v16
	v_and_b32_e32 v7, 0, v7
	v_and_b32_e32 v6, v56, v6
	v_lshlrev_b64 v[8:9], v8, 1
	v_add3_u32 v28, v25, v22, v28
	v_bfe_u32 v22, v16, 20, 1
	v_add_u32_e32 v22, -1, v22
	v_cmp_eq_u64_e32 vcc, v[6:7], v[8:9]
	v_cndmask_b32_e32 v6, 0, v22, vcc
	v_add_u32_e32 v6, v6, v16
	v_and_b32_e32 v6, 0xfffff, v6
	v_add_co_u32_e32 v16, vcc, v6, v16
	v_add_u32_e32 v25, 6, v28
	v_addc_co_u32_e32 v17, vcc, 0, v17, vcc
	v_cmp_ne_u32_e32 vcc, 0, v25
                                        ; implicit-def: $vgpr22
	s_and_saveexec_b64 s[22:23], vcc
	s_xor_b64 s[22:23], exec, s[22:23]
; %bb.1501:                             ;   in Loop: Header=BB4_1289 Depth=2
	v_add_u32_e32 v6, 7, v28
	v_cmp_lt_u64_e32 vcc, s[48:49], v[16:17]
	v_cndmask_b32_e32 v22, v25, v6, vcc
	v_cndmask_b32_e64 v6, 0, 1, vcc
	v_lshrrev_b64 v[16:17], v6, v[16:17]
; %bb.1502:                             ;   in Loop: Header=BB4_1289 Depth=2
	s_andn2_saveexec_b64 s[22:23], s[22:23]
; %bb.1503:                             ;   in Loop: Header=BB4_1289 Depth=2
	v_bfe_u32 v22, v16, 23, 1
; %bb.1504:                             ;   in Loop: Header=BB4_1289 Depth=2
	s_or_b64 exec, exec, s[22:23]
	v_lshrrev_b64 v[6:7], 20, v[16:17]
	v_cmp_gt_i32_e32 vcc, 16, v22
	v_cndmask_b32_e32 v17, 0, v7, vcc
	v_cndmask_b32_e32 v16, 7, v6, vcc
	v_cmp_ne_u32_e32 vcc, 0, v22
	v_cmp_ne_u64_e64 s[22:23], 0, v[16:17]
	s_or_b64 s[22:23], vcc, s[22:23]
                                        ; implicit-def: $vgpr17
	s_and_saveexec_b64 vcc, s[22:23]
	s_xor_b64 s[22:23], exec, vcc
; %bb.1505:                             ;   in Loop: Header=BB4_1289 Depth=2
	v_min_i32_e32 v6, 15, v22
	v_lshl_or_b32 v6, v6, 3, v21
	v_and_or_b32 v17, v16, 7, v6
                                        ; implicit-def: $vgpr21
; %bb.1506:                             ;   in Loop: Header=BB4_1289 Depth=2
	s_andn2_saveexec_b64 s[22:23], s[22:23]
; %bb.1507:                             ;   in Loop: Header=BB4_1289 Depth=2
	v_mov_b32_e32 v17, v21
; %bb.1508:                             ;   in Loop: Header=BB4_1289 Depth=2
	s_or_b64 exec, exec, s[22:23]
.LBB4_1509:                             ;   in Loop: Header=BB4_1289 Depth=2
	s_or_b64 exec, exec, s[62:63]
.LBB4_1510:                             ;   in Loop: Header=BB4_1289 Depth=2
	s_andn2_saveexec_b64 s[22:23], s[60:61]
	s_or_b64 exec, exec, s[22:23]
                                        ; implicit-def: $vgpr16
.LBB4_1511:                             ;   in Loop: Header=BB4_1289 Depth=2
	s_andn2_saveexec_b64 s[22:23], s[58:59]
	s_cbranch_execz .LBB4_1288
; %bb.1512:                             ;   in Loop: Header=BB4_1289 Depth=2
	v_or_b32_sdwa v6, v16, s76 dst_sel:DWORD dst_unused:UNUSED_PAD src0_sel:BYTE_3 src1_sel:DWORD
	v_cmp_eq_u64_e32 vcc, 0, v[56:57]
	v_cndmask_b32_e32 v17, v6, v17, vcc
	s_branch .LBB4_1288
.LBB4_1513:                             ;   in Loop: Header=BB4_49 Depth=1
	s_or_b64 exec, exec, s[56:57]
	v_accvgpr_read_b32 v6, a4
.LBB4_1514:                             ;   in Loop: Header=BB4_49 Depth=1
	s_or_b64 exec, exec, s[54:55]
	v_lshlrev_b32_e32 v3, 9, v3
	v_cmp_ne_u32_e32 vcc, v18, v3
	s_and_b64 exec, exec, vcc
	s_cbranch_execz .LBB4_1546
; %bb.1515:                             ;   in Loop: Header=BB4_49 Depth=1
	v_add_u32_e32 v1, v19, v1
	v_and_b32_e32 v1, 0xffffffc0, v1
	v_sub_u32_e32 v1, v19, v1
	v_lshlrev_b32_e32 v0, 6, v0
	v_sub_u32_e32 v0, v1, v0
	v_add_u32_e32 v1, v3, v0
	v_sub_u32_e32 v0, v18, v1
	v_cmp_lt_i32_e32 vcc, 0, v0
	s_and_b64 exec, exec, vcc
	s_cbranch_execz .LBB4_1546
; %bb.1516:                             ;   in Loop: Header=BB4_49 Depth=1
	s_trap 2
	v_mov_b32_e32 v20, v6
	ds_read_b128 v[4:7], v0
	v_add_u32_e32 v1, v1, v2
	ds_read_b64 v[2:3], v0
	v_ashrrev_i32_e32 v8, 31, v1
	s_mov_b64 s[54:55], 0
	s_waitcnt lgkmcnt(0)
	v_add_co_u32_e32 v10, vcc, v4, v1
	v_addc_co_u32_e32 v11, vcc, v5, v8, vcc
	v_add_co_u32_e32 v12, vcc, v6, v1
	v_addc_co_u32_e32 v13, vcc, v7, v8, vcc
	v_add_co_u32_e32 v14, vcc, v2, v1
	v_mov_b32_e32 v6, v20
	v_addc_co_u32_e32 v15, vcc, v3, v8, vcc
	s_branch .LBB4_1518
.LBB4_1517:                             ;   in Loop: Header=BB4_1518 Depth=2
	s_or_b64 exec, exec, s[22:23]
	flat_store_byte v[14:15], v2 glc slc
	v_accvgpr_read_b32 v2, a36
	v_add_co_u32_e32 v10, vcc, v10, v2
	v_accvgpr_read_b32 v1, a35
	v_addc_co_u32_e32 v11, vcc, v11, v1, vcc
	v_add_co_u32_e32 v12, vcc, v12, v2
	v_addc_co_u32_e32 v13, vcc, v13, v1, vcc
	v_sub_u32_e32 v0, v0, v2
	v_cmp_gt_i32_e32 vcc, 1, v0
	s_or_b64 s[54:55], vcc, s[54:55]
	v_add_co_u32_e32 v14, vcc, v14, v2
	v_addc_co_u32_e32 v15, vcc, v15, v1, vcc
	s_andn2_b64 exec, exec, s[54:55]
	s_cbranch_execz .LBB4_1546
.LBB4_1518:                             ;   Parent Loop BB4_49 Depth=1
                                        ; =>  This Inner Loop Header: Depth=2
	flat_load_ubyte v4, v[10:11] glc slc
	flat_load_ubyte v2, v[12:13] glc slc
	v_mov_b32_e32 v1, 0
	v_mov_b32_e32 v3, 0
	s_waitcnt vmcnt(0) lgkmcnt(0)
	v_cmp_ne_u16_e32 vcc, 0, v4
	s_and_saveexec_b64 s[22:23], vcc
	s_cbranch_execz .LBB4_1524
; %bb.1519:                             ;   in Loop: Header=BB4_1518 Depth=2
	v_cmp_ne_u16_e32 vcc, s75, v4
	v_bfrev_b32_e32 v3, 1
	s_and_saveexec_b64 s[56:57], vcc
	s_cbranch_execz .LBB4_1523
; %bb.1520:                             ;   in Loop: Header=BB4_1518 Depth=2
	v_and_b32_e32 v16, 0xffff, v4
	v_and_b32_e32 v5, 0x7f, v16
	v_cmp_ne_u32_e32 vcc, s76, v5
	v_mov_b32_e32 v3, 0x7f800001
	s_and_saveexec_b64 s[58:59], vcc
	s_cbranch_execz .LBB4_1522
; %bb.1521:                             ;   in Loop: Header=BB4_1518 Depth=2
	v_and_b32_e32 v3, 7, v16
	v_ffbh_u32_e32 v6, v3
	v_min_u32_e32 v9, 32, v6
	v_subrev_u32_e32 v6, 28, v9
	v_lshlrev_b64 v[6:7], v6, v[16:17]
	v_lshrrev_b32_e32 v8, 3, v5
	v_sub_u32_e32 v7, 29, v9
	v_and_b32_e32 v6, 7, v6
	v_cmp_gt_u32_e32 vcc, 8, v5
	v_cndmask_b32_e32 v5, v8, v7, vcc
	v_cndmask_b32_e32 v3, v3, v6, vcc
	v_lshlrev_b32_e32 v4, 24, v4
	v_lshlrev_b32_e32 v3, 20, v3
	v_and_b32_e32 v4, 0x80000000, v4
	v_lshl_add_u32 v5, v5, 23, v51
	v_mov_b32_e32 v6, v20
	v_or3_b32 v3, v4, v5, v3
.LBB4_1522:                             ;   in Loop: Header=BB4_1518 Depth=2
	s_or_b64 exec, exec, s[58:59]
.LBB4_1523:                             ;   in Loop: Header=BB4_1518 Depth=2
	s_or_b64 exec, exec, s[56:57]
.LBB4_1524:                             ;   in Loop: Header=BB4_1518 Depth=2
	s_or_b64 exec, exec, s[22:23]
	v_and_b32_e32 v16, 0xff, v2
	v_cmp_ne_u16_e32 vcc, 0, v16
	s_and_saveexec_b64 s[22:23], vcc
	s_cbranch_execz .LBB4_1530
; %bb.1525:                             ;   in Loop: Header=BB4_1518 Depth=2
	v_cmp_ne_u16_e32 vcc, s75, v16
	v_bfrev_b32_e32 v1, 1
	s_and_saveexec_b64 s[56:57], vcc
	s_cbranch_execz .LBB4_1529
; %bb.1526:                             ;   in Loop: Header=BB4_1518 Depth=2
	v_and_b32_e32 v4, 0x7f, v2
	v_cmp_ne_u32_e32 vcc, s76, v4
	v_mov_b32_e32 v1, 0x7f800001
	s_and_saveexec_b64 s[58:59], vcc
	s_cbranch_execz .LBB4_1528
; %bb.1527:                             ;   in Loop: Header=BB4_1518 Depth=2
	v_and_b32_e32 v1, 7, v16
	v_ffbh_u32_e32 v6, v1
	v_min_u32_e32 v8, 32, v6
	v_subrev_u32_e32 v6, 28, v8
	v_lshlrev_b64 v[6:7], v6, v[16:17]
	v_lshrrev_b32_e32 v5, 3, v4
	v_sub_u32_e32 v7, 29, v8
	v_and_b32_e32 v6, 7, v6
	v_cmp_gt_u32_e32 vcc, 8, v4
	v_lshlrev_b32_e32 v2, 24, v2
	v_cndmask_b32_e32 v4, v5, v7, vcc
	v_cndmask_b32_e32 v1, v1, v6, vcc
	v_and_b32_e32 v2, 0x80000000, v2
	v_lshlrev_b32_e32 v1, 20, v1
	v_lshl_add_u32 v4, v4, 23, v51
	v_mov_b32_e32 v6, v20
	v_or3_b32 v1, v2, v4, v1
.LBB4_1528:                             ;   in Loop: Header=BB4_1518 Depth=2
	s_or_b64 exec, exec, s[58:59]
.LBB4_1529:                             ;   in Loop: Header=BB4_1518 Depth=2
	s_or_b64 exec, exec, s[56:57]
.LBB4_1530:                             ;   in Loop: Header=BB4_1518 Depth=2
	s_or_b64 exec, exec, s[22:23]
	v_add_f32_e32 v3, v3, v1
	v_and_b32_sdwa v1, v3, s75 dst_sel:DWORD dst_unused:UNUSED_PAD src0_sel:BYTE_3 src1_sel:DWORD
	v_and_b32_e32 v4, 0x7f800000, v3
	v_mov_b32_e32 v5, v57
	v_and_b32_e32 v56, 0x7fffff, v3
	v_or_b32_e32 v2, 0x7e, v1
	v_cmp_ne_u64_e32 vcc, s[42:43], v[4:5]
	s_and_saveexec_b64 s[22:23], vcc
	s_xor_b64 s[56:57], exec, s[22:23]
	s_cbranch_execz .LBB4_1544
; %bb.1531:                             ;   in Loop: Header=BB4_1518 Depth=2
	v_and_b32_e32 v4, 0x7fffffff, v3
	v_mov_b32_e32 v5, v57
	v_cmp_gt_u64_e32 vcc, s[44:45], v[4:5]
	s_and_saveexec_b64 s[22:23], vcc
	s_xor_b64 s[58:59], exec, s[22:23]
	s_cbranch_execz .LBB4_1543
; %bb.1532:                             ;   in Loop: Header=BB4_1518 Depth=2
	v_cmp_ne_u32_e32 vcc, 0, v3
	v_mov_b32_e32 v2, 0
	s_and_saveexec_b64 s[60:61], vcc
	s_cbranch_execz .LBB4_1542
; %bb.1533:                             ;   in Loop: Header=BB4_1518 Depth=2
	v_bfe_u32 v2, v3, 23, 8
	v_sub_u32_e32 v4, 0x79, v2
	v_cmp_gt_u32_e32 vcc, s77, v2
	v_add_u32_e32 v3, 0xffffff81, v2
	v_cndmask_b32_e32 v4, 0, v4, vcc
	v_cmp_eq_u32_e32 vcc, 0, v2
	v_mov_b32_e32 v2, 0xffffff82
	v_cndmask_b32_e32 v18, v3, v2, vcc
	v_mov_b32_e32 v2, 0x78
	v_cndmask_b32_e32 v4, v4, v2, vcc
	v_add_u32_e32 v2, 20, v4
	v_or_b32_e32 v5, 0x800000, v56
	v_lshlrev_b64 v[2:3], v2, -1
	v_cndmask_b32_e32 v56, v5, v56, vcc
	v_not_b32_e32 v2, v2
	v_not_b32_e32 v3, v3
	v_and_b32_e32 v6, v56, v2
	v_add_u32_e32 v2, 19, v4
	v_lshrrev_b64 v[16:17], v4, v[56:57]
	v_and_b32_e32 v7, 0, v3
	v_lshlrev_b64 v[8:9], v2, 1
	v_bfe_u32 v3, v16, 20, 1
	v_add_u32_e32 v3, -1, v3
	v_cmp_eq_u64_e32 vcc, v[6:7], v[8:9]
	v_cndmask_b32_e32 v3, 0, v3, vcc
	v_add_u32_e32 v3, v3, v16
	v_lshrrev_b32_e32 v2, 23, v16
	v_and_b32_e32 v3, 0xfffff, v3
	v_add3_u32 v4, v4, v18, v2
	v_add_co_u32_e32 v16, vcc, v3, v16
	v_add_u32_e32 v2, 6, v4
	v_addc_co_u32_e32 v17, vcc, 0, v17, vcc
	v_cmp_ne_u32_e32 vcc, 0, v2
                                        ; implicit-def: $vgpr3
	s_and_saveexec_b64 s[22:23], vcc
	s_xor_b64 s[22:23], exec, s[22:23]
; %bb.1534:                             ;   in Loop: Header=BB4_1518 Depth=2
	v_add_u32_e32 v3, 7, v4
	v_cmp_lt_u64_e32 vcc, s[48:49], v[16:17]
	v_cndmask_b32_e32 v3, v2, v3, vcc
	v_cndmask_b32_e64 v2, 0, 1, vcc
	v_lshrrev_b64 v[16:17], v2, v[16:17]
; %bb.1535:                             ;   in Loop: Header=BB4_1518 Depth=2
	s_andn2_saveexec_b64 s[22:23], s[22:23]
; %bb.1536:                             ;   in Loop: Header=BB4_1518 Depth=2
	v_bfe_u32 v3, v16, 23, 1
; %bb.1537:                             ;   in Loop: Header=BB4_1518 Depth=2
	s_or_b64 exec, exec, s[22:23]
	v_lshrrev_b64 v[4:5], 20, v[16:17]
	v_cmp_gt_i32_e32 vcc, 16, v3
	v_cndmask_b32_e32 v17, 0, v5, vcc
	v_cndmask_b32_e32 v16, 7, v4, vcc
	v_cmp_ne_u32_e32 vcc, 0, v3
	v_cmp_ne_u64_e64 s[22:23], 0, v[16:17]
	s_or_b64 s[22:23], vcc, s[22:23]
                                        ; implicit-def: $vgpr2
	s_mov_b64 vcc, exec
	s_and_b64 s[62:63], vcc, s[22:23]
	s_xor_b64 s[22:23], s[62:63], vcc
	v_mov_b32_e32 v6, v20
	s_mov_b64 exec, s[62:63]
; %bb.1538:                             ;   in Loop: Header=BB4_1518 Depth=2
	v_min_i32_e32 v2, 15, v3
	v_lshl_or_b32 v1, v2, 3, v1
	v_and_or_b32 v2, v16, 7, v1
                                        ; implicit-def: $vgpr1
; %bb.1539:                             ;   in Loop: Header=BB4_1518 Depth=2
	s_andn2_saveexec_b64 s[22:23], s[22:23]
; %bb.1540:                             ;   in Loop: Header=BB4_1518 Depth=2
	v_mov_b32_e32 v2, v1
; %bb.1541:                             ;   in Loop: Header=BB4_1518 Depth=2
	s_or_b64 exec, exec, s[22:23]
.LBB4_1542:                             ;   in Loop: Header=BB4_1518 Depth=2
	s_or_b64 exec, exec, s[60:61]
.LBB4_1543:                             ;   in Loop: Header=BB4_1518 Depth=2
	s_andn2_saveexec_b64 s[22:23], s[58:59]
	s_or_b64 exec, exec, s[22:23]
                                        ; implicit-def: $vgpr3
.LBB4_1544:                             ;   in Loop: Header=BB4_1518 Depth=2
	s_andn2_saveexec_b64 s[22:23], s[56:57]
	s_cbranch_execz .LBB4_1517
; %bb.1545:                             ;   in Loop: Header=BB4_1518 Depth=2
	v_or_b32_sdwa v1, v3, s76 dst_sel:DWORD dst_unused:UNUSED_PAD src0_sel:BYTE_3 src1_sel:DWORD
	v_cmp_eq_u64_e32 vcc, 0, v[56:57]
	v_cndmask_b32_e32 v2, v1, v2, vcc
	s_branch .LBB4_1517
.LBB4_1546:                             ;   in Loop: Header=BB4_49 Depth=1
	s_or_b64 exec, exec, s[24:25]
	v_accvgpr_read_b32 v0, a37
	v_cmp_ne_u32_e64 s[22:23], 0, v0
	v_accvgpr_read_b32 v16, a40
.LBB4_1547:                             ;   in Loop: Header=BB4_49 Depth=1
	s_and_saveexec_b64 s[24:25], s[12:13]
	s_cbranch_execz .LBB4_1566
; %bb.1548:                             ;   in Loop: Header=BB4_49 Depth=1
	s_and_saveexec_b64 vcc, s[36:37]
	s_xor_b64 s[54:55], exec, vcc
	s_cbranch_execz .LBB4_1563
; %bb.1549:                             ;   in Loop: Header=BB4_49 Depth=1
	s_and_saveexec_b64 s[56:57], s[14:15]
	s_cbranch_execz .LBB4_1562
; %bb.1550:                             ;   in Loop: Header=BB4_49 Depth=1
	s_mov_b64 s[60:61], exec
	v_mbcnt_lo_u32_b32 v0, s60, 0
	v_mbcnt_hi_u32_b32 v0, s61, v0
	v_cmp_eq_u32_e32 vcc, 0, v0
	s_waitcnt vmcnt(0) lgkmcnt(0)
	buffer_wbinvl1_vol
	s_and_saveexec_b64 s[58:59], vcc
	s_cbranch_execz .LBB4_1552
; %bb.1551:                             ;   in Loop: Header=BB4_49 Depth=1
	s_bcnt1_i32_b64 vcc_lo, s[60:61]
	v_mov_b32_e32 v56, vcc_lo
	ds_add_u64 v0, v[56:57]
	s_trap 2
.LBB4_1552:                             ;   in Loop: Header=BB4_49 Depth=1
	s_or_b64 exec, exec, s[58:59]
	s_trap 2
	ds_read_b64 v[0:1], v0
	v_add_co_u32_e32 v38, vcc, v38, v54
	v_addc_co_u32_e32 v39, vcc, 0, v39, vcc
	s_waitcnt lgkmcnt(0)
	v_cmp_lt_u64_e32 vcc, v[0:1], v[38:39]
	s_and_saveexec_b64 s[58:59], vcc
	s_cbranch_execz .LBB4_1561
; %bb.1553:                             ;   in Loop: Header=BB4_49 Depth=1
	s_mov_b32 s79, 0
	s_mov_b64 s[60:61], 0
                                        ; implicit-def: $sgpr62_sgpr63
                                        ; implicit-def: $sgpr64_sgpr65
	s_branch .LBB4_1555
.LBB4_1554:                             ;   in Loop: Header=BB4_1555 Depth=2
	s_or_b64 exec, exec, s[68:69]
	s_and_b64 vcc, exec, vcc
	s_or_b64 s[60:61], vcc, s[60:61]
	s_andn2_b64 vcc, s[62:63], exec
	s_and_b64 s[62:63], s[64:65], exec
	s_or_b64 s[62:63], vcc, s[62:63]
	s_andn2_b64 exec, exec, s[60:61]
	s_cbranch_execz .LBB4_1559
.LBB4_1555:                             ;   Parent Loop BB4_49 Depth=1
                                        ; =>  This Inner Loop Header: Depth=2
	s_add_i32 s79, s79, 1
	s_cmpk_lg_i32 s79, 0x2710
	s_cselect_b64 s[66:67], -1, 0
	s_and_b64 vcc, exec, s[66:67]
                                        ; implicit-def: $sgpr68_sgpr69
	s_cbranch_vccnz .LBB4_1557
; %bb.1556:                             ;   in Loop: Header=BB4_1555 Depth=2
	s_trap 2
	ds_read_b64 v[0:1], v0
	s_andn2_b64 s[66:67], s[66:67], exec
	s_mov_b32 s79, 0
	s_mov_b64 s[68:69], -1
	s_waitcnt lgkmcnt(0)
	flat_load_dword v0, v[0:1] glc
	s_waitcnt vmcnt(0) lgkmcnt(0)
	buffer_invl2
	buffer_wbinvl1_vol
	v_cmp_eq_u32_e32 vcc, 0, v0
	s_and_b64 vcc, vcc, exec
	s_or_b64 s[66:67], s[66:67], vcc
.LBB4_1557:                             ;   in Loop: Header=BB4_1555 Depth=2
	s_andn2_b64 s[64:65], s[64:65], exec
	s_and_b64 s[68:69], s[68:69], exec
	s_mov_b64 vcc, -1
	s_or_b64 s[64:65], s[64:65], s[68:69]
	s_and_saveexec_b64 s[68:69], s[66:67]
	s_cbranch_execz .LBB4_1554
; %bb.1558:                             ;   in Loop: Header=BB4_1555 Depth=2
	s_sleep 1
	s_trap 2
	ds_read_b64 v[0:1], v0
	s_andn2_b64 s[64:65], s[64:65], exec
	s_waitcnt lgkmcnt(0)
	v_cmp_ge_u64_e32 vcc, v[0:1], v[38:39]
	s_orn2_b64 vcc, vcc, exec
	s_branch .LBB4_1554
.LBB4_1559:                             ;   in Loop: Header=BB4_49 Depth=1
	s_or_b64 exec, exec, s[60:61]
	s_and_saveexec_b64 vcc, s[62:63]
	s_xor_b64 vcc, exec, vcc
	s_cbranch_execz .LBB4_1561
; %bb.1560:                             ;   in Loop: Header=BB4_49 Depth=1
	ds_write_b32 v0, v47
	s_trap 2
.LBB4_1561:                             ;   in Loop: Header=BB4_49 Depth=1
	s_or_b64 exec, exec, s[58:59]
	;;#ASMSTART
	s_wakeup
	;;#ASMEND
.LBB4_1562:                             ;   in Loop: Header=BB4_49 Depth=1
	s_or_b64 exec, exec, s[56:57]
.LBB4_1563:                             ;   in Loop: Header=BB4_49 Depth=1
	s_andn2_saveexec_b64 vcc, s[54:55]
	s_cbranch_execz .LBB4_1565
; %bb.1564:                             ;   in Loop: Header=BB4_49 Depth=1
	s_waitcnt vmcnt(0) lgkmcnt(0)
	buffer_wbinvl1_vol
	s_barrier
.LBB4_1565:                             ;   in Loop: Header=BB4_49 Depth=1
	s_or_b64 exec, exec, vcc
.LBB4_1566:                             ;   in Loop: Header=BB4_49 Depth=1
	s_or_b64 exec, exec, s[24:25]
	v_and_b32_e32 v0, 16, v62
	v_cmp_ne_u32_e32 vcc, 0, v0
	s_and_b64 s[24:25], vcc, s[22:23]
	s_and_saveexec_b64 s[22:23], s[24:25]
	s_cbranch_execz .LBB4_1568
; %bb.1567:                             ;   in Loop: Header=BB4_49 Depth=1
	s_waitcnt vmcnt(0) lgkmcnt(0)
	buffer_wbinvl1_vol
.LBB4_1568:                             ;   in Loop: Header=BB4_49 Depth=1
	s_or_b64 exec, exec, s[22:23]
	v_cmp_ne_u32_e32 vcc, 0, v0
	s_xor_b64 s[22:23], s[20:21], -1
	s_and_b64 s[24:25], vcc, s[22:23]
	s_and_saveexec_b64 s[22:23], s[24:25]
	s_cbranch_execz .LBB4_1570
; %bb.1569:                             ;   in Loop: Header=BB4_49 Depth=1
	v_accvgpr_read_b32 v0, a22
	v_accvgpr_read_b32 v1, a23
	flat_store_dword v[0:1], v47
.LBB4_1570:                             ;   in Loop: Header=BB4_49 Depth=1
	s_or_b64 exec, exec, s[22:23]
	v_and_b32_e32 v0, 48, v62
	v_cmp_ne_u32_e32 vcc, 0, v0
	s_and_saveexec_b64 s[22:23], vcc
	s_cbranch_execz .LBB4_1572
; %bb.1571:                             ;   in Loop: Header=BB4_49 Depth=1
	v_accvgpr_read_b32 v0, a12
	v_accvgpr_read_b32 v2, a14
	;; [unrolled: 1-line block ×3, first 2 shown]
	v_add_co_u32_e32 v2, vcc, 1, v2
	v_addc_co_u32_e32 v3, vcc, 0, v3, vcc
	v_accvgpr_read_b32 v1, a13
	v_accvgpr_write_b32 a15, v3
	v_accvgpr_write_b32 a14, v2
	v_accvgpr_write_b32 a13, v1
	v_accvgpr_write_b32 a12, v0
	flat_store_dwordx2 v[32:33], v[2:3]
.LBB4_1572:                             ;   in Loop: Header=BB4_49 Depth=1
	s_or_b64 exec, exec, s[22:23]
	v_mov_b32_e32 v0, v16
.LBB4_1573:                             ;   in Loop: Header=BB4_49 Depth=1
	s_or_b64 exec, exec, s[52:53]
	s_and_saveexec_b64 s[24:25], s[50:51]
	s_cbranch_execz .LBB4_48
; %bb.1574:                             ;   in Loop: Header=BB4_49 Depth=1
	v_and_b32_e32 v1, 12, v62
	v_cmp_ne_u32_e32 vcc, 0, v1
	s_mov_b64 s[50:51], -1
	s_and_saveexec_b64 s[22:23], vcc
	s_cbranch_execz .LBB4_1586
; %bb.1575:                             ;   in Loop: Header=BB4_49 Depth=1
	v_and_b32_e32 v10, 8, v62
	v_mov_b32_e32 v8, v6
	v_add_co_u32_e32 v2, vcc, v36, v10
	v_accvgpr_read_b32 v4, a12
	v_addc_co_u32_e32 v3, vcc, 0, v37, vcc
	v_accvgpr_read_b32 v6, a14
	v_accvgpr_read_b32 v7, a15
	v_add_co_u32_e32 v12, vcc, 1, v6
	v_addc_co_u32_e32 v13, vcc, 0, v7, vcc
	v_cmp_lt_u64_e32 vcc, v[2:3], v[12:13]
	v_mov_b32_e32 v1, 1
	v_accvgpr_read_b32 v5, a13
	s_and_saveexec_b64 s[50:51], vcc
	s_cbranch_execz .LBB4_1585
; %bb.1576:                             ;   in Loop: Header=BB4_49 Depth=1
	s_mov_b64 s[52:53], 0
	v_mov_b32_e32 v1, 0
                                        ; implicit-def: $sgpr54_sgpr55
	s_branch .LBB4_1580
.LBB4_1577:                             ;   in Loop: Header=BB4_1580 Depth=2
	s_or_b64 exec, exec, s[62:63]
	v_mov_b32_e32 v2, 0
	s_orn2_b64 s[60:61], s[60:61], exec
.LBB4_1578:                             ;   in Loop: Header=BB4_1580 Depth=2
	s_or_b64 exec, exec, s[58:59]
	s_andn2_b64 vcc, s[54:55], exec
	s_and_b64 s[54:55], s[60:61], exec
	s_or_b64 s[54:55], vcc, s[54:55]
	v_mov_b32_e32 v1, v2
.LBB4_1579:                             ;   in Loop: Header=BB4_1580 Depth=2
	s_or_b64 exec, exec, s[56:57]
	s_waitcnt vmcnt(0) lgkmcnt(0)
	v_add_co_u32_e32 v2, vcc, v36, v10
	v_addc_co_u32_e32 v3, vcc, 0, v37, vcc
	v_cmp_ge_u64_e32 vcc, v[2:3], v[12:13]
	s_xor_b64 s[56:57], s[54:55], -1
	s_or_b64 vcc, s[56:57], vcc
	s_and_b64 vcc, exec, vcc
	s_or_b64 s[52:53], vcc, s[52:53]
	s_andn2_b64 exec, exec, s[52:53]
	s_cbranch_execz .LBB4_1584
.LBB4_1580:                             ;   Parent Loop BB4_49 Depth=1
                                        ; =>  This Inner Loop Header: Depth=2
	s_sleep 1
	flat_load_dwordx2 v[36:37], v[32:33] glc
	v_and_b32_e32 v2, 64, v62
	v_cmp_eq_u32_e32 vcc, 0, v2
	s_andn2_b64 s[54:55], s[54:55], exec
	s_and_saveexec_b64 s[56:57], vcc
	s_cbranch_execz .LBB4_1579
; %bb.1581:                             ;   in Loop: Header=BB4_1580 Depth=2
	v_add_u32_e32 v2, 1, v1
	v_cmp_lt_i32_e32 vcc, s73, v1
	s_mov_b64 s[60:61], -1
	s_and_saveexec_b64 s[58:59], vcc
	s_cbranch_execz .LBB4_1578
; %bb.1582:                             ;   in Loop: Header=BB4_1580 Depth=2
	s_trap 2
	ds_read_b64 v[2:3], v0
	s_waitcnt vmcnt(0) lgkmcnt(0)
	flat_load_dword v1, v[2:3] glc
	s_waitcnt vmcnt(0) lgkmcnt(0)
	buffer_invl2
	buffer_wbinvl1_vol
	v_cmp_ne_u32_e32 vcc, 0, v1
	s_and_saveexec_b64 s[62:63], vcc
	s_cbranch_execz .LBB4_1577
; %bb.1583:                             ;   in Loop: Header=BB4_1580 Depth=2
	v_or_b32_e32 v62, 64, v62
	s_xor_b64 s[60:61], exec, -1
	ds_write_b32 v0, v1
	s_trap 2
	s_branch .LBB4_1577
.LBB4_1584:                             ;   in Loop: Header=BB4_49 Depth=1
	s_or_b64 exec, exec, s[52:53]
	v_and_b32_e32 v1, 12, v62
.LBB4_1585:                             ;   in Loop: Header=BB4_49 Depth=1
	s_or_b64 exec, exec, s[50:51]
	v_cmp_eq_u32_e32 vcc, 0, v1
	s_orn2_b64 s[50:51], vcc, exec
	v_mov_b32_e32 v6, v8
	;;#ASMSTART
	s_wakeup
	;;#ASMEND
.LBB4_1586:                             ;   in Loop: Header=BB4_49 Depth=1
	s_or_b64 exec, exec, s[22:23]
	v_sub_u32_e32 v0, v6, v0
	s_xor_b64 s[22:23], s[50:51], -1
	v_min_i32_e32 v10, v16, v0
	s_and_saveexec_b64 s[50:51], s[22:23]
	s_cbranch_execz .LBB4_1598
; %bb.1587:                             ;   in Loop: Header=BB4_49 Depth=1
	v_and_b32_e32 v0, 0x108, v62
	v_cmp_ne_u32_e32 vcc, s74, v0
	v_accvgpr_read_b32 v0, a12
	v_accvgpr_read_b32 v2, a14
	v_and_b32_e32 v12, 7, v2
	v_accvgpr_read_b32 v1, a13
	v_accvgpr_read_b32 v3, a15
	s_and_saveexec_b64 s[22:23], vcc
	s_xor_b64 s[22:23], exec, s[22:23]
	s_andn2_saveexec_b64 s[22:23], s[22:23]
	s_cbranch_execz .LBB4_1589
; %bb.1588:                             ;   in Loop: Header=BB4_49 Depth=1
	v_accvgpr_read_b32 v0, a12
	v_accvgpr_read_b32 v1, a13
	v_mad_u64_u32 v[0:1], vcc, v12, 24, v[0:1]
	v_ashrrev_i32_e32 v11, 31, v10
	v_accvgpr_read_b32 v2, a14
	v_accvgpr_read_b32 v3, a15
	flat_store_dwordx2 v[0:1], v[10:11] offset:8
.LBB4_1589:                             ;   in Loop: Header=BB4_49 Depth=1
	s_or_b64 exec, exec, s[22:23]
	v_and_b32_e32 v0, 0x100, v62
	v_cmp_ne_u32_e32 vcc, 0, v0
	s_mov_b64 s[22:23], -1
                                        ; implicit-def: $vgpr2_vgpr3
	s_and_saveexec_b64 s[52:53], vcc
	s_cbranch_execz .LBB4_1593
; %bb.1590:                             ;   in Loop: Header=BB4_49 Depth=1
	v_accvgpr_read_b32 v0, a12
	v_accvgpr_read_b32 v1, a13
	v_mad_u64_u32 v[14:15], s[22:23], v12, 24, v[0:1]
	v_mov_b32_e32 v0, v15
	v_mad_u64_u32 v[0:1], s[22:23], v57, 24, v[0:1]
	v_mov_b32_e32 v15, v0
	flat_load_dword v0, v[14:15]
	v_accvgpr_read_b32 v2, a14
	v_accvgpr_read_b32 v3, a15
                                        ; implicit-def: $vgpr2_vgpr3
	s_waitcnt vmcnt(0) lgkmcnt(0)
	v_cmp_ne_u32_e32 vcc, 1, v0
	v_cmp_eq_u32_e64 s[22:23], 1, v0
	s_and_saveexec_b64 s[54:55], s[22:23]
	s_cbranch_execz .LBB4_1592
; %bb.1591:                             ;   in Loop: Header=BB4_49 Depth=1
	flat_load_dword v2, v[14:15] offset:4 glc
	s_waitcnt vmcnt(0) lgkmcnt(0)
	v_ashrrev_i32_e32 v3, 31, v2
.LBB4_1592:                             ;   in Loop: Header=BB4_49 Depth=1
	s_or_b64 exec, exec, s[54:55]
	s_orn2_b64 s[22:23], vcc, exec
.LBB4_1593:                             ;   in Loop: Header=BB4_49 Depth=1
	s_or_b64 exec, exec, s[52:53]
	s_and_saveexec_b64 vcc, s[22:23]
; %bb.1594:                             ;   in Loop: Header=BB4_49 Depth=1
	v_accvgpr_read_b32 v2, a16
	v_mul_lo_u32 v0, v57, v2
	v_mul_lo_u32 v1, v12, v55
	v_mad_u64_u32 v[2:3], s[22:23], v12, v2, 0
	v_add3_u32 v3, v3, v1, v0
; %bb.1595:                             ;   in Loop: Header=BB4_49 Depth=1
	s_or_b64 exec, exec, vcc
	v_accvgpr_read_b32 v0, a18
	v_accvgpr_read_b32 v1, a19
	v_add_co_u32_e32 v0, vcc, v0, v2
	v_addc_co_u32_e32 v1, vcc, v1, v3, vcc
	s_trap 2
	ds_write_b64 v0, v[0:1]
	v_and_b32_e32 v0, 0x2000, v62
	v_cmp_ne_u32_e32 vcc, 0, v0
	s_and_saveexec_b64 s[22:23], vcc
	s_cbranch_execz .LBB4_1597
; %bb.1596:                             ;   in Loop: Header=BB4_49 Depth=1
	ds_read_b64 v[0:1], v0 offset:584
	s_waitcnt lgkmcnt(0)
	v_add_co_u32_e32 v0, vcc, 1, v0
	v_addc_co_u32_e32 v1, vcc, 0, v1, vcc
	ds_write_b64 v0, v[0:1] offset:584
.LBB4_1597:                             ;   in Loop: Header=BB4_49 Depth=1
	s_or_b64 exec, exec, s[22:23]
	v_accvgpr_read_b32 v0, a12
	v_accvgpr_read_b32 v2, a14
	v_accvgpr_read_b32 v3, a15
	v_add_co_u32_e32 v2, vcc, 1, v2
	v_addc_co_u32_e32 v3, vcc, 0, v3, vcc
	v_accvgpr_read_b32 v1, a13
	v_accvgpr_write_b32 a15, v3
	v_accvgpr_write_b32 a14, v2
	;; [unrolled: 1-line block ×4, first 2 shown]
.LBB4_1598:                             ;   in Loop: Header=BB4_49 Depth=1
	s_or_b64 exec, exec, s[50:51]
	s_and_saveexec_b64 s[22:23], s[12:13]
	s_cbranch_execz .LBB4_1617
; %bb.1599:                             ;   in Loop: Header=BB4_49 Depth=1
	s_and_saveexec_b64 vcc, s[36:37]
	s_xor_b64 s[50:51], exec, vcc
	s_cbranch_execz .LBB4_1614
; %bb.1600:                             ;   in Loop: Header=BB4_49 Depth=1
	s_and_saveexec_b64 s[52:53], s[14:15]
	s_cbranch_execz .LBB4_1613
; %bb.1601:                             ;   in Loop: Header=BB4_49 Depth=1
	s_mov_b64 s[56:57], exec
	v_mbcnt_lo_u32_b32 v0, s56, 0
	v_mbcnt_hi_u32_b32 v0, s57, v0
	v_cmp_eq_u32_e32 vcc, 0, v0
	s_waitcnt vmcnt(0) lgkmcnt(0)
	buffer_wbinvl1_vol
	s_and_saveexec_b64 s[54:55], vcc
	s_cbranch_execz .LBB4_1603
; %bb.1602:                             ;   in Loop: Header=BB4_49 Depth=1
	s_bcnt1_i32_b64 vcc_lo, s[56:57]
	v_mov_b32_e32 v56, vcc_lo
	ds_add_u64 v0, v[56:57]
	s_trap 2
.LBB4_1603:                             ;   in Loop: Header=BB4_49 Depth=1
	s_or_b64 exec, exec, s[54:55]
	s_trap 2
	ds_read_b64 v[0:1], v0
	v_add_co_u32_e32 v38, vcc, v38, v54
	v_addc_co_u32_e32 v39, vcc, 0, v39, vcc
	s_waitcnt lgkmcnt(0)
	v_cmp_lt_u64_e32 vcc, v[0:1], v[38:39]
	s_and_saveexec_b64 s[54:55], vcc
	s_cbranch_execz .LBB4_1612
; %bb.1604:                             ;   in Loop: Header=BB4_49 Depth=1
	s_mov_b32 s66, 0
	s_mov_b64 s[56:57], 0
                                        ; implicit-def: $sgpr58_sgpr59
                                        ; implicit-def: $sgpr60_sgpr61
	s_branch .LBB4_1606
.LBB4_1605:                             ;   in Loop: Header=BB4_1606 Depth=2
	s_or_b64 exec, exec, s[64:65]
	s_and_b64 vcc, exec, vcc
	s_or_b64 s[56:57], vcc, s[56:57]
	s_andn2_b64 vcc, s[58:59], exec
	s_and_b64 s[58:59], s[60:61], exec
	s_or_b64 s[58:59], vcc, s[58:59]
	s_andn2_b64 exec, exec, s[56:57]
	s_cbranch_execz .LBB4_1610
.LBB4_1606:                             ;   Parent Loop BB4_49 Depth=1
                                        ; =>  This Inner Loop Header: Depth=2
	s_add_i32 s66, s66, 1
	s_cmpk_lg_i32 s66, 0x2710
	s_cselect_b64 s[62:63], -1, 0
	s_and_b64 vcc, exec, s[62:63]
                                        ; implicit-def: $sgpr64_sgpr65
	s_cbranch_vccnz .LBB4_1608
; %bb.1607:                             ;   in Loop: Header=BB4_1606 Depth=2
	s_trap 2
	ds_read_b64 v[0:1], v0
	s_andn2_b64 s[62:63], s[62:63], exec
	s_mov_b32 s66, 0
	s_mov_b64 s[64:65], -1
	s_waitcnt lgkmcnt(0)
	flat_load_dword v0, v[0:1] glc
	s_waitcnt vmcnt(0) lgkmcnt(0)
	buffer_invl2
	buffer_wbinvl1_vol
	v_cmp_eq_u32_e32 vcc, 0, v0
	s_and_b64 vcc, vcc, exec
	s_or_b64 s[62:63], s[62:63], vcc
.LBB4_1608:                             ;   in Loop: Header=BB4_1606 Depth=2
	s_andn2_b64 s[60:61], s[60:61], exec
	s_and_b64 s[64:65], s[64:65], exec
	s_mov_b64 vcc, -1
	s_or_b64 s[60:61], s[60:61], s[64:65]
	s_and_saveexec_b64 s[64:65], s[62:63]
	s_cbranch_execz .LBB4_1605
; %bb.1609:                             ;   in Loop: Header=BB4_1606 Depth=2
	s_sleep 1
	s_trap 2
	ds_read_b64 v[0:1], v0
	s_andn2_b64 s[60:61], s[60:61], exec
	s_waitcnt lgkmcnt(0)
	v_cmp_ge_u64_e32 vcc, v[0:1], v[38:39]
	s_orn2_b64 vcc, vcc, exec
	s_branch .LBB4_1605
.LBB4_1610:                             ;   in Loop: Header=BB4_49 Depth=1
	s_or_b64 exec, exec, s[56:57]
	s_and_saveexec_b64 vcc, s[58:59]
	s_xor_b64 vcc, exec, vcc
	s_cbranch_execz .LBB4_1612
; %bb.1611:                             ;   in Loop: Header=BB4_49 Depth=1
	ds_write_b32 v0, v47
	s_trap 2
.LBB4_1612:                             ;   in Loop: Header=BB4_49 Depth=1
	s_or_b64 exec, exec, s[54:55]
	;;#ASMSTART
	s_wakeup
	;;#ASMEND
.LBB4_1613:                             ;   in Loop: Header=BB4_49 Depth=1
	s_or_b64 exec, exec, s[52:53]
.LBB4_1614:                             ;   in Loop: Header=BB4_49 Depth=1
	s_andn2_saveexec_b64 vcc, s[50:51]
	s_cbranch_execz .LBB4_1616
; %bb.1615:                             ;   in Loop: Header=BB4_49 Depth=1
	s_waitcnt vmcnt(0) lgkmcnt(0)
	buffer_wbinvl1_vol
	s_barrier
.LBB4_1616:                             ;   in Loop: Header=BB4_49 Depth=1
	s_or_b64 exec, exec, vcc
.LBB4_1617:                             ;   in Loop: Header=BB4_49 Depth=1
	s_or_b64 exec, exec, s[22:23]
	s_trap 2
	ds_read_b32 v1, v0
	v_cmp_lt_i32_e32 vcc, 0, v10
	v_and_b32_e32 v0, 16, v62
	s_waitcnt lgkmcnt(0)
	v_readfirstlane_b32 s22, v1
	s_cmp_eq_u32 s22, 0
	s_cselect_b64 s[22:23], -1, 0
	s_and_b64 s[22:23], vcc, s[22:23]
	v_cmp_ne_u32_e32 vcc, 0, v0
	s_and_b64 vcc, vcc, s[22:23]
	s_and_saveexec_b64 s[22:23], vcc
	s_cbranch_execz .LBB4_1619
; %bb.1618:                             ;   in Loop: Header=BB4_49 Depth=1
	s_waitcnt vmcnt(0)
	buffer_wbinvl1_vol
.LBB4_1619:                             ;   in Loop: Header=BB4_49 Depth=1
	s_or_b64 exec, exec, s[22:23]
	v_cmp_ne_u32_e32 vcc, 0, v0
	s_xor_b64 s[22:23], s[20:21], -1
	s_and_b64 vcc, vcc, s[22:23]
	s_and_saveexec_b64 s[22:23], vcc
	s_cbranch_execz .LBB4_1621
; %bb.1620:                             ;   in Loop: Header=BB4_49 Depth=1
	v_accvgpr_read_b32 v0, a22
	v_accvgpr_read_b32 v1, a23
	flat_store_dword v[0:1], v47
.LBB4_1621:                             ;   in Loop: Header=BB4_49 Depth=1
	s_or_b64 exec, exec, s[22:23]
	v_and_b32_e32 v0, 48, v62
	v_cmp_ne_u32_e32 vcc, 0, v0
	s_and_saveexec_b64 s[22:23], vcc
	s_cbranch_execz .LBB4_47
; %bb.1622:                             ;   in Loop: Header=BB4_49 Depth=1
	v_accvgpr_read_b32 v0, a12
	v_accvgpr_read_b32 v2, a14
	;; [unrolled: 1-line block ×3, first 2 shown]
	v_add_co_u32_e32 v2, vcc, 1, v2
	v_addc_co_u32_e32 v3, vcc, 0, v3, vcc
	v_accvgpr_read_b32 v1, a13
	v_accvgpr_write_b32 a15, v3
	v_accvgpr_write_b32 a14, v2
	v_accvgpr_write_b32 a13, v1
	v_accvgpr_write_b32 a12, v0
	flat_store_dwordx2 v[32:33], v[2:3]
	s_branch .LBB4_47
.LBB4_1623:
	s_or_b64 exec, exec, s[38:39]
	v_accvgpr_read_b32 v45, a15
	v_accvgpr_read_b32 v47, a0
	;; [unrolled: 1-line block ×7, first 2 shown]
.LBB4_1624:
	s_or_b64 exec, exec, s[34:35]
                                        ; implicit-def: $vgpr60_vgpr61
                                        ; implicit-def: $vgpr40_vgpr41
                                        ; implicit-def: $agpr16
                                        ; implicit-def: $vgpr36_vgpr37
                                        ; implicit-def: $agpr18_agpr19
                                        ; implicit-def: $vgpr32_vgpr33
                                        ; implicit-def: $vgpr58
                                        ; implicit-def: $vgpr1
                                        ; implicit-def: $agpr20_agpr21
.LBB4_1625:
	s_andn2_saveexec_b64 s[22:23], s[30:31]
	s_cbranch_execz .LBB4_3198
; %bb.1626:
	v_pk_mov_b32 v[38:39], 0, 0
	s_and_saveexec_b64 s[24:25], s[6:7]
	s_cbranch_execz .LBB4_3197
; %bb.1627:
	v_and_b32_e32 v0, 63, v56
	v_cmp_eq_u32_e64 s[12:13], 0, v0
	v_ashrrev_i32_e32 v0, 31, v58
	v_lshrrev_b32_e32 v0, 26, v0
	v_add_u32_e32 v0, v58, v0
	v_ashrrev_i32_e32 v54, 6, v0
	v_and_b32_e32 v0, 0xffffffc0, v0
	v_sub_u32_e32 v3, v58, v0
	v_lshlrev_b32_e32 v0, 11, v54
	v_lshl_add_u32 v0, v3, 4, v0
	v_lshrrev_b32_e32 v2, 6, v47
	v_cmp_le_i32_e64 s[14:15], v3, v1
	v_accvgpr_write_b32 a24, v0
	v_ashrrev_i32_e32 v1, 31, v0
	v_mov_b32_e32 v0, 0xfffff800
	v_accvgpr_write_b32 a6, v60
	v_lshl_add_u32 v0, v2, 11, v0
	s_movk_i32 s18, 0x800
	v_accvgpr_write_b32 a7, v61
	v_accvgpr_write_b32 a25, v1
	v_ashrrev_i32_e32 v1, 31, v0
	v_add_co_u32_e64 v60, s[18:19], s18, v0
	v_addc_co_u32_e64 v0, s[18:19], 0, v1, s[18:19]
	v_lshlrev_b32_e32 v55, 10, v2
	s_waitcnt vmcnt(0) lgkmcnt(0)
	v_accvgpr_write_b32 a12, v42
	v_accvgpr_write_b32 a27, v0
	v_add_u32_e32 v0, 0xfffffc00, v55
	s_movk_i32 s18, 0x400
	v_accvgpr_write_b32 a13, v43
	v_accvgpr_write_b32 a14, v44
	;; [unrolled: 1-line block ×3, first 2 shown]
	v_ashrrev_i32_e32 v1, 31, v0
	v_add_co_u32_e64 v44, s[18:19], s18, v0
	v_addc_co_u32_e64 v45, s[18:19], 0, v1, s[18:19]
	v_mov_b32_e32 v0, 0xfffffe00
	s_ashr_i32 s6, s70, 31
	v_lshl_add_u32 v0, v2, 9, v0
	s_movk_i32 s18, 0x200
	s_lshr_b32 s6, s6, 24
	v_ashrrev_i32_e32 v1, 31, v0
	v_add_co_u32_e64 v46, s[18:19], s18, v0
	v_and_b32_e32 v0, 0xffffffc0, v47
	s_add_i32 s6, s70, s6
	v_cmp_eq_u32_e32 vcc, 64, v47
	v_cmp_gt_i32_e64 s[16:17], 1, v3
	v_accvgpr_write_b32 a23, v3
	v_accvgpr_write_b32 a22, v2
	v_addc_co_u32_e64 v61, s[18:19], 0, v1, s[18:19]
	v_ashrrev_i32_e32 v1, 31, v0
	v_pk_mov_b32 v[42:43], 0, 0
	s_mov_b32 s42, -1
	v_accvgpr_read_b32 v2, a20
	s_ashr_i32 s66, s6, 8
	v_cmp_ge_i32_e64 s[6:7], v58, v47
	v_cmp_ne_u32_e64 s[10:11], 64, v47
	v_cmp_ne_u32_sdwa s[30:31], v57, v47 src0_sel:WORD_0 src1_sel:DWORD
	v_mov_b32_e32 v53, 0
	s_movk_i32 s67, 0xffc0
	v_accvgpr_write_b32 a32, v0
	v_accvgpr_write_b32 a33, v1
	s_mov_b64 s[34:35], 0
	s_movk_i32 s68, 0x270e
	s_xor_b64 s[36:37], vcc, -1
	s_movk_i32 s69, 0x80
	s_movk_i32 s71, 0x7f
	s_mov_b64 s[38:39], 0x7f800000
	s_mov_b64 s[40:41], 0x43e00001
	s_movk_i32 s72, 0x7a
	s_mov_b32 s43, 0xffffff
	s_mov_b64 s[44:45], 0xffffff
	s_mov_b32 s73, 0xc0c0500
	v_bfrev_b32_e32 v27, 60
	v_pk_mov_b32 v[38:39], v[42:43], v[42:43] op_sel:[0,1]
	v_accvgpr_read_b32 v3, a21
	s_trap 2
	s_branch .LBB4_1630
.LBB4_1628:                             ;   in Loop: Header=BB4_1630 Depth=1
	s_or_b64 exec, exec, s[18:19]
.LBB4_1629:                             ;   in Loop: Header=BB4_1630 Depth=1
	s_or_b64 exec, exec, s[20:21]
	v_accvgpr_read_b32 v2, a20
	v_add_co_u32_e32 v42, vcc, v42, v2
	v_accvgpr_read_b32 v41, a5
	v_addc_co_u32_e32 v43, vcc, 0, v43, vcc
	v_accvgpr_read_b32 v40, a4
	v_cmp_ge_u64_e32 vcc, v[42:43], v[40:41]
	v_accvgpr_read_b32 v3, a21
	s_or_b64 s[34:35], vcc, s[34:35]
	s_andn2_b64 exec, exec, s[34:35]
	s_cbranch_execz .LBB4_3196
.LBB4_1630:                             ; =>This Loop Header: Depth=1
                                        ;     Child Loop BB4_1641 Depth 2
                                        ;     Child Loop BB4_1663 Depth 2
	;; [unrolled: 1-line block ×10, first 2 shown]
	v_sub_co_u32_e32 v0, vcc, v40, v42
	v_subb_co_u32_e32 v1, vcc, v41, v43, vcc
	v_cmp_lt_u64_e32 vcc, v[2:3], v[0:1]
	v_cndmask_b32_e64 v7, v1, 0, vcc
	v_cndmask_b32_e32 v6, v0, v2, vcc
	v_add_u32_e32 v0, 15, v6
	v_cmp_eq_u64_e32 vcc, 0, v[6:7]
	v_accvgpr_write_b32 a4, v40
	v_and_b32_e32 v0, 0x7ffffff0, v0
	s_or_b64 s[46:47], s[6:7], vcc
	v_accvgpr_write_b32 a5, v41
	v_max_i32_e32 v40, s66, v0
	s_xor_b64 s[18:19], s[46:47], -1
	v_mov_b32_e32 v0, v53
	s_and_saveexec_b64 s[48:49], s[18:19]
	s_cbranch_execz .LBB4_3150
; %bb.1631:                             ;   in Loop: Header=BB4_1630 Depth=1
	s_mov_b64 s[18:19], exec
	s_and_b64 s[20:21], s[18:19], s[4:5]
	v_accvgpr_write_b32 a34, v6
	s_mov_b64 exec, s[20:21]
	s_cbranch_execz .LBB4_1633
; %bb.1632:                             ;   in Loop: Header=BB4_1630 Depth=1
	s_trap 2
	ds_read2_b64 v[0:3], v0 offset1:1
	v_accvgpr_read_b32 v4, a6
	v_accvgpr_read_b32 v5, a7
	v_add_co_u32_e32 v6, vcc, v42, v4
	v_addc_co_u32_e32 v7, vcc, v43, v5, vcc
	s_waitcnt lgkmcnt(0)
	ds_read_b64 v[4:5], v0
	v_add_co_u32_e32 v0, vcc, v0, v6
	v_addc_co_u32_e32 v1, vcc, v1, v7, vcc
	ds_write_b64 v0, v[0:1]
	v_add_co_u32_e32 v0, vcc, v2, v6
	v_addc_co_u32_e32 v1, vcc, v3, v7, vcc
	ds_write_b64 v0, v[0:1]
	s_waitcnt lgkmcnt(0)
	v_add_co_u32_e32 v0, vcc, v4, v6
	v_addc_co_u32_e32 v1, vcc, v5, v7, vcc
	v_cmp_ne_u64_e32 vcc, 0, v[4:5]
	v_accvgpr_read_b32 v6, a34
	v_cndmask_b32_e32 v1, 0, v1, vcc
	v_cndmask_b32_e32 v0, 0, v0, vcc
	ds_write_b64 v0, v[0:1]
.LBB4_1633:                             ;   in Loop: Header=BB4_1630 Depth=1
	s_or_b64 exec, exec, s[18:19]
	v_and_b32_e32 v0, 4, v62
	v_cmp_ne_u32_e32 vcc, 0, v0
	s_mov_b64 s[20:21], -1
	s_and_saveexec_b64 s[18:19], vcc
	s_cbranch_execnz .LBB4_1636
; %bb.1634:                             ;   in Loop: Header=BB4_1630 Depth=1
	s_or_b64 exec, exec, s[18:19]
	s_xor_b64 s[18:19], s[20:21], -1
	s_and_saveexec_b64 s[20:21], s[18:19]
	s_cbranch_execnz .LBB4_1647
.LBB4_1635:                             ;   in Loop: Header=BB4_1630 Depth=1
	s_or_b64 exec, exec, s[20:21]
	s_and_saveexec_b64 s[18:19], s[10:11]
	s_cbranch_execnz .LBB4_1656
	s_branch .LBB4_1674
.LBB4_1636:                             ;   in Loop: Header=BB4_1630 Depth=1
	v_accvgpr_read_b32 v0, a12
	v_accvgpr_read_b32 v2, a14
	v_accvgpr_read_b32 v3, a15
	v_add_co_u32_e32 v10, vcc, 1, v2
	v_addc_co_u32_e32 v11, vcc, 0, v3, vcc
	v_cmp_lt_u64_e32 vcc, v[36:37], v[10:11]
	v_mov_b32_e32 v0, 1
	v_accvgpr_read_b32 v1, a13
	s_and_saveexec_b64 s[20:21], vcc
	s_cbranch_execz .LBB4_1646
; %bb.1637:                             ;   in Loop: Header=BB4_1630 Depth=1
	s_mov_b64 s[50:51], 0
	v_mov_b32_e32 v0, 0
                                        ; implicit-def: $sgpr52_sgpr53
	s_branch .LBB4_1641
.LBB4_1638:                             ;   in Loop: Header=BB4_1641 Depth=2
	s_or_b64 exec, exec, s[60:61]
	v_mov_b32_e32 v1, 0
	s_orn2_b64 s[58:59], s[58:59], exec
.LBB4_1639:                             ;   in Loop: Header=BB4_1641 Depth=2
	s_or_b64 exec, exec, s[56:57]
	s_andn2_b64 vcc, s[52:53], exec
	s_and_b64 s[52:53], s[58:59], exec
	s_or_b64 s[52:53], vcc, s[52:53]
	v_mov_b32_e32 v0, v1
.LBB4_1640:                             ;   in Loop: Header=BB4_1641 Depth=2
	s_or_b64 exec, exec, s[54:55]
	s_waitcnt vmcnt(0) lgkmcnt(0)
	v_cmp_ge_u64_e32 vcc, v[36:37], v[10:11]
	s_xor_b64 s[54:55], s[52:53], -1
	s_or_b64 vcc, s[54:55], vcc
	s_and_b64 vcc, exec, vcc
	s_or_b64 s[50:51], vcc, s[50:51]
	s_andn2_b64 exec, exec, s[50:51]
	s_cbranch_execz .LBB4_1645
.LBB4_1641:                             ;   Parent Loop BB4_1630 Depth=1
                                        ; =>  This Inner Loop Header: Depth=2
	s_sleep 1
	flat_load_dwordx2 v[36:37], v[32:33] glc
	v_and_b32_e32 v1, 64, v62
	v_cmp_eq_u32_e32 vcc, 0, v1
	s_andn2_b64 s[52:53], s[52:53], exec
	s_and_saveexec_b64 s[54:55], vcc
	s_cbranch_execz .LBB4_1640
; %bb.1642:                             ;   in Loop: Header=BB4_1641 Depth=2
	v_add_u32_e32 v1, 1, v0
	v_cmp_lt_i32_e32 vcc, s68, v0
	s_mov_b64 s[58:59], -1
	s_and_saveexec_b64 s[56:57], vcc
	s_cbranch_execz .LBB4_1639
; %bb.1643:                             ;   in Loop: Header=BB4_1641 Depth=2
	s_trap 2
	ds_read_b64 v[0:1], v0
	s_waitcnt vmcnt(0) lgkmcnt(0)
	flat_load_dword v0, v[0:1] glc
	s_waitcnt vmcnt(0) lgkmcnt(0)
	buffer_invl2
	buffer_wbinvl1_vol
	v_cmp_ne_u32_e32 vcc, 0, v0
	s_and_saveexec_b64 s[60:61], vcc
	s_cbranch_execz .LBB4_1638
; %bb.1644:                             ;   in Loop: Header=BB4_1641 Depth=2
	v_or_b32_e32 v62, 64, v62
	s_xor_b64 s[58:59], exec, -1
	ds_write_b32 v0, v0
	s_trap 2
	s_branch .LBB4_1638
.LBB4_1645:                             ;   in Loop: Header=BB4_1630 Depth=1
	s_or_b64 exec, exec, s[50:51]
	v_and_b32_e32 v0, 4, v62
.LBB4_1646:                             ;   in Loop: Header=BB4_1630 Depth=1
	s_or_b64 exec, exec, s[20:21]
	v_cmp_eq_u32_e32 vcc, 0, v0
	s_orn2_b64 s[20:21], vcc, exec
	;;#ASMSTART
	s_wakeup
	;;#ASMEND
	s_or_b64 exec, exec, s[18:19]
	s_xor_b64 s[18:19], s[20:21], -1
	s_and_saveexec_b64 s[20:21], s[18:19]
	s_cbranch_execz .LBB4_1635
.LBB4_1647:                             ;   in Loop: Header=BB4_1630 Depth=1
	v_and_b32_e32 v0, 0x100, v62
	v_cmp_ne_u32_e32 vcc, 0, v0
	v_accvgpr_read_b32 v0, a12
	v_accvgpr_read_b32 v2, a14
	;; [unrolled: 1-line block ×3, first 2 shown]
	v_and_b32_e32 v0, 7, v2
	s_mov_b64 s[18:19], -1
	v_accvgpr_read_b32 v1, a13
                                        ; implicit-def: $vgpr2_vgpr3
	s_and_saveexec_b64 s[50:51], vcc
	s_cbranch_execz .LBB4_1651
; %bb.1648:                             ;   in Loop: Header=BB4_1630 Depth=1
	v_accvgpr_read_b32 v2, a12
	v_accvgpr_read_b32 v3, a13
	v_mad_u64_u32 v[10:11], s[18:19], v0, 24, v[2:3]
	flat_load_dword v1, v[10:11]
	v_accvgpr_read_b32 v4, a14
	v_accvgpr_read_b32 v5, a15
                                        ; implicit-def: $vgpr2_vgpr3
	s_waitcnt vmcnt(0) lgkmcnt(0)
	v_cmp_ne_u32_e32 vcc, 1, v1
	v_cmp_eq_u32_e64 s[18:19], 1, v1
	s_and_saveexec_b64 s[52:53], s[18:19]
	s_cbranch_execz .LBB4_1650
; %bb.1649:                             ;   in Loop: Header=BB4_1630 Depth=1
	flat_load_dword v2, v[10:11] offset:4 glc
	s_waitcnt vmcnt(0) lgkmcnt(0)
	v_ashrrev_i32_e32 v3, 31, v2
.LBB4_1650:                             ;   in Loop: Header=BB4_1630 Depth=1
	s_or_b64 exec, exec, s[52:53]
	s_orn2_b64 s[18:19], vcc, exec
.LBB4_1651:                             ;   in Loop: Header=BB4_1630 Depth=1
	s_or_b64 exec, exec, s[50:51]
	s_and_saveexec_b64 vcc, s[18:19]
; %bb.1652:                             ;   in Loop: Header=BB4_1630 Depth=1
	v_accvgpr_read_b32 v2, a16
	v_mad_i64_i32 v[2:3], s[18:19], v0, v2, 0
; %bb.1653:                             ;   in Loop: Header=BB4_1630 Depth=1
	s_or_b64 exec, exec, vcc
	v_accvgpr_read_b32 v0, a18
	v_accvgpr_read_b32 v1, a19
	v_add_co_u32_e32 v0, vcc, v0, v2
	v_addc_co_u32_e32 v1, vcc, v1, v3, vcc
	ds_write_b64 v0, v[0:1] offset:728
	v_and_b32_e32 v0, 0x2000, v62
	v_cmp_ne_u32_e32 vcc, 0, v0
	s_and_saveexec_b64 s[18:19], vcc
	s_cbranch_execz .LBB4_1655
; %bb.1654:                             ;   in Loop: Header=BB4_1630 Depth=1
	ds_read_b64 v[0:1], v0 offset:584
	s_waitcnt lgkmcnt(0)
	v_add_co_u32_e32 v0, vcc, 1, v0
	v_addc_co_u32_e32 v1, vcc, 0, v1, vcc
	ds_write_b64 v0, v[0:1] offset:584
.LBB4_1655:                             ;   in Loop: Header=BB4_1630 Depth=1
	s_or_b64 exec, exec, s[18:19]
	v_accvgpr_read_b32 v0, a12
	v_accvgpr_read_b32 v2, a14
	;; [unrolled: 1-line block ×3, first 2 shown]
	v_add_co_u32_e32 v2, vcc, 1, v2
	v_addc_co_u32_e32 v3, vcc, 0, v3, vcc
	v_accvgpr_read_b32 v1, a13
	v_accvgpr_write_b32 a15, v3
	v_accvgpr_write_b32 a14, v2
	;; [unrolled: 1-line block ×4, first 2 shown]
	s_or_b64 exec, exec, s[20:21]
	s_and_saveexec_b64 s[18:19], s[10:11]
	s_cbranch_execz .LBB4_1674
.LBB4_1656:                             ;   in Loop: Header=BB4_1630 Depth=1
	s_and_saveexec_b64 s[20:21], s[30:31]
	s_xor_b64 s[20:21], exec, s[20:21]
	s_cbranch_execz .LBB4_1671
; %bb.1657:                             ;   in Loop: Header=BB4_1630 Depth=1
	s_and_saveexec_b64 s[50:51], s[12:13]
	s_cbranch_execz .LBB4_1670
; %bb.1658:                             ;   in Loop: Header=BB4_1630 Depth=1
	s_mov_b64 s[54:55], exec
	v_mbcnt_lo_u32_b32 v0, s54, 0
	v_mbcnt_hi_u32_b32 v0, s55, v0
	v_cmp_eq_u32_e32 vcc, 0, v0
	s_waitcnt vmcnt(0) lgkmcnt(0)
	buffer_wbinvl1_vol
	s_and_saveexec_b64 s[52:53], vcc
	s_cbranch_execz .LBB4_1660
; %bb.1659:                             ;   in Loop: Header=BB4_1630 Depth=1
	s_bcnt1_i32_b64 vcc_lo, s[54:55]
	v_mov_b32_e32 v52, vcc_lo
	ds_add_u64 v0, v[52:53]
	s_trap 2
.LBB4_1660:                             ;   in Loop: Header=BB4_1630 Depth=1
	s_or_b64 exec, exec, s[52:53]
	s_trap 2
	ds_read_b64 v[0:1], v0
	v_accvgpr_read_b32 v2, a22
	v_add_co_u32_e32 v38, vcc, v38, v2
	v_addc_co_u32_e32 v39, vcc, 0, v39, vcc
	s_waitcnt lgkmcnt(0)
	v_cmp_lt_u64_e32 vcc, v[0:1], v[38:39]
	s_and_saveexec_b64 s[52:53], vcc
	s_cbranch_execz .LBB4_1669
; %bb.1661:                             ;   in Loop: Header=BB4_1630 Depth=1
	s_mov_b32 s64, 0
	s_mov_b64 s[54:55], 0
                                        ; implicit-def: $sgpr56_sgpr57
                                        ; implicit-def: $sgpr58_sgpr59
	s_branch .LBB4_1663
.LBB4_1662:                             ;   in Loop: Header=BB4_1663 Depth=2
	s_or_b64 exec, exec, s[62:63]
	s_and_b64 vcc, exec, vcc
	s_or_b64 s[54:55], vcc, s[54:55]
	s_andn2_b64 vcc, s[56:57], exec
	s_and_b64 s[56:57], s[58:59], exec
	s_or_b64 s[56:57], vcc, s[56:57]
	s_andn2_b64 exec, exec, s[54:55]
	s_cbranch_execz .LBB4_1667
.LBB4_1663:                             ;   Parent Loop BB4_1630 Depth=1
                                        ; =>  This Inner Loop Header: Depth=2
	s_add_i32 s64, s64, 1
	s_cmpk_lg_i32 s64, 0x2710
	s_cselect_b64 s[60:61], -1, 0
	s_and_b64 vcc, exec, s[60:61]
                                        ; implicit-def: $sgpr62_sgpr63
	s_cbranch_vccnz .LBB4_1665
; %bb.1664:                             ;   in Loop: Header=BB4_1663 Depth=2
	s_trap 2
	ds_read_b64 v[0:1], v0
	s_andn2_b64 s[60:61], s[60:61], exec
	s_mov_b32 s64, 0
	s_mov_b64 s[62:63], -1
	s_waitcnt lgkmcnt(0)
	flat_load_dword v0, v[0:1] glc
	s_waitcnt vmcnt(0) lgkmcnt(0)
	buffer_invl2
	buffer_wbinvl1_vol
	v_cmp_eq_u32_e32 vcc, 0, v0
	s_and_b64 vcc, vcc, exec
	s_or_b64 s[60:61], s[60:61], vcc
.LBB4_1665:                             ;   in Loop: Header=BB4_1663 Depth=2
	s_andn2_b64 s[58:59], s[58:59], exec
	s_and_b64 s[62:63], s[62:63], exec
	s_mov_b64 vcc, -1
	s_or_b64 s[58:59], s[58:59], s[62:63]
	s_and_saveexec_b64 s[62:63], s[60:61]
	s_cbranch_execz .LBB4_1662
; %bb.1666:                             ;   in Loop: Header=BB4_1663 Depth=2
	s_sleep 1
	s_trap 2
	ds_read_b64 v[0:1], v0
	s_andn2_b64 s[58:59], s[58:59], exec
	s_waitcnt lgkmcnt(0)
	v_cmp_ge_u64_e32 vcc, v[0:1], v[38:39]
	s_orn2_b64 vcc, vcc, exec
	s_branch .LBB4_1662
.LBB4_1667:                             ;   in Loop: Header=BB4_1630 Depth=1
	s_or_b64 exec, exec, s[54:55]
	s_and_saveexec_b64 vcc, s[56:57]
	s_xor_b64 vcc, exec, vcc
	s_cbranch_execz .LBB4_1669
; %bb.1668:                             ;   in Loop: Header=BB4_1630 Depth=1
	v_mov_b32_e32 v0, 1
	ds_write_b32 v0, v0
	s_trap 2
.LBB4_1669:                             ;   in Loop: Header=BB4_1630 Depth=1
	s_or_b64 exec, exec, s[52:53]
	;;#ASMSTART
	s_wakeup
	;;#ASMEND
.LBB4_1670:                             ;   in Loop: Header=BB4_1630 Depth=1
	s_or_b64 exec, exec, s[50:51]
.LBB4_1671:                             ;   in Loop: Header=BB4_1630 Depth=1
	s_andn2_saveexec_b64 s[20:21], s[20:21]
	s_cbranch_execz .LBB4_1673
; %bb.1672:                             ;   in Loop: Header=BB4_1630 Depth=1
	s_waitcnt vmcnt(0) lgkmcnt(0)
	buffer_wbinvl1_vol
	s_barrier
.LBB4_1673:                             ;   in Loop: Header=BB4_1630 Depth=1
	s_or_b64 exec, exec, s[20:21]
.LBB4_1674:                             ;   in Loop: Header=BB4_1630 Depth=1
	s_or_b64 exec, exec, s[18:19]
	s_trap 2
	ds_read_b32 v0, v0
	v_and_b32_e32 v1, 0x4000, v62
	v_cmp_ne_u32_e32 vcc, 0, v1
	s_and_b64 s[20:21], s[36:37], vcc
	s_and_saveexec_b64 s[18:19], s[20:21]
	s_cbranch_execz .LBB4_1693
; %bb.1675:                             ;   in Loop: Header=BB4_1630 Depth=1
	s_and_saveexec_b64 s[20:21], s[30:31]
	s_xor_b64 s[20:21], exec, s[20:21]
	s_cbranch_execz .LBB4_1690
; %bb.1676:                             ;   in Loop: Header=BB4_1630 Depth=1
	s_and_saveexec_b64 s[50:51], s[12:13]
	s_cbranch_execz .LBB4_1689
; %bb.1677:                             ;   in Loop: Header=BB4_1630 Depth=1
	s_mov_b64 s[54:55], exec
	v_mbcnt_lo_u32_b32 v1, s54, 0
	v_mbcnt_hi_u32_b32 v1, s55, v1
	v_cmp_eq_u32_e32 vcc, 0, v1
	s_waitcnt vmcnt(0) lgkmcnt(0)
	buffer_wbinvl1_vol
	s_and_saveexec_b64 s[52:53], vcc
	s_cbranch_execz .LBB4_1679
; %bb.1678:                             ;   in Loop: Header=BB4_1630 Depth=1
	s_bcnt1_i32_b64 vcc_lo, s[54:55]
	v_mov_b32_e32 v52, vcc_lo
	ds_add_u64 v0, v[52:53]
	s_trap 2
.LBB4_1679:                             ;   in Loop: Header=BB4_1630 Depth=1
	s_or_b64 exec, exec, s[52:53]
	s_trap 2
	ds_read_b64 v[2:3], v0
	v_accvgpr_read_b32 v4, a22
	v_add_co_u32_e32 v38, vcc, v38, v4
	v_addc_co_u32_e32 v39, vcc, 0, v39, vcc
	s_waitcnt lgkmcnt(0)
	v_cmp_lt_u64_e32 vcc, v[2:3], v[38:39]
	s_and_saveexec_b64 s[52:53], vcc
	s_cbranch_execz .LBB4_1688
; %bb.1680:                             ;   in Loop: Header=BB4_1630 Depth=1
	s_mov_b32 s64, 0
	s_mov_b64 s[54:55], 0
                                        ; implicit-def: $sgpr56_sgpr57
                                        ; implicit-def: $sgpr58_sgpr59
	s_branch .LBB4_1682
.LBB4_1681:                             ;   in Loop: Header=BB4_1682 Depth=2
	s_or_b64 exec, exec, s[62:63]
	s_and_b64 vcc, exec, vcc
	s_or_b64 s[54:55], vcc, s[54:55]
	s_andn2_b64 vcc, s[56:57], exec
	s_and_b64 s[56:57], s[58:59], exec
	s_or_b64 s[56:57], vcc, s[56:57]
	s_andn2_b64 exec, exec, s[54:55]
	s_cbranch_execz .LBB4_1686
.LBB4_1682:                             ;   Parent Loop BB4_1630 Depth=1
                                        ; =>  This Inner Loop Header: Depth=2
	s_add_i32 s64, s64, 1
	s_cmpk_lg_i32 s64, 0x2710
	s_cselect_b64 s[60:61], -1, 0
	s_and_b64 vcc, exec, s[60:61]
                                        ; implicit-def: $sgpr62_sgpr63
	s_cbranch_vccnz .LBB4_1684
; %bb.1683:                             ;   in Loop: Header=BB4_1682 Depth=2
	s_trap 2
	ds_read_b64 v[2:3], v0
	s_andn2_b64 s[60:61], s[60:61], exec
	s_mov_b32 s64, 0
	s_mov_b64 s[62:63], -1
	s_waitcnt lgkmcnt(0)
	flat_load_dword v1, v[2:3] glc
	s_waitcnt vmcnt(0) lgkmcnt(0)
	buffer_invl2
	buffer_wbinvl1_vol
	v_cmp_eq_u32_e32 vcc, 0, v1
	s_and_b64 vcc, vcc, exec
	s_or_b64 s[60:61], s[60:61], vcc
.LBB4_1684:                             ;   in Loop: Header=BB4_1682 Depth=2
	s_andn2_b64 s[58:59], s[58:59], exec
	s_and_b64 s[62:63], s[62:63], exec
	s_mov_b64 vcc, -1
	s_or_b64 s[58:59], s[58:59], s[62:63]
	s_and_saveexec_b64 s[62:63], s[60:61]
	s_cbranch_execz .LBB4_1681
; %bb.1685:                             ;   in Loop: Header=BB4_1682 Depth=2
	s_sleep 1
	s_trap 2
	ds_read_b64 v[2:3], v0
	s_andn2_b64 s[58:59], s[58:59], exec
	s_waitcnt lgkmcnt(0)
	v_cmp_ge_u64_e32 vcc, v[2:3], v[38:39]
	s_orn2_b64 vcc, vcc, exec
	s_branch .LBB4_1681
.LBB4_1686:                             ;   in Loop: Header=BB4_1630 Depth=1
	s_or_b64 exec, exec, s[54:55]
	s_and_saveexec_b64 vcc, s[56:57]
	s_xor_b64 vcc, exec, vcc
	s_cbranch_execz .LBB4_1688
; %bb.1687:                             ;   in Loop: Header=BB4_1630 Depth=1
	v_mov_b32_e32 v1, 1
	ds_write_b32 v0, v1
	s_trap 2
.LBB4_1688:                             ;   in Loop: Header=BB4_1630 Depth=1
	s_or_b64 exec, exec, s[52:53]
	;;#ASMSTART
	s_wakeup
	;;#ASMEND
.LBB4_1689:                             ;   in Loop: Header=BB4_1630 Depth=1
	s_or_b64 exec, exec, s[50:51]
.LBB4_1690:                             ;   in Loop: Header=BB4_1630 Depth=1
	s_andn2_saveexec_b64 s[20:21], s[20:21]
	s_cbranch_execz .LBB4_1692
; %bb.1691:                             ;   in Loop: Header=BB4_1630 Depth=1
	s_waitcnt vmcnt(0) lgkmcnt(0)
	buffer_wbinvl1_vol
	s_barrier
.LBB4_1692:                             ;   in Loop: Header=BB4_1630 Depth=1
	s_or_b64 exec, exec, s[20:21]
.LBB4_1693:                             ;   in Loop: Header=BB4_1630 Depth=1
	s_or_b64 exec, exec, s[18:19]
	s_trap 2
	s_waitcnt lgkmcnt(0)
	ds_read_b64 v[2:3], v0
	v_min_u32_e32 v40, v40, v6
	s_waitcnt lgkmcnt(0)
	v_readfirstlane_b32 s18, v2
	v_readfirstlane_b32 s19, v3
	s_cmp_eq_u64 s[18:19], 0
	s_cselect_b64 s[18:19], -1, 0
	s_or_b64 s[20:21], s[18:19], s[18:19]
	s_mov_b64 s[18:19], 0
	s_and_b64 vcc, exec, s[20:21]
	s_cbranch_vccnz .LBB4_3126
; %bb.1694:                             ;   in Loop: Header=BB4_1630 Depth=1
	s_mov_b64 s[20:21], -1
	s_and_saveexec_b64 s[18:19], s[14:15]
	s_cbranch_execz .LBB4_1696
; %bb.1695:                             ;   in Loop: Header=BB4_1630 Depth=1
	ds_read_b32 v1, v0 offset:720
	s_waitcnt lgkmcnt(0)
	v_and_b32_e32 v1, 15, v1
	v_cmp_eq_u32_e32 vcc, 0, v1
	s_orn2_b64 s[20:21], vcc, exec
.LBB4_1696:                             ;   in Loop: Header=BB4_1630 Depth=1
	s_or_b64 exec, exec, s[18:19]
	s_and_saveexec_b64 s[18:19], s[16:17]
	s_cbranch_execz .LBB4_1698
; %bb.1697:                             ;   in Loop: Header=BB4_1630 Depth=1
	ds_read_b32 v1, v0 offset:784
	s_waitcnt lgkmcnt(0)
	v_and_b32_e32 v1, 15, v1
	v_cmp_eq_u32_e32 vcc, 0, v1
	s_and_b64 vcc, s[20:21], vcc
	s_andn2_b64 s[20:21], s[20:21], exec
	s_and_b64 vcc, vcc, exec
	s_or_b64 s[20:21], s[20:21], vcc
.LBB4_1698:                             ;   in Loop: Header=BB4_1630 Depth=1
	s_or_b64 exec, exec, s[18:19]
	v_cmp_eq_u32_e32 vcc, 0, v0
	s_xor_b64 s[20:21], s[20:21], -1
	v_cndmask_b32_e32 v41, 0, v40, vcc
	v_cndmask_b32_e64 v0, 0, 1, s[20:21]
	v_mov_b32_e32 v16, 0
	s_mov_b64 s[18:19], -1
	;;#ASMSTART
	;;#ASMEND
	v_cmp_ne_u32_e32 vcc, 0, v0
	v_mov_b32_e32 v17, v41
	v_mov_b32_e32 v18, v58
	;; [unrolled: 1-line block ×3, first 2 shown]
	s_cbranch_vccz .LBB4_1700
; %bb.1699:                             ;   in Loop: Header=BB4_1630 Depth=1
	s_and_saveexec_b64 s[20:21], s[18:19]
	s_cbranch_execnz .LBB4_2865
	s_branch .LBB4_3125
.LBB4_1700:                             ;   in Loop: Header=BB4_1630 Depth=1
	v_lshrrev_b32_e32 v0, 11, v41
	v_sub_u32_e32 v30, v0, v54
	v_cmp_lt_i32_e32 vcc, 0, v30
	s_and_saveexec_b64 s[20:21], vcc
	s_cbranch_execz .LBB4_2472
; %bb.1701:                             ;   in Loop: Header=BB4_1630 Depth=1
	s_trap 2
	ds_read_b128 v[0:3], v0
	v_accvgpr_read_b32 v6, a24
	v_accvgpr_write_b32 a31, v46
	v_accvgpr_read_b32 v7, a25
	v_accvgpr_write_b32 a0, v47
	s_waitcnt lgkmcnt(0)
	ds_read_b64 v[4:5], v0
	v_add_co_u32_e32 v46, vcc, v0, v6
	v_addc_co_u32_e32 v47, vcc, v1, v7, vcc
	v_accvgpr_write_b32 a1, v56
	v_add_co_u32_e32 v56, vcc, v2, v6
	v_accvgpr_write_b32 a2, v57
	v_addc_co_u32_e32 v57, vcc, v3, v7, vcc
	v_accvgpr_write_b32 a3, v58
	s_waitcnt lgkmcnt(0)
	v_add_co_u32_e32 v58, vcc, v4, v6
	v_accvgpr_write_b32 a36, v41
	v_accvgpr_write_b32 a35, v40
	;; [unrolled: 1-line block ×6, first 2 shown]
	v_addc_co_u32_e32 v59, vcc, v5, v7, vcc
	s_mov_b64 s[50:51], 0
	s_branch .LBB4_1703
.LBB4_1702:                             ;   in Loop: Header=BB4_1703 Depth=2
	s_or_b64 exec, exec, s[18:19]
	v_lshlrev_b32_e32 v3, 8, v35
	v_perm_b32 v3, v3, v34, s73
	v_lshl_or_b32 v3, v40, 16, v3
	v_and_b32_e32 v1, 0xff, v1
	v_lshlrev_b32_e32 v0, 8, v0
	v_lshl_or_b32 v7, v19, 24, v3
	v_lshlrev_b32_e32 v3, 24, v55
	v_lshlrev_b32_e32 v1, 16, v1
	v_perm_b32 v0, v0, v45, s73
	v_or3_b32 v6, v3, v1, v0
	v_and_b32_e32 v0, 0xff, v31
	v_lshlrev_b32_e32 v3, 8, v23
	v_lshlrev_b32_e32 v1, 24, v41
	;; [unrolled: 1-line block ×3, first 2 shown]
	v_perm_b32 v3, v3, v22, s73
	v_or3_b32 v8, v1, v0, v3
	v_lshlrev_b32_e32 v0, 8, v44
	v_perm_b32 v0, v0, v50, s73
	v_lshl_or_b32 v0, v26, 16, v0
	v_lshl_or_b32 v9, v20, 24, v0
	v_lshlrev_b32_e32 v0, 8, v18
	v_perm_b32 v0, v0, v29, s73
	v_lshl_or_b32 v0, v51, 16, v0
	v_lshl_or_b32 v13, v11, 24, v0
	v_and_b32_e32 v0, 0xff, v25
	v_lshlrev_b32_e32 v3, 8, v24
	v_lshlrev_b32_e32 v1, 24, v28
	;; [unrolled: 1-line block ×3, first 2 shown]
	v_perm_b32 v3, v3, v21, s73
	v_or3_b32 v12, v1, v0, v3
	v_and_b32_e32 v0, 0xff, v54
	v_lshlrev_b32_e32 v3, 8, v15
	v_lshlrev_b32_e32 v1, 24, v4
	;; [unrolled: 1-line block ×3, first 2 shown]
	v_perm_b32 v3, v3, v14, s73
	v_or3_b32 v14, v1, v0, v3
	v_lshlrev_b32_e32 v0, 8, v10
	v_perm_b32 v0, v0, v5, s73
	v_add_co_u32_e32 v46, vcc, v46, v60
	v_accvgpr_read_b32 v1, a27
	v_lshl_or_b32 v0, v48, 16, v0
	v_addc_co_u32_e32 v47, vcc, v47, v1, vcc
	v_lshl_or_b32 v15, v2, 24, v0
	v_add_co_u32_e32 v56, vcc, v56, v60
	v_accvgpr_read_b32 v0, a22
	v_addc_co_u32_e32 v57, vcc, v57, v1, vcc
	v_sub_u32_e32 v30, v30, v0
	v_cmp_gt_i32_e32 vcc, 1, v30
	global_store_dwordx4 v[58:59], v[6:9], off glc slc
	global_store_dwordx4 v[58:59], v[12:15], off offset:1024 glc slc
	s_or_b64 s[50:51], vcc, s[50:51]
	v_add_co_u32_e32 v58, vcc, v58, v60
	v_addc_co_u32_e32 v59, vcc, v59, v1, vcc
	s_andn2_b64 exec, exec, s[50:51]
	s_cbranch_execz .LBB4_2471
.LBB4_1703:                             ;   Parent Loop BB4_1630 Depth=1
                                        ; =>  This Inner Loop Header: Depth=2
	global_load_dwordx4 v[22:25], v[46:47], off glc slc
	global_load_dwordx4 v[14:17], v[46:47], off offset:1024 glc slc
	global_load_dwordx4 v[18:21], v[56:57], off glc slc
	global_load_dwordx4 v[10:13], v[56:57], off offset:1024 glc slc
	v_mov_b32_e32 v0, 0
	v_mov_b32_e32 v1, 0
	s_waitcnt vmcnt(0)
	v_cmp_ne_u16_sdwa vcc, v22, v53 src0_sel:BYTE_0 src1_sel:DWORD
	s_and_saveexec_b64 s[18:19], vcc
	s_cbranch_execz .LBB4_1709
; %bb.1704:                             ;   in Loop: Header=BB4_1703 Depth=2
	v_cmp_ne_u16_sdwa vcc, v22, s69 src0_sel:BYTE_0 src1_sel:DWORD
	v_bfrev_b32_e32 v1, 1
	s_and_saveexec_b64 s[52:53], vcc
	s_cbranch_execz .LBB4_1708
; %bb.1705:                             ;   in Loop: Header=BB4_1703 Depth=2
	v_and_b32_e32 v2, 0x7f, v22
	v_cmp_ne_u32_e32 vcc, s71, v2
	v_mov_b32_e32 v1, 0x7f800001
	s_and_saveexec_b64 s[54:55], vcc
	s_cbranch_execz .LBB4_1707
; %bb.1706:                             ;   in Loop: Header=BB4_1703 Depth=2
	v_and_b32_e32 v1, 7, v22
	v_ffbh_u32_e32 v1, v1
	v_min_u32_e32 v1, 32, v1
	v_subrev_u32_e32 v4, 28, v1
	v_cmp_gt_u32_e32 vcc, 8, v2
	v_lshrrev_b32_e32 v3, 3, v2
	v_sub_u32_e32 v1, 29, v1
	v_cndmask_b32_e32 v2, 0, v4, vcc
	v_cndmask_b32_e32 v1, v3, v1, vcc
	v_lshlrev_b64 v[2:3], v2, v[22:23]
	v_lshlrev_b32_e32 v2, 20, v2
	v_lshlrev_b32_e32 v3, 24, v22
	v_and_b32_e32 v2, 0x700000, v2
	v_and_b32_e32 v3, 0x80000000, v3
	v_lshl_add_u32 v1, v1, 23, v27
	v_or3_b32 v1, v3, v1, v2
.LBB4_1707:                             ;   in Loop: Header=BB4_1703 Depth=2
	s_or_b64 exec, exec, s[54:55]
.LBB4_1708:                             ;   in Loop: Header=BB4_1703 Depth=2
	s_or_b64 exec, exec, s[52:53]
.LBB4_1709:                             ;   in Loop: Header=BB4_1703 Depth=2
	s_or_b64 exec, exec, s[18:19]
	s_waitcnt vmcnt(1)
	v_cmp_ne_u16_sdwa vcc, v18, v53 src0_sel:BYTE_0 src1_sel:DWORD
	s_and_saveexec_b64 s[18:19], vcc
	s_cbranch_execz .LBB4_1715
; %bb.1710:                             ;   in Loop: Header=BB4_1703 Depth=2
	v_cmp_ne_u16_sdwa vcc, v18, s69 src0_sel:BYTE_0 src1_sel:DWORD
	v_bfrev_b32_e32 v0, 1
	s_and_saveexec_b64 s[52:53], vcc
	s_cbranch_execz .LBB4_1714
; %bb.1711:                             ;   in Loop: Header=BB4_1703 Depth=2
	v_and_b32_e32 v2, 0x7f, v18
	v_cmp_ne_u32_e32 vcc, s71, v2
	v_mov_b32_e32 v0, 0x7f800001
	s_and_saveexec_b64 s[54:55], vcc
	s_cbranch_execz .LBB4_1713
; %bb.1712:                             ;   in Loop: Header=BB4_1703 Depth=2
	v_and_b32_e32 v0, 7, v18
	v_ffbh_u32_e32 v0, v0
	v_min_u32_e32 v0, 32, v0
	v_subrev_u32_e32 v4, 28, v0
	v_cmp_gt_u32_e32 vcc, 8, v2
	v_lshrrev_b32_e32 v3, 3, v2
	v_sub_u32_e32 v0, 29, v0
	v_cndmask_b32_e32 v2, 0, v4, vcc
	v_cndmask_b32_e32 v0, v3, v0, vcc
	v_lshlrev_b64 v[2:3], v2, v[18:19]
	v_lshlrev_b32_e32 v2, 20, v2
	v_lshlrev_b32_e32 v3, 24, v18
	v_and_b32_e32 v2, 0x700000, v2
	v_and_b32_e32 v3, 0x80000000, v3
	v_lshl_add_u32 v0, v0, 23, v27
	v_or3_b32 v0, v3, v0, v2
.LBB4_1713:                             ;   in Loop: Header=BB4_1703 Depth=2
	s_or_b64 exec, exec, s[54:55]
.LBB4_1714:                             ;   in Loop: Header=BB4_1703 Depth=2
	s_or_b64 exec, exec, s[52:53]
.LBB4_1715:                             ;   in Loop: Header=BB4_1703 Depth=2
	s_or_b64 exec, exec, s[18:19]
	v_add_f32_e32 v1, v1, v0
	v_and_b32_sdwa v0, v1, s69 dst_sel:DWORD dst_unused:UNUSED_PAD src0_sel:BYTE_3 src1_sel:DWORD
	v_and_b32_e32 v2, 0x7f800000, v1
	v_mov_b32_e32 v3, v53
	v_and_b32_e32 v52, 0x7fffff, v1
	v_or_b32_e32 v45, 0x7e, v0
	v_cmp_ne_u64_e32 vcc, s[38:39], v[2:3]
	s_and_saveexec_b64 s[18:19], vcc
	s_xor_b64 s[52:53], exec, s[18:19]
	s_cbranch_execz .LBB4_1725
; %bb.1716:                             ;   in Loop: Header=BB4_1703 Depth=2
	v_and_b32_e32 v2, 0x7fffffff, v1
	v_mov_b32_e32 v3, v53
	v_cmp_gt_u64_e32 vcc, s[40:41], v[2:3]
	s_and_saveexec_b64 s[54:55], vcc
	s_cbranch_execz .LBB4_1724
; %bb.1717:                             ;   in Loop: Header=BB4_1703 Depth=2
	v_cmp_ne_u32_e32 vcc, 0, v1
	v_mov_b32_e32 v45, 0
	s_and_saveexec_b64 s[56:57], vcc
	s_cbranch_execz .LBB4_1723
; %bb.1718:                             ;   in Loop: Header=BB4_1703 Depth=2
	v_bfe_u32 v1, v1, 23, 8
	v_sub_u32_e32 v3, 0x79, v1
	v_cmp_gt_u32_e32 vcc, s72, v1
	v_add_u32_e32 v2, 0xffffff81, v1
	v_cndmask_b32_e32 v3, 0, v3, vcc
	v_cmp_eq_u32_e32 vcc, 0, v1
	v_mov_b32_e32 v1, 0xffffff82
	v_cndmask_b32_e32 v1, v2, v1, vcc
	v_mov_b32_e32 v2, 0x78
	v_or_b32_e32 v4, 0x800000, v52
	v_cndmask_b32_e32 v5, v3, v2, vcc
	v_cndmask_b32_e32 v52, v4, v52, vcc
	v_add_u32_e32 v2, 20, v5
	v_lshlrev_b64 v[2:3], v2, -1
	v_add_u32_e32 v4, 19, v5
	v_lshrrev_b64 v[8:9], v5, v[52:53]
	v_not_b32_e32 v3, v3
	v_not_b32_e32 v2, v2
	v_lshlrev_b64 v[6:7], v4, 1
	v_lshrrev_b32_e32 v4, 23, v8
	v_and_b32_e32 v3, 0, v3
	v_and_b32_e32 v2, v52, v2
	v_add3_u32 v5, v5, v1, v4
	v_bfe_u32 v1, v8, 20, 1
	v_add_u32_e32 v1, -1, v1
	v_cmp_eq_u64_e32 vcc, v[2:3], v[6:7]
	v_cndmask_b32_e32 v1, 0, v1, vcc
	v_add_u32_e32 v1, v1, v8
	v_and_b32_e32 v1, 0xfffff, v1
	v_add_co_u32_e32 v2, vcc, v1, v8
	v_add_u32_e32 v4, 6, v5
	v_addc_co_u32_e32 v3, vcc, 0, v9, vcc
	v_cmp_ne_u32_e32 vcc, 0, v4
                                        ; implicit-def: $vgpr1
	s_and_saveexec_b64 s[18:19], vcc
	s_xor_b64 s[18:19], exec, s[18:19]
; %bb.1719:                             ;   in Loop: Header=BB4_1703 Depth=2
	v_add_u32_e32 v1, 7, v5
	v_cmp_lt_u64_e32 vcc, s[44:45], v[2:3]
	v_cndmask_b32_e32 v1, v4, v1, vcc
	v_cndmask_b32_e64 v4, 0, 1, vcc
	v_lshrrev_b64 v[2:3], v4, v[2:3]
; %bb.1720:                             ;   in Loop: Header=BB4_1703 Depth=2
	s_andn2_saveexec_b64 s[18:19], s[18:19]
; %bb.1721:                             ;   in Loop: Header=BB4_1703 Depth=2
	v_bfe_u32 v1, v2, 23, 1
; %bb.1722:                             ;   in Loop: Header=BB4_1703 Depth=2
	s_or_b64 exec, exec, s[18:19]
	v_lshrrev_b64 v[2:3], 20, v[2:3]
	v_cmp_gt_i32_e32 vcc, 16, v1
	v_cndmask_b32_e32 v3, 0, v3, vcc
	v_cndmask_b32_e32 v2, 7, v2, vcc
	v_cmp_eq_u32_e32 vcc, 0, v1
	v_min_i32_e32 v1, 15, v1
	v_cmp_eq_u64_e64 s[18:19], 0, v[2:3]
	v_lshlrev_b32_e32 v1, 3, v1
	v_and_or_b32 v1, v2, 7, v1
	s_and_b64 s[18:19], vcc, s[18:19]
	v_cndmask_b32_e64 v1, v1, 0, s[18:19]
	v_or_b32_e32 v45, v1, v0
.LBB4_1723:                             ;   in Loop: Header=BB4_1703 Depth=2
	s_or_b64 exec, exec, s[56:57]
.LBB4_1724:                             ;   in Loop: Header=BB4_1703 Depth=2
	s_or_b64 exec, exec, s[54:55]
                                        ; implicit-def: $vgpr1
.LBB4_1725:                             ;   in Loop: Header=BB4_1703 Depth=2
	s_andn2_saveexec_b64 s[18:19], s[52:53]
; %bb.1726:                             ;   in Loop: Header=BB4_1703 Depth=2
	v_or_b32_sdwa v0, v1, s71 dst_sel:DWORD dst_unused:UNUSED_PAD src0_sel:BYTE_3 src1_sel:DWORD
	v_cmp_eq_u64_e32 vcc, 0, v[52:53]
	v_cndmask_b32_e32 v45, v0, v45, vcc
; %bb.1727:                             ;   in Loop: Header=BB4_1703 Depth=2
	s_or_b64 exec, exec, s[18:19]
	v_lshrrev_b16_e32 v2, 8, v22
	v_cmp_ne_u16_e32 vcc, 0, v2
	v_mov_b32_e32 v0, 0
	v_mov_b32_e32 v1, 0
	s_and_saveexec_b64 s[18:19], vcc
	s_cbranch_execz .LBB4_1733
; %bb.1728:                             ;   in Loop: Header=BB4_1703 Depth=2
	v_cmp_ne_u16_e32 vcc, s69, v2
	v_bfrev_b32_e32 v1, 1
	s_and_saveexec_b64 s[52:53], vcc
	s_cbranch_execz .LBB4_1732
; %bb.1729:                             ;   in Loop: Header=BB4_1703 Depth=2
	v_and_b32_e32 v3, 0x7f, v2
	v_cmp_ne_u32_e32 vcc, s71, v3
	v_mov_b32_e32 v1, 0x7f800001
	s_and_saveexec_b64 s[54:55], vcc
	s_cbranch_execz .LBB4_1731
; %bb.1730:                             ;   in Loop: Header=BB4_1703 Depth=2
	v_and_b32_e32 v1, 7, v2
	v_ffbh_u32_e32 v4, v1
	v_min_u32_e32 v7, 32, v4
	v_subrev_u32_e32 v4, 28, v7
	v_lshlrev_b64 v[4:5], v4, v[2:3]
	v_lshrrev_b32_e32 v6, 3, v3
	v_sub_u32_e32 v2, 29, v7
	v_and_b32_e32 v4, 7, v4
	v_cmp_gt_u32_e32 vcc, 8, v3
	v_cndmask_b32_e32 v2, v6, v2, vcc
	v_cndmask_b32_e32 v1, v1, v4, vcc
	v_lshlrev_b32_e32 v3, 16, v22
	v_lshlrev_b32_e32 v1, 20, v1
	v_and_b32_e32 v3, 0x80000000, v3
	v_lshl_add_u32 v2, v2, 23, v27
	v_or3_b32 v1, v3, v2, v1
.LBB4_1731:                             ;   in Loop: Header=BB4_1703 Depth=2
	s_or_b64 exec, exec, s[54:55]
.LBB4_1732:                             ;   in Loop: Header=BB4_1703 Depth=2
	s_or_b64 exec, exec, s[52:53]
.LBB4_1733:                             ;   in Loop: Header=BB4_1703 Depth=2
	s_or_b64 exec, exec, s[18:19]
	v_lshrrev_b16_e32 v2, 8, v18
	v_cmp_ne_u16_e32 vcc, 0, v2
	s_and_saveexec_b64 s[18:19], vcc
	s_cbranch_execz .LBB4_1739
; %bb.1734:                             ;   in Loop: Header=BB4_1703 Depth=2
	v_cmp_ne_u16_e32 vcc, s69, v2
	v_bfrev_b32_e32 v0, 1
	s_and_saveexec_b64 s[52:53], vcc
	s_cbranch_execz .LBB4_1738
; %bb.1735:                             ;   in Loop: Header=BB4_1703 Depth=2
	v_and_b32_e32 v3, 0x7f, v2
	v_cmp_ne_u32_e32 vcc, s71, v3
	v_mov_b32_e32 v0, 0x7f800001
	s_and_saveexec_b64 s[54:55], vcc
	s_cbranch_execz .LBB4_1737
; %bb.1736:                             ;   in Loop: Header=BB4_1703 Depth=2
	v_and_b32_e32 v0, 7, v2
	v_ffbh_u32_e32 v4, v0
	v_min_u32_e32 v7, 32, v4
	v_subrev_u32_e32 v4, 28, v7
	v_lshlrev_b64 v[4:5], v4, v[2:3]
	v_lshrrev_b32_e32 v6, 3, v3
	v_sub_u32_e32 v2, 29, v7
	v_and_b32_e32 v4, 7, v4
	v_cmp_gt_u32_e32 vcc, 8, v3
	v_cndmask_b32_e32 v2, v6, v2, vcc
	v_cndmask_b32_e32 v0, v0, v4, vcc
	v_lshlrev_b32_e32 v3, 16, v18
	v_lshlrev_b32_e32 v0, 20, v0
	v_and_b32_e32 v3, 0x80000000, v3
	v_lshl_add_u32 v2, v2, 23, v27
	v_or3_b32 v0, v3, v2, v0
.LBB4_1737:                             ;   in Loop: Header=BB4_1703 Depth=2
	s_or_b64 exec, exec, s[54:55]
.LBB4_1738:                             ;   in Loop: Header=BB4_1703 Depth=2
	s_or_b64 exec, exec, s[52:53]
.LBB4_1739:                             ;   in Loop: Header=BB4_1703 Depth=2
	s_or_b64 exec, exec, s[18:19]
	v_add_f32_e32 v2, v1, v0
	v_and_b32_sdwa v1, v2, s69 dst_sel:DWORD dst_unused:UNUSED_PAD src0_sel:BYTE_3 src1_sel:DWORD
	v_and_b32_e32 v4, 0x7f800000, v2
	v_mov_b32_e32 v5, v53
	v_and_b32_e32 v52, 0x7fffff, v2
	v_or_b32_e32 v0, 0x7e, v1
	v_cmp_ne_u64_e32 vcc, s[38:39], v[4:5]
	s_and_saveexec_b64 s[18:19], vcc
	s_xor_b64 s[52:53], exec, s[18:19]
	s_cbranch_execz .LBB4_1749
; %bb.1740:                             ;   in Loop: Header=BB4_1703 Depth=2
	v_and_b32_e32 v4, 0x7fffffff, v2
	v_mov_b32_e32 v5, v53
	v_cmp_gt_u64_e32 vcc, s[40:41], v[4:5]
	s_and_saveexec_b64 s[54:55], vcc
	s_cbranch_execz .LBB4_1748
; %bb.1741:                             ;   in Loop: Header=BB4_1703 Depth=2
	v_cmp_ne_u32_e32 vcc, 0, v2
	v_mov_b32_e32 v0, 0
	s_and_saveexec_b64 s[56:57], vcc
	s_cbranch_execz .LBB4_1747
; %bb.1742:                             ;   in Loop: Header=BB4_1703 Depth=2
	v_bfe_u32 v0, v2, 23, 8
	v_sub_u32_e32 v3, 0x79, v0
	v_cmp_gt_u32_e32 vcc, s72, v0
	v_add_u32_e32 v2, 0xffffff81, v0
	v_cndmask_b32_e32 v3, 0, v3, vcc
	v_cmp_eq_u32_e32 vcc, 0, v0
	v_mov_b32_e32 v0, 0xffffff82
	v_cndmask_b32_e32 v0, v2, v0, vcc
	v_mov_b32_e32 v2, 0x78
	v_or_b32_e32 v4, 0x800000, v52
	v_cndmask_b32_e32 v5, v3, v2, vcc
	v_cndmask_b32_e32 v52, v4, v52, vcc
	v_add_u32_e32 v2, 20, v5
	v_lshlrev_b64 v[2:3], v2, -1
	v_add_u32_e32 v4, 19, v5
	v_lshrrev_b64 v[8:9], v5, v[52:53]
	v_not_b32_e32 v3, v3
	v_not_b32_e32 v2, v2
	v_lshlrev_b64 v[6:7], v4, 1
	v_lshrrev_b32_e32 v4, 23, v8
	v_and_b32_e32 v3, 0, v3
	v_and_b32_e32 v2, v52, v2
	v_add3_u32 v5, v5, v0, v4
	v_bfe_u32 v0, v8, 20, 1
	v_add_u32_e32 v0, -1, v0
	v_cmp_eq_u64_e32 vcc, v[2:3], v[6:7]
	v_cndmask_b32_e32 v0, 0, v0, vcc
	v_add_u32_e32 v0, v0, v8
	v_and_b32_e32 v0, 0xfffff, v0
	v_add_co_u32_e32 v2, vcc, v0, v8
	v_add_u32_e32 v4, 6, v5
	v_addc_co_u32_e32 v3, vcc, 0, v9, vcc
	v_cmp_ne_u32_e32 vcc, 0, v4
                                        ; implicit-def: $vgpr0
	s_and_saveexec_b64 s[18:19], vcc
	s_xor_b64 s[18:19], exec, s[18:19]
; %bb.1743:                             ;   in Loop: Header=BB4_1703 Depth=2
	v_add_u32_e32 v0, 7, v5
	v_cmp_lt_u64_e32 vcc, s[44:45], v[2:3]
	v_cndmask_b32_e32 v0, v4, v0, vcc
	v_cndmask_b32_e64 v4, 0, 1, vcc
	v_lshrrev_b64 v[2:3], v4, v[2:3]
; %bb.1744:                             ;   in Loop: Header=BB4_1703 Depth=2
	s_andn2_saveexec_b64 s[18:19], s[18:19]
; %bb.1745:                             ;   in Loop: Header=BB4_1703 Depth=2
	v_bfe_u32 v0, v2, 23, 1
; %bb.1746:                             ;   in Loop: Header=BB4_1703 Depth=2
	s_or_b64 exec, exec, s[18:19]
	v_lshrrev_b64 v[2:3], 20, v[2:3]
	v_cmp_gt_i32_e32 vcc, 16, v0
	v_cndmask_b32_e32 v3, 0, v3, vcc
	v_cndmask_b32_e32 v2, 7, v2, vcc
	v_cmp_eq_u32_e32 vcc, 0, v0
	v_min_i32_e32 v0, 15, v0
	v_cmp_eq_u64_e64 s[18:19], 0, v[2:3]
	v_lshlrev_b32_e32 v0, 3, v0
	v_and_or_b32 v0, v2, 7, v0
	s_and_b64 s[18:19], vcc, s[18:19]
	v_cndmask_b32_e64 v0, v0, 0, s[18:19]
	v_or_b32_e32 v0, v0, v1
.LBB4_1747:                             ;   in Loop: Header=BB4_1703 Depth=2
	s_or_b64 exec, exec, s[56:57]
.LBB4_1748:                             ;   in Loop: Header=BB4_1703 Depth=2
	s_or_b64 exec, exec, s[54:55]
                                        ; implicit-def: $vgpr2
.LBB4_1749:                             ;   in Loop: Header=BB4_1703 Depth=2
	s_andn2_saveexec_b64 s[18:19], s[52:53]
; %bb.1750:                             ;   in Loop: Header=BB4_1703 Depth=2
	v_or_b32_sdwa v1, v2, s71 dst_sel:DWORD dst_unused:UNUSED_PAD src0_sel:BYTE_3 src1_sel:DWORD
	v_cmp_eq_u64_e32 vcc, 0, v[52:53]
	v_cndmask_b32_e32 v0, v1, v0, vcc
; %bb.1751:                             ;   in Loop: Header=BB4_1703 Depth=2
	s_or_b64 exec, exec, s[18:19]
	v_lshrrev_b32_e32 v2, 16, v22
	v_cmp_ne_u16_sdwa vcc, v2, v53 src0_sel:BYTE_0 src1_sel:DWORD
	v_mov_b32_e32 v1, 0
	v_mov_b32_e32 v3, 0
	s_and_saveexec_b64 s[18:19], vcc
	s_cbranch_execz .LBB4_1757
; %bb.1752:                             ;   in Loop: Header=BB4_1703 Depth=2
	v_cmp_ne_u16_sdwa vcc, v2, s69 src0_sel:BYTE_0 src1_sel:DWORD
	v_bfrev_b32_e32 v3, 1
	s_and_saveexec_b64 s[52:53], vcc
	s_cbranch_execz .LBB4_1756
; %bb.1753:                             ;   in Loop: Header=BB4_1703 Depth=2
	v_bfe_u32 v4, v22, 16, 7
	v_cmp_ne_u32_e32 vcc, s71, v4
	v_mov_b32_e32 v3, 0x7f800001
	s_and_saveexec_b64 s[54:55], vcc
	s_cbranch_execz .LBB4_1755
; %bb.1754:                             ;   in Loop: Header=BB4_1703 Depth=2
	v_and_b32_e32 v3, 7, v2
	v_ffbh_u32_e32 v6, v3
	v_min_u32_e32 v8, 32, v6
	v_subrev_u32_e32 v6, 28, v8
	v_lshlrev_b64 v[6:7], v6, v[2:3]
	v_lshrrev_b32_e32 v5, 3, v4
	v_sub_u32_e32 v7, 29, v8
	v_and_b32_e32 v6, 7, v6
	v_cmp_gt_u32_e32 vcc, 8, v4
	v_cndmask_b32_e32 v4, v5, v7, vcc
	v_cndmask_b32_e32 v3, v3, v6, vcc
	v_lshlrev_b32_e32 v2, 24, v2
	v_lshlrev_b32_e32 v3, 20, v3
	v_and_b32_e32 v2, 0x80000000, v2
	v_lshl_add_u32 v4, v4, 23, v27
	v_or3_b32 v3, v2, v4, v3
.LBB4_1755:                             ;   in Loop: Header=BB4_1703 Depth=2
	s_or_b64 exec, exec, s[54:55]
.LBB4_1756:                             ;   in Loop: Header=BB4_1703 Depth=2
	s_or_b64 exec, exec, s[52:53]
.LBB4_1757:                             ;   in Loop: Header=BB4_1703 Depth=2
	s_or_b64 exec, exec, s[18:19]
	v_lshrrev_b32_e32 v2, 16, v18
	v_cmp_ne_u16_sdwa vcc, v2, v53 src0_sel:BYTE_0 src1_sel:DWORD
	s_and_saveexec_b64 s[18:19], vcc
	s_cbranch_execz .LBB4_1763
; %bb.1758:                             ;   in Loop: Header=BB4_1703 Depth=2
	v_cmp_ne_u16_sdwa vcc, v2, s69 src0_sel:BYTE_0 src1_sel:DWORD
	v_bfrev_b32_e32 v1, 1
	s_and_saveexec_b64 s[52:53], vcc
	s_cbranch_execz .LBB4_1762
; %bb.1759:                             ;   in Loop: Header=BB4_1703 Depth=2
	v_bfe_u32 v4, v18, 16, 7
	v_cmp_ne_u32_e32 vcc, s71, v4
	v_mov_b32_e32 v1, 0x7f800001
	s_and_saveexec_b64 s[54:55], vcc
	s_cbranch_execz .LBB4_1761
; %bb.1760:                             ;   in Loop: Header=BB4_1703 Depth=2
	v_and_b32_e32 v1, 7, v2
	v_ffbh_u32_e32 v6, v1
	v_min_u32_e32 v8, 32, v6
	v_subrev_u32_e32 v6, 28, v8
	v_lshlrev_b64 v[6:7], v6, v[2:3]
	v_lshrrev_b32_e32 v5, 3, v4
	v_sub_u32_e32 v2, 29, v8
	v_and_b32_e32 v6, 7, v6
	v_cmp_gt_u32_e32 vcc, 8, v4
	v_cndmask_b32_e32 v2, v5, v2, vcc
	v_cndmask_b32_e32 v1, v1, v6, vcc
	v_lshlrev_b32_e32 v4, 8, v18
	v_lshlrev_b32_e32 v1, 20, v1
	v_and_b32_e32 v4, 0x80000000, v4
	v_lshl_add_u32 v2, v2, 23, v27
	v_or3_b32 v1, v4, v2, v1
.LBB4_1761:                             ;   in Loop: Header=BB4_1703 Depth=2
	s_or_b64 exec, exec, s[54:55]
.LBB4_1762:                             ;   in Loop: Header=BB4_1703 Depth=2
	s_or_b64 exec, exec, s[52:53]
.LBB4_1763:                             ;   in Loop: Header=BB4_1703 Depth=2
	s_or_b64 exec, exec, s[18:19]
	v_add_f32_e32 v2, v3, v1
	v_and_b32_sdwa v4, v2, s69 dst_sel:DWORD dst_unused:UNUSED_PAD src0_sel:BYTE_3 src1_sel:DWORD
	v_and_b32_e32 v6, 0x7f800000, v2
	v_mov_b32_e32 v7, v53
	v_and_b32_e32 v52, 0x7fffff, v2
	v_or_b32_e32 v1, 0x7e, v4
	v_cmp_ne_u64_e32 vcc, s[38:39], v[6:7]
	s_and_saveexec_b64 s[18:19], vcc
	s_xor_b64 s[52:53], exec, s[18:19]
	s_cbranch_execz .LBB4_1773
; %bb.1764:                             ;   in Loop: Header=BB4_1703 Depth=2
	v_and_b32_e32 v6, 0x7fffffff, v2
	v_mov_b32_e32 v7, v53
	v_cmp_gt_u64_e32 vcc, s[40:41], v[6:7]
	s_and_saveexec_b64 s[54:55], vcc
	s_cbranch_execz .LBB4_1772
; %bb.1765:                             ;   in Loop: Header=BB4_1703 Depth=2
	v_cmp_ne_u32_e32 vcc, 0, v2
	v_mov_b32_e32 v1, 0
	s_and_saveexec_b64 s[56:57], vcc
	s_cbranch_execz .LBB4_1771
; %bb.1766:                             ;   in Loop: Header=BB4_1703 Depth=2
	v_bfe_u32 v1, v2, 23, 8
	v_sub_u32_e32 v3, 0x79, v1
	v_cmp_gt_u32_e32 vcc, s72, v1
	v_add_u32_e32 v2, 0xffffff81, v1
	v_cndmask_b32_e32 v3, 0, v3, vcc
	v_cmp_eq_u32_e32 vcc, 0, v1
	v_mov_b32_e32 v1, 0xffffff82
	v_cndmask_b32_e32 v1, v2, v1, vcc
	v_mov_b32_e32 v2, 0x78
	v_or_b32_e32 v5, 0x800000, v52
	v_cndmask_b32_e32 v26, v3, v2, vcc
	v_cndmask_b32_e32 v52, v5, v52, vcc
	v_add_u32_e32 v2, 20, v26
	v_lshlrev_b64 v[2:3], v2, -1
	v_add_u32_e32 v5, 19, v26
	v_lshrrev_b64 v[8:9], v26, v[52:53]
	v_not_b32_e32 v3, v3
	v_not_b32_e32 v2, v2
	v_lshlrev_b64 v[6:7], v5, 1
	v_lshrrev_b32_e32 v5, 23, v8
	v_and_b32_e32 v3, 0, v3
	v_and_b32_e32 v2, v52, v2
	v_add3_u32 v26, v26, v1, v5
	v_bfe_u32 v1, v8, 20, 1
	v_add_u32_e32 v1, -1, v1
	v_cmp_eq_u64_e32 vcc, v[2:3], v[6:7]
	v_cndmask_b32_e32 v1, 0, v1, vcc
	v_add_u32_e32 v1, v1, v8
	v_and_b32_e32 v1, 0xfffff, v1
	v_add_co_u32_e32 v2, vcc, v1, v8
	v_add_u32_e32 v5, 6, v26
	v_addc_co_u32_e32 v3, vcc, 0, v9, vcc
	v_cmp_ne_u32_e32 vcc, 0, v5
                                        ; implicit-def: $vgpr1
	s_and_saveexec_b64 s[18:19], vcc
	s_xor_b64 s[18:19], exec, s[18:19]
; %bb.1767:                             ;   in Loop: Header=BB4_1703 Depth=2
	v_add_u32_e32 v1, 7, v26
	v_cmp_lt_u64_e32 vcc, s[44:45], v[2:3]
	v_cndmask_b32_e32 v1, v5, v1, vcc
	v_cndmask_b32_e64 v5, 0, 1, vcc
	v_lshrrev_b64 v[2:3], v5, v[2:3]
; %bb.1768:                             ;   in Loop: Header=BB4_1703 Depth=2
	s_andn2_saveexec_b64 s[18:19], s[18:19]
; %bb.1769:                             ;   in Loop: Header=BB4_1703 Depth=2
	v_bfe_u32 v1, v2, 23, 1
; %bb.1770:                             ;   in Loop: Header=BB4_1703 Depth=2
	s_or_b64 exec, exec, s[18:19]
	v_lshrrev_b64 v[2:3], 20, v[2:3]
	v_cmp_gt_i32_e32 vcc, 16, v1
	v_cndmask_b32_e32 v3, 0, v3, vcc
	v_cndmask_b32_e32 v2, 7, v2, vcc
	v_cmp_eq_u32_e32 vcc, 0, v1
	v_min_i32_e32 v1, 15, v1
	v_cmp_eq_u64_e64 s[18:19], 0, v[2:3]
	v_lshlrev_b32_e32 v1, 3, v1
	v_and_or_b32 v1, v2, 7, v1
	s_and_b64 s[18:19], vcc, s[18:19]
	v_cndmask_b32_e64 v1, v1, 0, s[18:19]
	v_or_b32_e32 v1, v1, v4
.LBB4_1771:                             ;   in Loop: Header=BB4_1703 Depth=2
	s_or_b64 exec, exec, s[56:57]
.LBB4_1772:                             ;   in Loop: Header=BB4_1703 Depth=2
	s_or_b64 exec, exec, s[54:55]
                                        ; implicit-def: $vgpr2
.LBB4_1773:                             ;   in Loop: Header=BB4_1703 Depth=2
	s_andn2_saveexec_b64 s[18:19], s[52:53]
; %bb.1774:                             ;   in Loop: Header=BB4_1703 Depth=2
	v_or_b32_sdwa v2, v2, s71 dst_sel:DWORD dst_unused:UNUSED_PAD src0_sel:BYTE_3 src1_sel:DWORD
	v_cmp_eq_u64_e32 vcc, 0, v[52:53]
	v_cndmask_b32_e32 v1, v2, v1, vcc
; %bb.1775:                             ;   in Loop: Header=BB4_1703 Depth=2
	s_or_b64 exec, exec, s[18:19]
	v_cmp_lt_u32_e32 vcc, s43, v22
	v_mov_b32_e32 v3, 0
	v_mov_b32_e32 v4, 0
	s_and_saveexec_b64 s[18:19], vcc
	s_cbranch_execz .LBB4_1781
; %bb.1776:                             ;   in Loop: Header=BB4_1703 Depth=2
	v_lshrrev_b32_e32 v2, 24, v22
	v_cmp_ne_u32_e32 vcc, s69, v2
	v_bfrev_b32_e32 v4, 1
	s_and_saveexec_b64 s[52:53], vcc
	s_cbranch_execz .LBB4_1780
; %bb.1777:                             ;   in Loop: Header=BB4_1703 Depth=2
	v_bfe_u32 v5, v22, 24, 7
	v_cmp_ne_u32_e32 vcc, s71, v5
	v_mov_b32_e32 v4, 0x7f800001
	s_and_saveexec_b64 s[54:55], vcc
	s_cbranch_execz .LBB4_1779
; %bb.1778:                             ;   in Loop: Header=BB4_1703 Depth=2
	v_and_b32_e32 v4, 7, v2
	v_ffbh_u32_e32 v6, v4
	v_min_u32_e32 v9, 32, v6
	v_subrev_u32_e32 v6, 28, v9
	v_lshlrev_b64 v[6:7], v6, v[2:3]
	v_lshrrev_b32_e32 v8, 3, v5
	v_sub_u32_e32 v7, 29, v9
	v_and_b32_e32 v6, 7, v6
	v_cmp_gt_u32_e32 vcc, 8, v5
	v_cndmask_b32_e32 v5, v8, v7, vcc
	v_cndmask_b32_e32 v4, v4, v6, vcc
	v_lshlrev_b32_e32 v2, 24, v2
	v_lshlrev_b32_e32 v4, 20, v4
	v_and_b32_e32 v2, 0x80000000, v2
	v_lshl_add_u32 v5, v5, 23, v27
	v_or3_b32 v4, v2, v5, v4
.LBB4_1779:                             ;   in Loop: Header=BB4_1703 Depth=2
	s_or_b64 exec, exec, s[54:55]
.LBB4_1780:                             ;   in Loop: Header=BB4_1703 Depth=2
	s_or_b64 exec, exec, s[52:53]
.LBB4_1781:                             ;   in Loop: Header=BB4_1703 Depth=2
	s_or_b64 exec, exec, s[18:19]
	v_cmp_lt_u32_e32 vcc, s43, v18
	s_and_saveexec_b64 s[18:19], vcc
	s_cbranch_execz .LBB4_1787
; %bb.1782:                             ;   in Loop: Header=BB4_1703 Depth=2
	v_lshrrev_b32_e32 v2, 24, v18
	v_cmp_ne_u32_e32 vcc, s69, v2
	v_bfrev_b32_e32 v3, 1
	s_and_saveexec_b64 s[52:53], vcc
	s_cbranch_execz .LBB4_1786
; %bb.1783:                             ;   in Loop: Header=BB4_1703 Depth=2
	v_bfe_u32 v5, v18, 24, 7
	v_cmp_ne_u32_e32 vcc, s71, v5
	v_mov_b32_e32 v3, 0x7f800001
	s_and_saveexec_b64 s[54:55], vcc
	s_cbranch_execz .LBB4_1785
; %bb.1784:                             ;   in Loop: Header=BB4_1703 Depth=2
	v_and_b32_e32 v3, 7, v2
	v_ffbh_u32_e32 v6, v3
	v_min_u32_e32 v9, 32, v6
	v_subrev_u32_e32 v6, 28, v9
	v_lshlrev_b64 v[6:7], v6, v[2:3]
	v_lshrrev_b32_e32 v8, 3, v5
	v_sub_u32_e32 v7, 29, v9
	v_and_b32_e32 v6, 7, v6
	v_cmp_gt_u32_e32 vcc, 8, v5
	v_cndmask_b32_e32 v5, v8, v7, vcc
	v_cndmask_b32_e32 v3, v3, v6, vcc
	v_lshlrev_b32_e32 v2, 24, v2
	v_lshlrev_b32_e32 v3, 20, v3
	v_and_b32_e32 v2, 0x80000000, v2
	v_lshl_add_u32 v5, v5, 23, v27
	v_or3_b32 v3, v2, v5, v3
.LBB4_1785:                             ;   in Loop: Header=BB4_1703 Depth=2
	s_or_b64 exec, exec, s[54:55]
.LBB4_1786:                             ;   in Loop: Header=BB4_1703 Depth=2
	s_or_b64 exec, exec, s[52:53]
.LBB4_1787:                             ;   in Loop: Header=BB4_1703 Depth=2
	s_or_b64 exec, exec, s[18:19]
	v_add_f32_e32 v2, v4, v3
	v_and_b32_sdwa v4, v2, s69 dst_sel:DWORD dst_unused:UNUSED_PAD src0_sel:BYTE_3 src1_sel:DWORD
	v_and_b32_e32 v6, 0x7f800000, v2
	v_mov_b32_e32 v7, v53
	v_and_b32_e32 v52, 0x7fffff, v2
	v_or_b32_e32 v55, 0x7e, v4
	v_cmp_ne_u64_e32 vcc, s[38:39], v[6:7]
	s_and_saveexec_b64 s[18:19], vcc
	s_xor_b64 s[52:53], exec, s[18:19]
	s_cbranch_execz .LBB4_1797
; %bb.1788:                             ;   in Loop: Header=BB4_1703 Depth=2
	v_and_b32_e32 v6, 0x7fffffff, v2
	v_mov_b32_e32 v7, v53
	v_cmp_gt_u64_e32 vcc, s[40:41], v[6:7]
	s_and_saveexec_b64 s[54:55], vcc
	s_cbranch_execz .LBB4_1796
; %bb.1789:                             ;   in Loop: Header=BB4_1703 Depth=2
	v_cmp_ne_u32_e32 vcc, 0, v2
	v_mov_b32_e32 v55, 0
	s_and_saveexec_b64 s[56:57], vcc
	s_cbranch_execz .LBB4_1795
; %bb.1790:                             ;   in Loop: Header=BB4_1703 Depth=2
	v_bfe_u32 v2, v2, 23, 8
	v_sub_u32_e32 v5, 0x79, v2
	v_cmp_gt_u32_e32 vcc, s72, v2
	v_add_u32_e32 v3, 0xffffff81, v2
	v_cndmask_b32_e32 v5, 0, v5, vcc
	v_cmp_eq_u32_e32 vcc, 0, v2
	v_mov_b32_e32 v2, 0xffffff82
	v_cndmask_b32_e32 v26, v3, v2, vcc
	v_mov_b32_e32 v2, 0x78
	v_or_b32_e32 v6, 0x800000, v52
	v_cndmask_b32_e32 v5, v5, v2, vcc
	v_cndmask_b32_e32 v52, v6, v52, vcc
	v_add_u32_e32 v2, 20, v5
	v_lshlrev_b64 v[2:3], v2, -1
	v_lshrrev_b64 v[8:9], v5, v[52:53]
	v_not_b32_e32 v3, v3
	v_not_b32_e32 v2, v2
	v_add_u32_e32 v6, 19, v5
	v_lshrrev_b32_e32 v28, 23, v8
	v_and_b32_e32 v3, 0, v3
	v_and_b32_e32 v2, v52, v2
	v_lshlrev_b64 v[6:7], v6, 1
	v_add3_u32 v28, v5, v26, v28
	v_bfe_u32 v5, v8, 20, 1
	v_add_u32_e32 v5, -1, v5
	v_cmp_eq_u64_e32 vcc, v[2:3], v[6:7]
	v_cndmask_b32_e32 v2, 0, v5, vcc
	v_add_u32_e32 v2, v2, v8
	v_and_b32_e32 v2, 0xfffff, v2
	v_add_co_u32_e32 v2, vcc, v2, v8
	v_add_u32_e32 v26, 6, v28
	v_addc_co_u32_e32 v3, vcc, 0, v9, vcc
	v_cmp_ne_u32_e32 vcc, 0, v26
                                        ; implicit-def: $vgpr5
	s_and_saveexec_b64 s[18:19], vcc
	s_xor_b64 s[18:19], exec, s[18:19]
; %bb.1791:                             ;   in Loop: Header=BB4_1703 Depth=2
	v_cmp_lt_u64_e32 vcc, s[44:45], v[2:3]
	v_add_u32_e32 v5, 7, v28
	v_cndmask_b32_e64 v6, 0, 1, vcc
	v_cndmask_b32_e32 v5, v26, v5, vcc
	v_lshrrev_b64 v[2:3], v6, v[2:3]
; %bb.1792:                             ;   in Loop: Header=BB4_1703 Depth=2
	s_andn2_saveexec_b64 s[18:19], s[18:19]
; %bb.1793:                             ;   in Loop: Header=BB4_1703 Depth=2
	v_bfe_u32 v5, v2, 23, 1
; %bb.1794:                             ;   in Loop: Header=BB4_1703 Depth=2
	s_or_b64 exec, exec, s[18:19]
	v_lshrrev_b64 v[2:3], 20, v[2:3]
	v_cmp_gt_i32_e32 vcc, 16, v5
	v_cndmask_b32_e32 v3, 0, v3, vcc
	v_cndmask_b32_e32 v2, 7, v2, vcc
	v_cmp_eq_u64_e64 s[18:19], 0, v[2:3]
	v_min_i32_e32 v3, 15, v5
	v_cmp_eq_u32_e32 vcc, 0, v5
	v_lshlrev_b32_e32 v3, 3, v3
	v_and_or_b32 v2, v2, 7, v3
	s_and_b64 s[18:19], vcc, s[18:19]
	v_cndmask_b32_e64 v2, v2, 0, s[18:19]
	v_or_b32_e32 v55, v2, v4
.LBB4_1795:                             ;   in Loop: Header=BB4_1703 Depth=2
	s_or_b64 exec, exec, s[56:57]
.LBB4_1796:                             ;   in Loop: Header=BB4_1703 Depth=2
	s_or_b64 exec, exec, s[54:55]
                                        ; implicit-def: $vgpr2
.LBB4_1797:                             ;   in Loop: Header=BB4_1703 Depth=2
	s_andn2_saveexec_b64 s[18:19], s[52:53]
; %bb.1798:                             ;   in Loop: Header=BB4_1703 Depth=2
	v_or_b32_sdwa v2, v2, s71 dst_sel:DWORD dst_unused:UNUSED_PAD src0_sel:BYTE_3 src1_sel:DWORD
	v_cmp_eq_u64_e32 vcc, 0, v[52:53]
	v_cndmask_b32_e32 v55, v2, v55, vcc
; %bb.1799:                             ;   in Loop: Header=BB4_1703 Depth=2
	s_or_b64 exec, exec, s[18:19]
	v_mov_b32_e32 v52, v23
	v_cmp_ne_u16_sdwa vcc, v23, v53 src0_sel:BYTE_0 src1_sel:DWORD
	v_mov_b32_e32 v3, 0
	v_mov_b32_e32 v2, 0
	s_and_saveexec_b64 s[18:19], vcc
	s_cbranch_execz .LBB4_1805
; %bb.1800:                             ;   in Loop: Header=BB4_1703 Depth=2
	v_cmp_ne_u16_sdwa vcc, v23, s69 src0_sel:BYTE_0 src1_sel:DWORD
	v_bfrev_b32_e32 v2, 1
	s_and_saveexec_b64 s[52:53], vcc
	s_cbranch_execz .LBB4_1804
; %bb.1801:                             ;   in Loop: Header=BB4_1703 Depth=2
	v_and_b32_e32 v4, 0x7f, v23
	v_cmp_ne_u32_e32 vcc, s71, v4
	v_mov_b32_e32 v2, 0x7f800001
	s_and_saveexec_b64 s[54:55], vcc
	s_cbranch_execz .LBB4_1803
; %bb.1802:                             ;   in Loop: Header=BB4_1703 Depth=2
	v_and_b32_e32 v2, 7, v23
	v_ffbh_u32_e32 v2, v2
	v_min_u32_e32 v2, 32, v2
	v_subrev_u32_e32 v6, 28, v2
	v_cmp_gt_u32_e32 vcc, 8, v4
	v_lshrrev_b32_e32 v5, 3, v4
	v_sub_u32_e32 v2, 29, v2
	v_cndmask_b32_e32 v4, 0, v6, vcc
	v_cndmask_b32_e32 v2, v5, v2, vcc
	v_lshlrev_b64 v[4:5], v4, v[52:53]
	v_lshlrev_b32_e32 v4, 20, v4
	v_lshlrev_b32_e32 v5, 24, v52
	v_and_b32_e32 v4, 0x700000, v4
	v_and_b32_e32 v5, 0x80000000, v5
	v_lshl_add_u32 v2, v2, 23, v27
	v_or3_b32 v2, v5, v2, v4
.LBB4_1803:                             ;   in Loop: Header=BB4_1703 Depth=2
	s_or_b64 exec, exec, s[54:55]
.LBB4_1804:                             ;   in Loop: Header=BB4_1703 Depth=2
	s_or_b64 exec, exec, s[52:53]
.LBB4_1805:                             ;   in Loop: Header=BB4_1703 Depth=2
	s_or_b64 exec, exec, s[18:19]
	v_cmp_ne_u16_sdwa vcc, v19, v53 src0_sel:BYTE_0 src1_sel:DWORD
	s_and_saveexec_b64 s[18:19], vcc
	s_cbranch_execz .LBB4_1811
; %bb.1806:                             ;   in Loop: Header=BB4_1703 Depth=2
	v_cmp_ne_u16_sdwa vcc, v19, s69 src0_sel:BYTE_0 src1_sel:DWORD
	v_bfrev_b32_e32 v3, 1
	s_and_saveexec_b64 s[52:53], vcc
	s_cbranch_execz .LBB4_1810
; %bb.1807:                             ;   in Loop: Header=BB4_1703 Depth=2
	v_and_b32_e32 v4, 0x7f, v19
	v_cmp_ne_u32_e32 vcc, s71, v4
	v_mov_b32_e32 v3, 0x7f800001
	s_and_saveexec_b64 s[54:55], vcc
	s_cbranch_execz .LBB4_1809
; %bb.1808:                             ;   in Loop: Header=BB4_1703 Depth=2
	v_and_b32_e32 v3, 7, v19
	v_ffbh_u32_e32 v3, v3
	v_min_u32_e32 v3, 32, v3
	v_subrev_u32_e32 v8, 28, v3
	v_cmp_gt_u32_e32 vcc, 8, v4
	v_mov_b32_e32 v6, v19
	v_mov_b32_e32 v7, v53
	v_lshrrev_b32_e32 v5, 3, v4
	v_sub_u32_e32 v3, 29, v3
	v_cndmask_b32_e32 v4, 0, v8, vcc
	v_cndmask_b32_e32 v3, v5, v3, vcc
	v_lshlrev_b64 v[4:5], v4, v[6:7]
	v_lshlrev_b32_e32 v4, 20, v4
	v_lshlrev_b32_e32 v5, 24, v6
	v_and_b32_e32 v4, 0x700000, v4
	v_and_b32_e32 v5, 0x80000000, v5
	v_lshl_add_u32 v3, v3, 23, v27
	v_or3_b32 v3, v5, v3, v4
.LBB4_1809:                             ;   in Loop: Header=BB4_1703 Depth=2
	s_or_b64 exec, exec, s[54:55]
.LBB4_1810:                             ;   in Loop: Header=BB4_1703 Depth=2
	s_or_b64 exec, exec, s[52:53]
.LBB4_1811:                             ;   in Loop: Header=BB4_1703 Depth=2
	s_or_b64 exec, exec, s[18:19]
	v_add_f32_e32 v5, v2, v3
	v_and_b32_sdwa v4, v5, s69 dst_sel:DWORD dst_unused:UNUSED_PAD src0_sel:BYTE_3 src1_sel:DWORD
	v_and_b32_e32 v6, 0x7f800000, v5
	v_mov_b32_e32 v7, v53
	v_and_b32_e32 v2, 0x7fffff, v5
	v_mov_b32_e32 v3, v53
	v_or_b32_e32 v34, 0x7e, v4
	v_cmp_ne_u64_e32 vcc, s[38:39], v[6:7]
	s_and_saveexec_b64 s[18:19], vcc
	s_xor_b64 s[52:53], exec, s[18:19]
	s_cbranch_execz .LBB4_1821
; %bb.1812:                             ;   in Loop: Header=BB4_1703 Depth=2
	v_and_b32_e32 v6, 0x7fffffff, v5
	v_mov_b32_e32 v7, v53
	v_cmp_gt_u64_e32 vcc, s[40:41], v[6:7]
	s_and_saveexec_b64 s[54:55], vcc
	s_cbranch_execz .LBB4_1820
; %bb.1813:                             ;   in Loop: Header=BB4_1703 Depth=2
	v_cmp_ne_u32_e32 vcc, 0, v5
	v_mov_b32_e32 v34, 0
	s_and_saveexec_b64 s[56:57], vcc
	s_cbranch_execz .LBB4_1819
; %bb.1814:                             ;   in Loop: Header=BB4_1703 Depth=2
	v_bfe_u32 v5, v5, 23, 8
	v_sub_u32_e32 v7, 0x79, v5
	v_cmp_gt_u32_e32 vcc, s72, v5
	v_add_u32_e32 v6, 0xffffff81, v5
	v_cndmask_b32_e32 v7, 0, v7, vcc
	v_cmp_eq_u32_e32 vcc, 0, v5
	v_mov_b32_e32 v5, 0xffffff82
	v_cndmask_b32_e32 v5, v6, v5, vcc
	v_mov_b32_e32 v6, 0x78
	v_cndmask_b32_e32 v26, v7, v6, vcc
	v_add_u32_e32 v6, 20, v26
	v_or_b32_e32 v8, 0x800000, v2
	v_lshlrev_b64 v[6:7], v6, -1
	v_cndmask_b32_e32 v2, v8, v2, vcc
	v_not_b32_e32 v6, v6
	v_and_b32_e32 v6, v2, v6
	v_lshrrev_b64 v[2:3], v26, v[2:3]
	v_not_b32_e32 v7, v7
	v_add_u32_e32 v8, 19, v26
	v_lshrrev_b32_e32 v28, 23, v2
	v_and_b32_e32 v7, 0, v7
	v_lshlrev_b64 v[8:9], v8, 1
	v_add3_u32 v28, v26, v5, v28
	v_bfe_u32 v5, v2, 20, 1
	v_add_u32_e32 v5, -1, v5
	v_cmp_eq_u64_e32 vcc, v[6:7], v[8:9]
	v_cndmask_b32_e32 v5, 0, v5, vcc
	v_add_u32_e32 v5, v5, v2
	v_and_b32_e32 v5, 0xfffff, v5
	v_add_co_u32_e32 v2, vcc, v5, v2
	v_add_u32_e32 v26, 6, v28
	v_addc_co_u32_e32 v3, vcc, 0, v3, vcc
	v_cmp_ne_u32_e32 vcc, 0, v26
                                        ; implicit-def: $vgpr5
	s_and_saveexec_b64 s[18:19], vcc
	s_xor_b64 s[18:19], exec, s[18:19]
; %bb.1815:                             ;   in Loop: Header=BB4_1703 Depth=2
	v_cmp_lt_u64_e32 vcc, s[44:45], v[2:3]
	v_add_u32_e32 v5, 7, v28
	v_cndmask_b32_e64 v6, 0, 1, vcc
	v_cndmask_b32_e32 v5, v26, v5, vcc
	v_lshrrev_b64 v[2:3], v6, v[2:3]
; %bb.1816:                             ;   in Loop: Header=BB4_1703 Depth=2
	s_andn2_saveexec_b64 s[18:19], s[18:19]
; %bb.1817:                             ;   in Loop: Header=BB4_1703 Depth=2
	v_bfe_u32 v5, v2, 23, 1
; %bb.1818:                             ;   in Loop: Header=BB4_1703 Depth=2
	s_or_b64 exec, exec, s[18:19]
	v_lshrrev_b64 v[2:3], 20, v[2:3]
	v_cmp_gt_i32_e32 vcc, 16, v5
	v_cndmask_b32_e32 v3, 0, v3, vcc
	v_cndmask_b32_e32 v2, 7, v2, vcc
	v_cmp_eq_u64_e64 s[18:19], 0, v[2:3]
	v_min_i32_e32 v3, 15, v5
	v_cmp_eq_u32_e32 vcc, 0, v5
	v_lshlrev_b32_e32 v3, 3, v3
	v_and_or_b32 v2, v2, 7, v3
	s_and_b64 s[18:19], vcc, s[18:19]
	v_cndmask_b32_e64 v2, v2, 0, s[18:19]
	v_or_b32_e32 v34, v2, v4
.LBB4_1819:                             ;   in Loop: Header=BB4_1703 Depth=2
	s_or_b64 exec, exec, s[56:57]
.LBB4_1820:                             ;   in Loop: Header=BB4_1703 Depth=2
	s_or_b64 exec, exec, s[54:55]
                                        ; implicit-def: $vgpr5
                                        ; implicit-def: $vgpr2_vgpr3
.LBB4_1821:                             ;   in Loop: Header=BB4_1703 Depth=2
	s_andn2_saveexec_b64 s[18:19], s[52:53]
; %bb.1822:                             ;   in Loop: Header=BB4_1703 Depth=2
	v_or_b32_sdwa v4, v5, s71 dst_sel:DWORD dst_unused:UNUSED_PAD src0_sel:BYTE_3 src1_sel:DWORD
	v_cmp_eq_u64_e32 vcc, 0, v[2:3]
	v_cndmask_b32_e32 v34, v4, v34, vcc
; %bb.1823:                             ;   in Loop: Header=BB4_1703 Depth=2
	s_or_b64 exec, exec, s[18:19]
	v_lshrrev_b16_e32 v2, 8, v52
	v_cmp_ne_u16_e32 vcc, 0, v2
	v_mov_b32_e32 v3, 0
	v_mov_b32_e32 v4, 0
	s_and_saveexec_b64 s[18:19], vcc
	s_cbranch_execz .LBB4_1829
; %bb.1824:                             ;   in Loop: Header=BB4_1703 Depth=2
	v_cmp_ne_u16_e32 vcc, s69, v2
	v_bfrev_b32_e32 v4, 1
	s_and_saveexec_b64 s[52:53], vcc
	s_cbranch_execz .LBB4_1828
; %bb.1825:                             ;   in Loop: Header=BB4_1703 Depth=2
	v_and_b32_e32 v5, 0x7f, v2
	v_cmp_ne_u32_e32 vcc, s71, v5
	v_mov_b32_e32 v4, 0x7f800001
	s_and_saveexec_b64 s[54:55], vcc
	s_cbranch_execz .LBB4_1827
; %bb.1826:                             ;   in Loop: Header=BB4_1703 Depth=2
	v_and_b32_e32 v4, 7, v2
	v_ffbh_u32_e32 v6, v4
	v_min_u32_e32 v9, 32, v6
	v_subrev_u32_e32 v6, 28, v9
	v_lshlrev_b64 v[6:7], v6, v[2:3]
	v_lshrrev_b32_e32 v8, 3, v5
	v_sub_u32_e32 v2, 29, v9
	v_and_b32_e32 v6, 7, v6
	v_cmp_gt_u32_e32 vcc, 8, v5
	v_cndmask_b32_e32 v2, v8, v2, vcc
	v_cndmask_b32_e32 v4, v4, v6, vcc
	v_lshlrev_b32_e32 v5, 16, v52
	v_lshlrev_b32_e32 v4, 20, v4
	v_and_b32_e32 v5, 0x80000000, v5
	v_lshl_add_u32 v2, v2, 23, v27
	v_or3_b32 v4, v5, v2, v4
.LBB4_1827:                             ;   in Loop: Header=BB4_1703 Depth=2
	s_or_b64 exec, exec, s[54:55]
.LBB4_1828:                             ;   in Loop: Header=BB4_1703 Depth=2
	s_or_b64 exec, exec, s[52:53]
.LBB4_1829:                             ;   in Loop: Header=BB4_1703 Depth=2
	s_or_b64 exec, exec, s[18:19]
	v_mov_b32_e32 v2, v19
	v_lshrrev_b16_e32 v52, 8, v2
	v_cmp_ne_u16_e32 vcc, 0, v52
	s_and_saveexec_b64 s[18:19], vcc
	s_cbranch_execz .LBB4_1835
; %bb.1830:                             ;   in Loop: Header=BB4_1703 Depth=2
	v_cmp_ne_u16_e32 vcc, s69, v52
	v_bfrev_b32_e32 v3, 1
	s_and_saveexec_b64 s[52:53], vcc
	s_cbranch_execz .LBB4_1834
; %bb.1831:                             ;   in Loop: Header=BB4_1703 Depth=2
	v_and_b32_e32 v5, 0x7f, v52
	v_cmp_ne_u32_e32 vcc, s71, v5
	v_mov_b32_e32 v3, 0x7f800001
	s_and_saveexec_b64 s[54:55], vcc
	s_cbranch_execz .LBB4_1833
; %bb.1832:                             ;   in Loop: Header=BB4_1703 Depth=2
	v_and_b32_e32 v3, 7, v52
	v_ffbh_u32_e32 v6, v3
	v_min_u32_e32 v9, 32, v6
	v_subrev_u32_e32 v6, 28, v9
	v_lshlrev_b64 v[6:7], v6, v[52:53]
	v_lshrrev_b32_e32 v8, 3, v5
	v_sub_u32_e32 v7, 29, v9
	v_and_b32_e32 v6, 7, v6
	v_cmp_gt_u32_e32 vcc, 8, v5
	v_cndmask_b32_e32 v5, v8, v7, vcc
	v_cndmask_b32_e32 v3, v3, v6, vcc
	v_lshlrev_b32_e32 v2, 16, v2
	v_lshlrev_b32_e32 v3, 20, v3
	v_and_b32_e32 v2, 0x80000000, v2
	v_lshl_add_u32 v5, v5, 23, v27
	v_or3_b32 v3, v2, v5, v3
.LBB4_1833:                             ;   in Loop: Header=BB4_1703 Depth=2
	s_or_b64 exec, exec, s[54:55]
.LBB4_1834:                             ;   in Loop: Header=BB4_1703 Depth=2
	s_or_b64 exec, exec, s[52:53]
.LBB4_1835:                             ;   in Loop: Header=BB4_1703 Depth=2
	s_or_b64 exec, exec, s[18:19]
	v_add_f32_e32 v2, v4, v3
	v_and_b32_sdwa v4, v2, s69 dst_sel:DWORD dst_unused:UNUSED_PAD src0_sel:BYTE_3 src1_sel:DWORD
	v_and_b32_e32 v6, 0x7f800000, v2
	v_mov_b32_e32 v7, v53
	v_and_b32_e32 v52, 0x7fffff, v2
	v_or_b32_e32 v35, 0x7e, v4
	v_cmp_ne_u64_e32 vcc, s[38:39], v[6:7]
	s_and_saveexec_b64 s[18:19], vcc
	s_xor_b64 s[52:53], exec, s[18:19]
	s_cbranch_execz .LBB4_1845
; %bb.1836:                             ;   in Loop: Header=BB4_1703 Depth=2
	v_and_b32_e32 v6, 0x7fffffff, v2
	v_mov_b32_e32 v7, v53
	v_cmp_gt_u64_e32 vcc, s[40:41], v[6:7]
	s_and_saveexec_b64 s[54:55], vcc
	s_cbranch_execz .LBB4_1844
; %bb.1837:                             ;   in Loop: Header=BB4_1703 Depth=2
	v_cmp_ne_u32_e32 vcc, 0, v2
	v_mov_b32_e32 v35, 0
	s_and_saveexec_b64 s[56:57], vcc
	s_cbranch_execz .LBB4_1843
; %bb.1838:                             ;   in Loop: Header=BB4_1703 Depth=2
	v_bfe_u32 v2, v2, 23, 8
	v_sub_u32_e32 v5, 0x79, v2
	v_cmp_gt_u32_e32 vcc, s72, v2
	v_add_u32_e32 v3, 0xffffff81, v2
	v_cndmask_b32_e32 v5, 0, v5, vcc
	v_cmp_eq_u32_e32 vcc, 0, v2
	v_mov_b32_e32 v2, 0xffffff82
	v_cndmask_b32_e32 v26, v3, v2, vcc
	v_mov_b32_e32 v2, 0x78
	v_or_b32_e32 v6, 0x800000, v52
	v_cndmask_b32_e32 v5, v5, v2, vcc
	v_cndmask_b32_e32 v52, v6, v52, vcc
	v_add_u32_e32 v2, 20, v5
	v_lshlrev_b64 v[2:3], v2, -1
	v_lshrrev_b64 v[8:9], v5, v[52:53]
	v_not_b32_e32 v3, v3
	v_not_b32_e32 v2, v2
	v_add_u32_e32 v6, 19, v5
	v_lshrrev_b32_e32 v28, 23, v8
	v_and_b32_e32 v3, 0, v3
	v_and_b32_e32 v2, v52, v2
	v_lshlrev_b64 v[6:7], v6, 1
	v_add3_u32 v28, v5, v26, v28
	v_bfe_u32 v5, v8, 20, 1
	v_add_u32_e32 v5, -1, v5
	v_cmp_eq_u64_e32 vcc, v[2:3], v[6:7]
	v_cndmask_b32_e32 v2, 0, v5, vcc
	v_add_u32_e32 v2, v2, v8
	v_and_b32_e32 v2, 0xfffff, v2
	v_add_co_u32_e32 v2, vcc, v2, v8
	v_add_u32_e32 v26, 6, v28
	v_addc_co_u32_e32 v3, vcc, 0, v9, vcc
	v_cmp_ne_u32_e32 vcc, 0, v26
                                        ; implicit-def: $vgpr5
	s_and_saveexec_b64 s[18:19], vcc
	s_xor_b64 s[18:19], exec, s[18:19]
; %bb.1839:                             ;   in Loop: Header=BB4_1703 Depth=2
	v_cmp_lt_u64_e32 vcc, s[44:45], v[2:3]
	v_add_u32_e32 v5, 7, v28
	v_cndmask_b32_e64 v6, 0, 1, vcc
	v_cndmask_b32_e32 v5, v26, v5, vcc
	v_lshrrev_b64 v[2:3], v6, v[2:3]
; %bb.1840:                             ;   in Loop: Header=BB4_1703 Depth=2
	s_andn2_saveexec_b64 s[18:19], s[18:19]
; %bb.1841:                             ;   in Loop: Header=BB4_1703 Depth=2
	v_bfe_u32 v5, v2, 23, 1
; %bb.1842:                             ;   in Loop: Header=BB4_1703 Depth=2
	s_or_b64 exec, exec, s[18:19]
	v_lshrrev_b64 v[2:3], 20, v[2:3]
	v_cmp_gt_i32_e32 vcc, 16, v5
	v_cndmask_b32_e32 v3, 0, v3, vcc
	v_cndmask_b32_e32 v2, 7, v2, vcc
	v_cmp_eq_u64_e64 s[18:19], 0, v[2:3]
	v_min_i32_e32 v3, 15, v5
	v_cmp_eq_u32_e32 vcc, 0, v5
	v_lshlrev_b32_e32 v3, 3, v3
	v_and_or_b32 v2, v2, 7, v3
	s_and_b64 s[18:19], vcc, s[18:19]
	v_cndmask_b32_e64 v2, v2, 0, s[18:19]
	v_or_b32_e32 v35, v2, v4
.LBB4_1843:                             ;   in Loop: Header=BB4_1703 Depth=2
	s_or_b64 exec, exec, s[56:57]
.LBB4_1844:                             ;   in Loop: Header=BB4_1703 Depth=2
	s_or_b64 exec, exec, s[54:55]
                                        ; implicit-def: $vgpr2
.LBB4_1845:                             ;   in Loop: Header=BB4_1703 Depth=2
	s_andn2_saveexec_b64 s[18:19], s[52:53]
; %bb.1846:                             ;   in Loop: Header=BB4_1703 Depth=2
	v_or_b32_sdwa v2, v2, s71 dst_sel:DWORD dst_unused:UNUSED_PAD src0_sel:BYTE_3 src1_sel:DWORD
	v_cmp_eq_u64_e32 vcc, 0, v[52:53]
	v_cndmask_b32_e32 v35, v2, v35, vcc
; %bb.1847:                             ;   in Loop: Header=BB4_1703 Depth=2
	s_or_b64 exec, exec, s[18:19]
	v_lshrrev_b32_e32 v2, 16, v23
	v_cmp_ne_u16_sdwa vcc, v2, v53 src0_sel:BYTE_0 src1_sel:DWORD
	v_mov_b32_e32 v3, 0
	v_mov_b32_e32 v4, 0
	s_and_saveexec_b64 s[18:19], vcc
	s_cbranch_execz .LBB4_1853
; %bb.1848:                             ;   in Loop: Header=BB4_1703 Depth=2
	v_cmp_ne_u16_sdwa vcc, v2, s69 src0_sel:BYTE_0 src1_sel:DWORD
	v_bfrev_b32_e32 v4, 1
	s_and_saveexec_b64 s[52:53], vcc
	s_cbranch_execz .LBB4_1852
; %bb.1849:                             ;   in Loop: Header=BB4_1703 Depth=2
	v_bfe_u32 v5, v23, 16, 7
	v_cmp_ne_u32_e32 vcc, s71, v5
	v_mov_b32_e32 v4, 0x7f800001
	s_and_saveexec_b64 s[54:55], vcc
	s_cbranch_execz .LBB4_1851
; %bb.1850:                             ;   in Loop: Header=BB4_1703 Depth=2
	v_and_b32_e32 v4, 7, v2
	v_ffbh_u32_e32 v6, v4
	v_min_u32_e32 v9, 32, v6
	v_subrev_u32_e32 v6, 28, v9
	v_lshlrev_b64 v[6:7], v6, v[2:3]
	v_lshrrev_b32_e32 v8, 3, v5
	v_sub_u32_e32 v7, 29, v9
	v_and_b32_e32 v6, 7, v6
	v_cmp_gt_u32_e32 vcc, 8, v5
	v_cndmask_b32_e32 v5, v8, v7, vcc
	v_cndmask_b32_e32 v4, v4, v6, vcc
	v_lshlrev_b32_e32 v2, 24, v2
	v_lshlrev_b32_e32 v4, 20, v4
	v_and_b32_e32 v2, 0x80000000, v2
	v_lshl_add_u32 v5, v5, 23, v27
	v_or3_b32 v4, v2, v5, v4
.LBB4_1851:                             ;   in Loop: Header=BB4_1703 Depth=2
	s_or_b64 exec, exec, s[54:55]
.LBB4_1852:                             ;   in Loop: Header=BB4_1703 Depth=2
	s_or_b64 exec, exec, s[52:53]
.LBB4_1853:                             ;   in Loop: Header=BB4_1703 Depth=2
	s_or_b64 exec, exec, s[18:19]
	v_lshrrev_b32_e32 v2, 16, v19
	v_cmp_ne_u16_sdwa vcc, v2, v53 src0_sel:BYTE_0 src1_sel:DWORD
	s_and_saveexec_b64 s[18:19], vcc
	s_cbranch_execz .LBB4_1859
; %bb.1854:                             ;   in Loop: Header=BB4_1703 Depth=2
	v_cmp_ne_u16_sdwa vcc, v2, s69 src0_sel:BYTE_0 src1_sel:DWORD
	v_bfrev_b32_e32 v3, 1
	s_and_saveexec_b64 s[52:53], vcc
	s_cbranch_execz .LBB4_1858
; %bb.1855:                             ;   in Loop: Header=BB4_1703 Depth=2
	v_bfe_u32 v5, v19, 16, 7
	v_cmp_ne_u32_e32 vcc, s71, v5
	v_mov_b32_e32 v3, 0x7f800001
	s_and_saveexec_b64 s[54:55], vcc
	s_cbranch_execz .LBB4_1857
; %bb.1856:                             ;   in Loop: Header=BB4_1703 Depth=2
	v_and_b32_e32 v6, 7, v2
	v_ffbh_u32_e32 v3, v6
	v_min_u32_e32 v8, 32, v3
	v_subrev_u32_e32 v3, 28, v8
	v_lshlrev_b64 v[2:3], v3, v[2:3]
	v_lshrrev_b32_e32 v7, 3, v5
	v_sub_u32_e32 v3, 29, v8
	v_and_b32_e32 v2, 7, v2
	v_cmp_gt_u32_e32 vcc, 8, v5
	v_cndmask_b32_e32 v3, v7, v3, vcc
	v_cndmask_b32_e32 v2, v6, v2, vcc
	v_lshlrev_b32_e32 v5, 8, v19
	v_lshlrev_b32_e32 v2, 20, v2
	v_and_b32_e32 v5, 0x80000000, v5
	v_lshl_add_u32 v3, v3, 23, v27
	v_or3_b32 v3, v5, v3, v2
.LBB4_1857:                             ;   in Loop: Header=BB4_1703 Depth=2
	s_or_b64 exec, exec, s[54:55]
.LBB4_1858:                             ;   in Loop: Header=BB4_1703 Depth=2
	s_or_b64 exec, exec, s[52:53]
.LBB4_1859:                             ;   in Loop: Header=BB4_1703 Depth=2
	s_or_b64 exec, exec, s[18:19]
	v_add_f32_e32 v2, v4, v3
	v_and_b32_sdwa v4, v2, s69 dst_sel:DWORD dst_unused:UNUSED_PAD src0_sel:BYTE_3 src1_sel:DWORD
	v_and_b32_e32 v6, 0x7f800000, v2
	v_mov_b32_e32 v7, v53
	v_and_b32_e32 v52, 0x7fffff, v2
	v_or_b32_e32 v40, 0x7e, v4
	v_cmp_ne_u64_e32 vcc, s[38:39], v[6:7]
	s_and_saveexec_b64 s[18:19], vcc
	s_xor_b64 s[52:53], exec, s[18:19]
	s_cbranch_execz .LBB4_1869
; %bb.1860:                             ;   in Loop: Header=BB4_1703 Depth=2
	v_and_b32_e32 v6, 0x7fffffff, v2
	v_mov_b32_e32 v7, v53
	v_cmp_gt_u64_e32 vcc, s[40:41], v[6:7]
	s_and_saveexec_b64 s[54:55], vcc
	s_cbranch_execz .LBB4_1868
; %bb.1861:                             ;   in Loop: Header=BB4_1703 Depth=2
	v_cmp_ne_u32_e32 vcc, 0, v2
	v_mov_b32_e32 v40, 0
	s_and_saveexec_b64 s[56:57], vcc
	s_cbranch_execz .LBB4_1867
; %bb.1862:                             ;   in Loop: Header=BB4_1703 Depth=2
	v_bfe_u32 v2, v2, 23, 8
	v_sub_u32_e32 v5, 0x79, v2
	v_cmp_gt_u32_e32 vcc, s72, v2
	v_add_u32_e32 v3, 0xffffff81, v2
	v_cndmask_b32_e32 v5, 0, v5, vcc
	v_cmp_eq_u32_e32 vcc, 0, v2
	v_mov_b32_e32 v2, 0xffffff82
	v_cndmask_b32_e32 v26, v3, v2, vcc
	v_mov_b32_e32 v2, 0x78
	v_or_b32_e32 v6, 0x800000, v52
	v_cndmask_b32_e32 v5, v5, v2, vcc
	v_cndmask_b32_e32 v52, v6, v52, vcc
	v_add_u32_e32 v2, 20, v5
	v_lshlrev_b64 v[2:3], v2, -1
	v_lshrrev_b64 v[8:9], v5, v[52:53]
	v_not_b32_e32 v3, v3
	v_not_b32_e32 v2, v2
	v_add_u32_e32 v6, 19, v5
	v_lshrrev_b32_e32 v28, 23, v8
	v_and_b32_e32 v3, 0, v3
	v_and_b32_e32 v2, v52, v2
	v_lshlrev_b64 v[6:7], v6, 1
	v_add3_u32 v28, v5, v26, v28
	v_bfe_u32 v5, v8, 20, 1
	v_add_u32_e32 v5, -1, v5
	v_cmp_eq_u64_e32 vcc, v[2:3], v[6:7]
	v_cndmask_b32_e32 v2, 0, v5, vcc
	v_add_u32_e32 v2, v2, v8
	v_and_b32_e32 v2, 0xfffff, v2
	v_add_co_u32_e32 v2, vcc, v2, v8
	v_add_u32_e32 v26, 6, v28
	v_addc_co_u32_e32 v3, vcc, 0, v9, vcc
	v_cmp_ne_u32_e32 vcc, 0, v26
                                        ; implicit-def: $vgpr5
	s_and_saveexec_b64 s[18:19], vcc
	s_xor_b64 s[18:19], exec, s[18:19]
; %bb.1863:                             ;   in Loop: Header=BB4_1703 Depth=2
	v_cmp_lt_u64_e32 vcc, s[44:45], v[2:3]
	v_add_u32_e32 v5, 7, v28
	v_cndmask_b32_e64 v6, 0, 1, vcc
	v_cndmask_b32_e32 v5, v26, v5, vcc
	v_lshrrev_b64 v[2:3], v6, v[2:3]
; %bb.1864:                             ;   in Loop: Header=BB4_1703 Depth=2
	s_andn2_saveexec_b64 s[18:19], s[18:19]
; %bb.1865:                             ;   in Loop: Header=BB4_1703 Depth=2
	v_bfe_u32 v5, v2, 23, 1
; %bb.1866:                             ;   in Loop: Header=BB4_1703 Depth=2
	s_or_b64 exec, exec, s[18:19]
	v_lshrrev_b64 v[2:3], 20, v[2:3]
	v_cmp_gt_i32_e32 vcc, 16, v5
	v_cndmask_b32_e32 v3, 0, v3, vcc
	v_cndmask_b32_e32 v2, 7, v2, vcc
	v_cmp_eq_u64_e64 s[18:19], 0, v[2:3]
	v_min_i32_e32 v3, 15, v5
	v_lshlrev_b32_e32 v3, 3, v3
	v_cmp_eq_u32_e32 vcc, 0, v5
	v_and_b32_e32 v3, 0xf8, v3
	v_and_or_b32 v2, v2, 7, v3
	s_and_b64 s[18:19], vcc, s[18:19]
	v_cndmask_b32_e64 v2, v2, 0, s[18:19]
	v_or_b32_e32 v40, v2, v4
.LBB4_1867:                             ;   in Loop: Header=BB4_1703 Depth=2
	s_or_b64 exec, exec, s[56:57]
.LBB4_1868:                             ;   in Loop: Header=BB4_1703 Depth=2
	s_or_b64 exec, exec, s[54:55]
                                        ; implicit-def: $vgpr2
.LBB4_1869:                             ;   in Loop: Header=BB4_1703 Depth=2
	s_andn2_saveexec_b64 s[18:19], s[52:53]
; %bb.1870:                             ;   in Loop: Header=BB4_1703 Depth=2
	v_or_b32_sdwa v2, v2, s71 dst_sel:DWORD dst_unused:UNUSED_PAD src0_sel:BYTE_3 src1_sel:DWORD
	v_cmp_eq_u64_e32 vcc, 0, v[52:53]
	v_cndmask_b32_e32 v40, v2, v40, vcc
; %bb.1871:                             ;   in Loop: Header=BB4_1703 Depth=2
	s_or_b64 exec, exec, s[18:19]
	v_cmp_lt_u64_e32 vcc, s[42:43], v[22:23]
	v_mov_b32_e32 v3, 0
	v_mov_b32_e32 v4, 0
	s_and_saveexec_b64 s[18:19], vcc
	s_cbranch_execz .LBB4_1877
; %bb.1872:                             ;   in Loop: Header=BB4_1703 Depth=2
	v_lshrrev_b32_e32 v2, 24, v23
	v_cmp_ne_u32_e32 vcc, s69, v2
	v_bfrev_b32_e32 v4, 1
	s_and_saveexec_b64 s[52:53], vcc
	s_cbranch_execz .LBB4_1876
; %bb.1873:                             ;   in Loop: Header=BB4_1703 Depth=2
	v_bfe_u32 v5, v23, 24, 7
	v_cmp_ne_u32_e32 vcc, s71, v5
	v_mov_b32_e32 v4, 0x7f800001
	s_and_saveexec_b64 s[54:55], vcc
	s_cbranch_execz .LBB4_1875
; %bb.1874:                             ;   in Loop: Header=BB4_1703 Depth=2
	v_and_b32_e32 v4, 7, v2
	v_ffbh_u32_e32 v6, v4
	v_min_u32_e32 v9, 32, v6
	v_subrev_u32_e32 v6, 28, v9
	v_lshlrev_b64 v[6:7], v6, v[2:3]
	v_lshrrev_b32_e32 v8, 3, v5
	v_sub_u32_e32 v7, 29, v9
	v_and_b32_e32 v6, 7, v6
	v_cmp_gt_u32_e32 vcc, 8, v5
	v_cndmask_b32_e32 v5, v8, v7, vcc
	v_cndmask_b32_e32 v4, v4, v6, vcc
	v_lshlrev_b32_e32 v2, 24, v2
	v_lshlrev_b32_e32 v4, 20, v4
	v_and_b32_e32 v2, 0x80000000, v2
	v_lshl_add_u32 v5, v5, 23, v27
	v_or3_b32 v4, v2, v5, v4
.LBB4_1875:                             ;   in Loop: Header=BB4_1703 Depth=2
	s_or_b64 exec, exec, s[54:55]
.LBB4_1876:                             ;   in Loop: Header=BB4_1703 Depth=2
	s_or_b64 exec, exec, s[52:53]
.LBB4_1877:                             ;   in Loop: Header=BB4_1703 Depth=2
	s_or_b64 exec, exec, s[18:19]
	v_cmp_lt_u64_e32 vcc, s[42:43], v[18:19]
	s_and_saveexec_b64 s[18:19], vcc
	s_cbranch_execz .LBB4_1883
; %bb.1878:                             ;   in Loop: Header=BB4_1703 Depth=2
	v_lshrrev_b32_e32 v2, 24, v19
	v_cmp_ne_u32_e32 vcc, s69, v2
	v_bfrev_b32_e32 v3, 1
	s_and_saveexec_b64 s[52:53], vcc
	s_cbranch_execz .LBB4_1882
; %bb.1879:                             ;   in Loop: Header=BB4_1703 Depth=2
	v_bfe_u32 v5, v19, 24, 7
	v_cmp_ne_u32_e32 vcc, s71, v5
	v_mov_b32_e32 v3, 0x7f800001
	s_and_saveexec_b64 s[54:55], vcc
	s_cbranch_execz .LBB4_1881
; %bb.1880:                             ;   in Loop: Header=BB4_1703 Depth=2
	v_and_b32_e32 v3, 7, v2
	v_ffbh_u32_e32 v6, v3
	v_min_u32_e32 v9, 32, v6
	v_subrev_u32_e32 v6, 28, v9
	v_lshlrev_b64 v[6:7], v6, v[2:3]
	v_lshrrev_b32_e32 v8, 3, v5
	v_sub_u32_e32 v7, 29, v9
	v_and_b32_e32 v6, 7, v6
	v_cmp_gt_u32_e32 vcc, 8, v5
	v_cndmask_b32_e32 v5, v8, v7, vcc
	v_cndmask_b32_e32 v3, v3, v6, vcc
	v_lshlrev_b32_e32 v2, 24, v2
	v_lshlrev_b32_e32 v3, 20, v3
	v_and_b32_e32 v2, 0x80000000, v2
	v_lshl_add_u32 v5, v5, 23, v27
	v_or3_b32 v3, v2, v5, v3
.LBB4_1881:                             ;   in Loop: Header=BB4_1703 Depth=2
	s_or_b64 exec, exec, s[54:55]
.LBB4_1882:                             ;   in Loop: Header=BB4_1703 Depth=2
	s_or_b64 exec, exec, s[52:53]
.LBB4_1883:                             ;   in Loop: Header=BB4_1703 Depth=2
	s_or_b64 exec, exec, s[18:19]
	v_add_f32_e32 v2, v4, v3
	v_and_b32_sdwa v4, v2, s69 dst_sel:DWORD dst_unused:UNUSED_PAD src0_sel:BYTE_3 src1_sel:DWORD
	v_and_b32_e32 v6, 0x7f800000, v2
	v_mov_b32_e32 v7, v53
	v_and_b32_e32 v52, 0x7fffff, v2
	v_or_b32_e32 v19, 0x7e, v4
	v_cmp_ne_u64_e32 vcc, s[38:39], v[6:7]
	s_and_saveexec_b64 s[18:19], vcc
	s_xor_b64 s[52:53], exec, s[18:19]
	s_cbranch_execz .LBB4_1893
; %bb.1884:                             ;   in Loop: Header=BB4_1703 Depth=2
	v_and_b32_e32 v6, 0x7fffffff, v2
	v_mov_b32_e32 v7, v53
	v_cmp_gt_u64_e32 vcc, s[40:41], v[6:7]
	s_and_saveexec_b64 s[54:55], vcc
	s_cbranch_execz .LBB4_1892
; %bb.1885:                             ;   in Loop: Header=BB4_1703 Depth=2
	v_cmp_ne_u32_e32 vcc, 0, v2
	v_mov_b32_e32 v19, 0
	s_and_saveexec_b64 s[56:57], vcc
	s_cbranch_execz .LBB4_1891
; %bb.1886:                             ;   in Loop: Header=BB4_1703 Depth=2
	v_bfe_u32 v2, v2, 23, 8
	v_sub_u32_e32 v5, 0x79, v2
	v_cmp_gt_u32_e32 vcc, s72, v2
	v_add_u32_e32 v3, 0xffffff81, v2
	v_cndmask_b32_e32 v5, 0, v5, vcc
	v_cmp_eq_u32_e32 vcc, 0, v2
	v_mov_b32_e32 v2, 0xffffff82
	v_cndmask_b32_e32 v18, v3, v2, vcc
	v_mov_b32_e32 v2, 0x78
	v_or_b32_e32 v6, 0x800000, v52
	v_cndmask_b32_e32 v5, v5, v2, vcc
	v_cndmask_b32_e32 v52, v6, v52, vcc
	v_add_u32_e32 v2, 20, v5
	v_lshlrev_b64 v[2:3], v2, -1
	v_lshrrev_b64 v[8:9], v5, v[52:53]
	v_not_b32_e32 v3, v3
	v_not_b32_e32 v2, v2
	v_add_u32_e32 v6, 19, v5
	v_lshrrev_b32_e32 v19, 23, v8
	v_and_b32_e32 v3, 0, v3
	v_and_b32_e32 v2, v52, v2
	v_lshlrev_b64 v[6:7], v6, 1
	v_add3_u32 v19, v5, v18, v19
	v_bfe_u32 v5, v8, 20, 1
	v_add_u32_e32 v5, -1, v5
	v_cmp_eq_u64_e32 vcc, v[2:3], v[6:7]
	v_cndmask_b32_e32 v2, 0, v5, vcc
	v_add_u32_e32 v2, v2, v8
	v_and_b32_e32 v2, 0xfffff, v2
	v_add_co_u32_e32 v2, vcc, v2, v8
	v_add_u32_e32 v18, 6, v19
	v_addc_co_u32_e32 v3, vcc, 0, v9, vcc
	v_cmp_ne_u32_e32 vcc, 0, v18
                                        ; implicit-def: $vgpr5
	s_and_saveexec_b64 s[18:19], vcc
	s_xor_b64 s[18:19], exec, s[18:19]
; %bb.1887:                             ;   in Loop: Header=BB4_1703 Depth=2
	v_cmp_lt_u64_e32 vcc, s[44:45], v[2:3]
	v_add_u32_e32 v5, 7, v19
	v_cndmask_b32_e64 v6, 0, 1, vcc
	v_cndmask_b32_e32 v5, v18, v5, vcc
	v_lshrrev_b64 v[2:3], v6, v[2:3]
; %bb.1888:                             ;   in Loop: Header=BB4_1703 Depth=2
	s_andn2_saveexec_b64 s[18:19], s[18:19]
; %bb.1889:                             ;   in Loop: Header=BB4_1703 Depth=2
	v_bfe_u32 v5, v2, 23, 1
; %bb.1890:                             ;   in Loop: Header=BB4_1703 Depth=2
	s_or_b64 exec, exec, s[18:19]
	v_lshrrev_b64 v[2:3], 20, v[2:3]
	v_cmp_gt_i32_e32 vcc, 16, v5
	v_cndmask_b32_e32 v3, 0, v3, vcc
	v_cndmask_b32_e32 v2, 7, v2, vcc
	v_cmp_eq_u64_e64 s[18:19], 0, v[2:3]
	v_min_i32_e32 v3, 15, v5
	v_lshlrev_b32_e32 v3, 3, v3
	v_cmp_eq_u32_e32 vcc, 0, v5
	v_and_b32_e32 v3, 0xf8, v3
	v_and_or_b32 v2, v2, 7, v3
	s_and_b64 s[18:19], vcc, s[18:19]
	v_cndmask_b32_e64 v2, v2, 0, s[18:19]
	v_or_b32_e32 v19, v2, v4
.LBB4_1891:                             ;   in Loop: Header=BB4_1703 Depth=2
	s_or_b64 exec, exec, s[56:57]
.LBB4_1892:                             ;   in Loop: Header=BB4_1703 Depth=2
	s_or_b64 exec, exec, s[54:55]
                                        ; implicit-def: $vgpr2
.LBB4_1893:                             ;   in Loop: Header=BB4_1703 Depth=2
	s_andn2_saveexec_b64 s[18:19], s[52:53]
; %bb.1894:                             ;   in Loop: Header=BB4_1703 Depth=2
	v_or_b32_sdwa v2, v2, s71 dst_sel:DWORD dst_unused:UNUSED_PAD src0_sel:BYTE_3 src1_sel:DWORD
	v_cmp_eq_u64_e32 vcc, 0, v[52:53]
	v_cndmask_b32_e32 v19, v2, v19, vcc
; %bb.1895:                             ;   in Loop: Header=BB4_1703 Depth=2
	s_or_b64 exec, exec, s[18:19]
	v_cmp_ne_u16_sdwa vcc, v24, v53 src0_sel:BYTE_0 src1_sel:DWORD
	v_mov_b32_e32 v2, 0
	v_mov_b32_e32 v3, 0
	s_and_saveexec_b64 s[18:19], vcc
	s_cbranch_execz .LBB4_1901
; %bb.1896:                             ;   in Loop: Header=BB4_1703 Depth=2
	v_cmp_ne_u16_sdwa vcc, v24, s69 src0_sel:BYTE_0 src1_sel:DWORD
	v_bfrev_b32_e32 v3, 1
	s_and_saveexec_b64 s[52:53], vcc
	s_cbranch_execz .LBB4_1900
; %bb.1897:                             ;   in Loop: Header=BB4_1703 Depth=2
	v_and_b32_e32 v4, 0x7f, v24
	v_cmp_ne_u32_e32 vcc, s71, v4
	v_mov_b32_e32 v3, 0x7f800001
	s_and_saveexec_b64 s[54:55], vcc
	s_cbranch_execz .LBB4_1899
; %bb.1898:                             ;   in Loop: Header=BB4_1703 Depth=2
	v_and_b32_e32 v3, 7, v24
	v_ffbh_u32_e32 v3, v3
	v_min_u32_e32 v3, 32, v3
	v_subrev_u32_e32 v6, 28, v3
	v_cmp_gt_u32_e32 vcc, 8, v4
	v_lshrrev_b32_e32 v5, 3, v4
	v_sub_u32_e32 v3, 29, v3
	v_cndmask_b32_e32 v4, 0, v6, vcc
	v_cndmask_b32_e32 v3, v5, v3, vcc
	v_lshlrev_b64 v[4:5], v4, v[24:25]
	v_lshlrev_b32_e32 v4, 20, v4
	v_lshlrev_b32_e32 v5, 24, v24
	v_and_b32_e32 v4, 0x700000, v4
	v_and_b32_e32 v5, 0x80000000, v5
	v_lshl_add_u32 v3, v3, 23, v27
	v_or3_b32 v3, v5, v3, v4
.LBB4_1899:                             ;   in Loop: Header=BB4_1703 Depth=2
	s_or_b64 exec, exec, s[54:55]
.LBB4_1900:                             ;   in Loop: Header=BB4_1703 Depth=2
	s_or_b64 exec, exec, s[52:53]
.LBB4_1901:                             ;   in Loop: Header=BB4_1703 Depth=2
	s_or_b64 exec, exec, s[18:19]
	v_cmp_ne_u16_sdwa vcc, v20, v53 src0_sel:BYTE_0 src1_sel:DWORD
	s_and_saveexec_b64 s[18:19], vcc
	s_cbranch_execz .LBB4_1907
; %bb.1902:                             ;   in Loop: Header=BB4_1703 Depth=2
	v_cmp_ne_u16_sdwa vcc, v20, s69 src0_sel:BYTE_0 src1_sel:DWORD
	v_bfrev_b32_e32 v2, 1
	s_and_saveexec_b64 s[52:53], vcc
	s_cbranch_execz .LBB4_1906
; %bb.1903:                             ;   in Loop: Header=BB4_1703 Depth=2
	v_and_b32_e32 v4, 0x7f, v20
	v_cmp_ne_u32_e32 vcc, s71, v4
	v_mov_b32_e32 v2, 0x7f800001
	s_and_saveexec_b64 s[54:55], vcc
	s_cbranch_execz .LBB4_1905
; %bb.1904:                             ;   in Loop: Header=BB4_1703 Depth=2
	v_and_b32_e32 v2, 7, v20
	v_ffbh_u32_e32 v2, v2
	v_min_u32_e32 v2, 32, v2
	v_subrev_u32_e32 v6, 28, v2
	v_cmp_gt_u32_e32 vcc, 8, v4
	v_lshrrev_b32_e32 v5, 3, v4
	v_sub_u32_e32 v2, 29, v2
	v_cndmask_b32_e32 v4, 0, v6, vcc
	v_cndmask_b32_e32 v2, v5, v2, vcc
	v_lshlrev_b64 v[4:5], v4, v[20:21]
	v_lshlrev_b32_e32 v4, 20, v4
	v_lshlrev_b32_e32 v5, 24, v20
	v_and_b32_e32 v4, 0x700000, v4
	v_and_b32_e32 v5, 0x80000000, v5
	v_lshl_add_u32 v2, v2, 23, v27
	v_or3_b32 v2, v5, v2, v4
.LBB4_1905:                             ;   in Loop: Header=BB4_1703 Depth=2
	s_or_b64 exec, exec, s[54:55]
.LBB4_1906:                             ;   in Loop: Header=BB4_1703 Depth=2
	s_or_b64 exec, exec, s[52:53]
.LBB4_1907:                             ;   in Loop: Header=BB4_1703 Depth=2
	s_or_b64 exec, exec, s[18:19]
	v_add_f32_e32 v2, v3, v2
	v_and_b32_sdwa v4, v2, s69 dst_sel:DWORD dst_unused:UNUSED_PAD src0_sel:BYTE_3 src1_sel:DWORD
	v_and_b32_e32 v6, 0x7f800000, v2
	v_mov_b32_e32 v7, v53
	v_and_b32_e32 v52, 0x7fffff, v2
	v_or_b32_e32 v22, 0x7e, v4
	v_cmp_ne_u64_e32 vcc, s[38:39], v[6:7]
	s_and_saveexec_b64 s[18:19], vcc
	s_xor_b64 s[52:53], exec, s[18:19]
	s_cbranch_execz .LBB4_1917
; %bb.1908:                             ;   in Loop: Header=BB4_1703 Depth=2
	v_and_b32_e32 v6, 0x7fffffff, v2
	v_mov_b32_e32 v7, v53
	v_cmp_gt_u64_e32 vcc, s[40:41], v[6:7]
	s_and_saveexec_b64 s[54:55], vcc
	s_cbranch_execz .LBB4_1916
; %bb.1909:                             ;   in Loop: Header=BB4_1703 Depth=2
	v_cmp_ne_u32_e32 vcc, 0, v2
	v_mov_b32_e32 v22, 0
	s_and_saveexec_b64 s[56:57], vcc
	s_cbranch_execz .LBB4_1915
; %bb.1910:                             ;   in Loop: Header=BB4_1703 Depth=2
	v_bfe_u32 v2, v2, 23, 8
	v_sub_u32_e32 v5, 0x79, v2
	v_cmp_gt_u32_e32 vcc, s72, v2
	v_add_u32_e32 v3, 0xffffff81, v2
	v_cndmask_b32_e32 v5, 0, v5, vcc
	v_cmp_eq_u32_e32 vcc, 0, v2
	v_mov_b32_e32 v2, 0xffffff82
	v_cndmask_b32_e32 v18, v3, v2, vcc
	v_mov_b32_e32 v2, 0x78
	v_or_b32_e32 v6, 0x800000, v52
	v_cndmask_b32_e32 v5, v5, v2, vcc
	v_cndmask_b32_e32 v52, v6, v52, vcc
	v_add_u32_e32 v2, 20, v5
	v_lshlrev_b64 v[2:3], v2, -1
	v_lshrrev_b64 v[8:9], v5, v[52:53]
	v_not_b32_e32 v3, v3
	v_not_b32_e32 v2, v2
	v_add_u32_e32 v6, 19, v5
	v_lshrrev_b32_e32 v22, 23, v8
	v_and_b32_e32 v3, 0, v3
	v_and_b32_e32 v2, v52, v2
	v_lshlrev_b64 v[6:7], v6, 1
	v_add3_u32 v22, v5, v18, v22
	v_bfe_u32 v5, v8, 20, 1
	v_add_u32_e32 v5, -1, v5
	v_cmp_eq_u64_e32 vcc, v[2:3], v[6:7]
	v_cndmask_b32_e32 v2, 0, v5, vcc
	v_add_u32_e32 v2, v2, v8
	v_and_b32_e32 v2, 0xfffff, v2
	v_add_co_u32_e32 v2, vcc, v2, v8
	v_add_u32_e32 v18, 6, v22
	v_addc_co_u32_e32 v3, vcc, 0, v9, vcc
	v_cmp_ne_u32_e32 vcc, 0, v18
                                        ; implicit-def: $vgpr5
	s_and_saveexec_b64 s[18:19], vcc
	s_xor_b64 s[18:19], exec, s[18:19]
; %bb.1911:                             ;   in Loop: Header=BB4_1703 Depth=2
	v_cmp_lt_u64_e32 vcc, s[44:45], v[2:3]
	v_add_u32_e32 v5, 7, v22
	v_cndmask_b32_e64 v6, 0, 1, vcc
	v_cndmask_b32_e32 v5, v18, v5, vcc
	v_lshrrev_b64 v[2:3], v6, v[2:3]
; %bb.1912:                             ;   in Loop: Header=BB4_1703 Depth=2
	s_andn2_saveexec_b64 s[18:19], s[18:19]
; %bb.1913:                             ;   in Loop: Header=BB4_1703 Depth=2
	v_bfe_u32 v5, v2, 23, 1
; %bb.1914:                             ;   in Loop: Header=BB4_1703 Depth=2
	s_or_b64 exec, exec, s[18:19]
	v_lshrrev_b64 v[2:3], 20, v[2:3]
	v_cmp_gt_i32_e32 vcc, 16, v5
	v_cndmask_b32_e32 v3, 0, v3, vcc
	v_cndmask_b32_e32 v2, 7, v2, vcc
	v_cmp_eq_u64_e64 s[18:19], 0, v[2:3]
	v_min_i32_e32 v3, 15, v5
	v_cmp_eq_u32_e32 vcc, 0, v5
	v_lshlrev_b32_e32 v3, 3, v3
	v_and_or_b32 v2, v2, 7, v3
	s_and_b64 s[18:19], vcc, s[18:19]
	v_cndmask_b32_e64 v2, v2, 0, s[18:19]
	v_or_b32_e32 v22, v2, v4
.LBB4_1915:                             ;   in Loop: Header=BB4_1703 Depth=2
	s_or_b64 exec, exec, s[56:57]
.LBB4_1916:                             ;   in Loop: Header=BB4_1703 Depth=2
	s_or_b64 exec, exec, s[54:55]
                                        ; implicit-def: $vgpr2
.LBB4_1917:                             ;   in Loop: Header=BB4_1703 Depth=2
	s_andn2_saveexec_b64 s[18:19], s[52:53]
; %bb.1918:                             ;   in Loop: Header=BB4_1703 Depth=2
	v_or_b32_sdwa v2, v2, s71 dst_sel:DWORD dst_unused:UNUSED_PAD src0_sel:BYTE_3 src1_sel:DWORD
	v_cmp_eq_u64_e32 vcc, 0, v[52:53]
	v_cndmask_b32_e32 v22, v2, v22, vcc
; %bb.1919:                             ;   in Loop: Header=BB4_1703 Depth=2
	s_or_b64 exec, exec, s[18:19]
	v_lshrrev_b16_e32 v2, 8, v24
	v_cmp_ne_u16_e32 vcc, 0, v2
	v_mov_b32_e32 v3, 0
	v_mov_b32_e32 v4, 0
	s_and_saveexec_b64 s[18:19], vcc
	s_cbranch_execz .LBB4_1925
; %bb.1920:                             ;   in Loop: Header=BB4_1703 Depth=2
	v_cmp_ne_u16_e32 vcc, s69, v2
	v_bfrev_b32_e32 v4, 1
	s_and_saveexec_b64 s[52:53], vcc
	s_cbranch_execz .LBB4_1924
; %bb.1921:                             ;   in Loop: Header=BB4_1703 Depth=2
	v_and_b32_e32 v5, 0x7f, v2
	v_cmp_ne_u32_e32 vcc, s71, v5
	v_mov_b32_e32 v4, 0x7f800001
	s_and_saveexec_b64 s[54:55], vcc
	s_cbranch_execz .LBB4_1923
; %bb.1922:                             ;   in Loop: Header=BB4_1703 Depth=2
	v_and_b32_e32 v4, 7, v2
	v_ffbh_u32_e32 v6, v4
	v_min_u32_e32 v9, 32, v6
	v_subrev_u32_e32 v6, 28, v9
	v_lshlrev_b64 v[6:7], v6, v[2:3]
	v_lshrrev_b32_e32 v8, 3, v5
	v_sub_u32_e32 v2, 29, v9
	v_and_b32_e32 v6, 7, v6
	v_cmp_gt_u32_e32 vcc, 8, v5
	v_cndmask_b32_e32 v2, v8, v2, vcc
	v_cndmask_b32_e32 v4, v4, v6, vcc
	v_lshlrev_b32_e32 v5, 16, v24
	v_lshlrev_b32_e32 v4, 20, v4
	v_and_b32_e32 v5, 0x80000000, v5
	v_lshl_add_u32 v2, v2, 23, v27
	v_or3_b32 v4, v5, v2, v4
.LBB4_1923:                             ;   in Loop: Header=BB4_1703 Depth=2
	s_or_b64 exec, exec, s[54:55]
.LBB4_1924:                             ;   in Loop: Header=BB4_1703 Depth=2
	s_or_b64 exec, exec, s[52:53]
.LBB4_1925:                             ;   in Loop: Header=BB4_1703 Depth=2
	s_or_b64 exec, exec, s[18:19]
	v_lshrrev_b16_e32 v2, 8, v20
	v_cmp_ne_u16_e32 vcc, 0, v2
	s_and_saveexec_b64 s[18:19], vcc
	s_cbranch_execz .LBB4_1931
; %bb.1926:                             ;   in Loop: Header=BB4_1703 Depth=2
	v_cmp_ne_u16_e32 vcc, s69, v2
	v_bfrev_b32_e32 v3, 1
	s_and_saveexec_b64 s[52:53], vcc
	s_cbranch_execz .LBB4_1930
; %bb.1927:                             ;   in Loop: Header=BB4_1703 Depth=2
	v_and_b32_e32 v5, 0x7f, v2
	v_cmp_ne_u32_e32 vcc, s71, v5
	v_mov_b32_e32 v3, 0x7f800001
	s_and_saveexec_b64 s[54:55], vcc
	s_cbranch_execz .LBB4_1929
; %bb.1928:                             ;   in Loop: Header=BB4_1703 Depth=2
	v_and_b32_e32 v6, 7, v2
	v_ffbh_u32_e32 v3, v6
	v_min_u32_e32 v8, 32, v3
	v_subrev_u32_e32 v3, 28, v8
	v_lshlrev_b64 v[2:3], v3, v[2:3]
	v_lshrrev_b32_e32 v7, 3, v5
	v_sub_u32_e32 v3, 29, v8
	v_and_b32_e32 v2, 7, v2
	v_cmp_gt_u32_e32 vcc, 8, v5
	v_cndmask_b32_e32 v3, v7, v3, vcc
	v_cndmask_b32_e32 v2, v6, v2, vcc
	v_lshlrev_b32_e32 v5, 16, v20
	v_lshlrev_b32_e32 v2, 20, v2
	v_and_b32_e32 v5, 0x80000000, v5
	v_lshl_add_u32 v3, v3, 23, v27
	v_or3_b32 v3, v5, v3, v2
.LBB4_1929:                             ;   in Loop: Header=BB4_1703 Depth=2
	s_or_b64 exec, exec, s[54:55]
.LBB4_1930:                             ;   in Loop: Header=BB4_1703 Depth=2
	s_or_b64 exec, exec, s[52:53]
.LBB4_1931:                             ;   in Loop: Header=BB4_1703 Depth=2
	s_or_b64 exec, exec, s[18:19]
	v_add_f32_e32 v2, v4, v3
	v_and_b32_sdwa v4, v2, s69 dst_sel:DWORD dst_unused:UNUSED_PAD src0_sel:BYTE_3 src1_sel:DWORD
	v_and_b32_e32 v6, 0x7f800000, v2
	v_mov_b32_e32 v7, v53
	v_and_b32_e32 v52, 0x7fffff, v2
	v_or_b32_e32 v23, 0x7e, v4
	v_cmp_ne_u64_e32 vcc, s[38:39], v[6:7]
	s_and_saveexec_b64 s[18:19], vcc
	s_xor_b64 s[52:53], exec, s[18:19]
	s_cbranch_execz .LBB4_1941
; %bb.1932:                             ;   in Loop: Header=BB4_1703 Depth=2
	v_and_b32_e32 v6, 0x7fffffff, v2
	v_mov_b32_e32 v7, v53
	v_cmp_gt_u64_e32 vcc, s[40:41], v[6:7]
	s_and_saveexec_b64 s[54:55], vcc
	s_cbranch_execz .LBB4_1940
; %bb.1933:                             ;   in Loop: Header=BB4_1703 Depth=2
	v_cmp_ne_u32_e32 vcc, 0, v2
	v_mov_b32_e32 v23, 0
	s_and_saveexec_b64 s[56:57], vcc
	s_cbranch_execz .LBB4_1939
; %bb.1934:                             ;   in Loop: Header=BB4_1703 Depth=2
	v_bfe_u32 v2, v2, 23, 8
	v_sub_u32_e32 v5, 0x79, v2
	v_cmp_gt_u32_e32 vcc, s72, v2
	v_add_u32_e32 v3, 0xffffff81, v2
	v_cndmask_b32_e32 v5, 0, v5, vcc
	v_cmp_eq_u32_e32 vcc, 0, v2
	v_mov_b32_e32 v2, 0xffffff82
	v_cndmask_b32_e32 v18, v3, v2, vcc
	v_mov_b32_e32 v2, 0x78
	v_or_b32_e32 v6, 0x800000, v52
	v_cndmask_b32_e32 v5, v5, v2, vcc
	v_cndmask_b32_e32 v52, v6, v52, vcc
	v_add_u32_e32 v2, 20, v5
	v_lshlrev_b64 v[2:3], v2, -1
	v_lshrrev_b64 v[8:9], v5, v[52:53]
	v_not_b32_e32 v3, v3
	v_not_b32_e32 v2, v2
	v_add_u32_e32 v6, 19, v5
	v_lshrrev_b32_e32 v23, 23, v8
	v_and_b32_e32 v3, 0, v3
	v_and_b32_e32 v2, v52, v2
	v_lshlrev_b64 v[6:7], v6, 1
	v_add3_u32 v23, v5, v18, v23
	v_bfe_u32 v5, v8, 20, 1
	v_add_u32_e32 v5, -1, v5
	v_cmp_eq_u64_e32 vcc, v[2:3], v[6:7]
	v_cndmask_b32_e32 v2, 0, v5, vcc
	v_add_u32_e32 v2, v2, v8
	v_and_b32_e32 v2, 0xfffff, v2
	v_add_co_u32_e32 v2, vcc, v2, v8
	v_add_u32_e32 v18, 6, v23
	v_addc_co_u32_e32 v3, vcc, 0, v9, vcc
	v_cmp_ne_u32_e32 vcc, 0, v18
                                        ; implicit-def: $vgpr5
	s_and_saveexec_b64 s[18:19], vcc
	s_xor_b64 s[18:19], exec, s[18:19]
; %bb.1935:                             ;   in Loop: Header=BB4_1703 Depth=2
	v_cmp_lt_u64_e32 vcc, s[44:45], v[2:3]
	v_add_u32_e32 v5, 7, v23
	v_cndmask_b32_e64 v6, 0, 1, vcc
	v_cndmask_b32_e32 v5, v18, v5, vcc
	v_lshrrev_b64 v[2:3], v6, v[2:3]
; %bb.1936:                             ;   in Loop: Header=BB4_1703 Depth=2
	s_andn2_saveexec_b64 s[18:19], s[18:19]
; %bb.1937:                             ;   in Loop: Header=BB4_1703 Depth=2
	v_bfe_u32 v5, v2, 23, 1
; %bb.1938:                             ;   in Loop: Header=BB4_1703 Depth=2
	s_or_b64 exec, exec, s[18:19]
	v_lshrrev_b64 v[2:3], 20, v[2:3]
	v_cmp_gt_i32_e32 vcc, 16, v5
	v_cndmask_b32_e32 v3, 0, v3, vcc
	v_cndmask_b32_e32 v2, 7, v2, vcc
	v_cmp_eq_u64_e64 s[18:19], 0, v[2:3]
	v_min_i32_e32 v3, 15, v5
	v_cmp_eq_u32_e32 vcc, 0, v5
	v_lshlrev_b32_e32 v3, 3, v3
	v_and_or_b32 v2, v2, 7, v3
	s_and_b64 s[18:19], vcc, s[18:19]
	v_cndmask_b32_e64 v2, v2, 0, s[18:19]
	v_or_b32_e32 v23, v2, v4
.LBB4_1939:                             ;   in Loop: Header=BB4_1703 Depth=2
	s_or_b64 exec, exec, s[56:57]
.LBB4_1940:                             ;   in Loop: Header=BB4_1703 Depth=2
	s_or_b64 exec, exec, s[54:55]
                                        ; implicit-def: $vgpr2
.LBB4_1941:                             ;   in Loop: Header=BB4_1703 Depth=2
	s_andn2_saveexec_b64 s[18:19], s[52:53]
; %bb.1942:                             ;   in Loop: Header=BB4_1703 Depth=2
	v_or_b32_sdwa v2, v2, s71 dst_sel:DWORD dst_unused:UNUSED_PAD src0_sel:BYTE_3 src1_sel:DWORD
	v_cmp_eq_u64_e32 vcc, 0, v[52:53]
	v_cndmask_b32_e32 v23, v2, v23, vcc
; %bb.1943:                             ;   in Loop: Header=BB4_1703 Depth=2
	s_or_b64 exec, exec, s[18:19]
	v_lshrrev_b32_e32 v2, 16, v24
	v_cmp_ne_u16_sdwa vcc, v2, v53 src0_sel:BYTE_0 src1_sel:DWORD
	v_mov_b32_e32 v3, 0
	v_mov_b32_e32 v4, 0
	s_and_saveexec_b64 s[18:19], vcc
	s_cbranch_execz .LBB4_1949
; %bb.1944:                             ;   in Loop: Header=BB4_1703 Depth=2
	v_cmp_ne_u16_sdwa vcc, v2, s69 src0_sel:BYTE_0 src1_sel:DWORD
	v_bfrev_b32_e32 v4, 1
	s_and_saveexec_b64 s[52:53], vcc
	s_cbranch_execz .LBB4_1948
; %bb.1945:                             ;   in Loop: Header=BB4_1703 Depth=2
	v_bfe_u32 v5, v24, 16, 7
	v_cmp_ne_u32_e32 vcc, s71, v5
	v_mov_b32_e32 v4, 0x7f800001
	s_and_saveexec_b64 s[54:55], vcc
	s_cbranch_execz .LBB4_1947
; %bb.1946:                             ;   in Loop: Header=BB4_1703 Depth=2
	v_and_b32_e32 v4, 7, v2
	v_ffbh_u32_e32 v6, v4
	v_min_u32_e32 v9, 32, v6
	v_subrev_u32_e32 v6, 28, v9
	v_lshlrev_b64 v[6:7], v6, v[2:3]
	v_lshrrev_b32_e32 v8, 3, v5
	v_sub_u32_e32 v7, 29, v9
	v_and_b32_e32 v6, 7, v6
	v_cmp_gt_u32_e32 vcc, 8, v5
	v_cndmask_b32_e32 v5, v8, v7, vcc
	v_cndmask_b32_e32 v4, v4, v6, vcc
	v_lshlrev_b32_e32 v2, 24, v2
	v_lshlrev_b32_e32 v4, 20, v4
	v_and_b32_e32 v2, 0x80000000, v2
	v_lshl_add_u32 v5, v5, 23, v27
	v_or3_b32 v4, v2, v5, v4
.LBB4_1947:                             ;   in Loop: Header=BB4_1703 Depth=2
	s_or_b64 exec, exec, s[54:55]
.LBB4_1948:                             ;   in Loop: Header=BB4_1703 Depth=2
	s_or_b64 exec, exec, s[52:53]
.LBB4_1949:                             ;   in Loop: Header=BB4_1703 Depth=2
	s_or_b64 exec, exec, s[18:19]
	v_lshrrev_b32_e32 v2, 16, v20
	v_cmp_ne_u16_sdwa vcc, v2, v53 src0_sel:BYTE_0 src1_sel:DWORD
	s_and_saveexec_b64 s[18:19], vcc
	s_cbranch_execz .LBB4_1955
; %bb.1950:                             ;   in Loop: Header=BB4_1703 Depth=2
	v_cmp_ne_u16_sdwa vcc, v2, s69 src0_sel:BYTE_0 src1_sel:DWORD
	v_bfrev_b32_e32 v3, 1
	s_and_saveexec_b64 s[52:53], vcc
	s_cbranch_execz .LBB4_1954
; %bb.1951:                             ;   in Loop: Header=BB4_1703 Depth=2
	v_bfe_u32 v5, v20, 16, 7
	v_cmp_ne_u32_e32 vcc, s71, v5
	v_mov_b32_e32 v3, 0x7f800001
	s_and_saveexec_b64 s[54:55], vcc
	s_cbranch_execz .LBB4_1953
; %bb.1952:                             ;   in Loop: Header=BB4_1703 Depth=2
	v_and_b32_e32 v6, 7, v2
	v_ffbh_u32_e32 v3, v6
	v_min_u32_e32 v8, 32, v3
	v_subrev_u32_e32 v3, 28, v8
	v_lshlrev_b64 v[2:3], v3, v[2:3]
	v_lshrrev_b32_e32 v7, 3, v5
	v_sub_u32_e32 v3, 29, v8
	v_and_b32_e32 v2, 7, v2
	v_cmp_gt_u32_e32 vcc, 8, v5
	v_cndmask_b32_e32 v3, v7, v3, vcc
	v_cndmask_b32_e32 v2, v6, v2, vcc
	v_lshlrev_b32_e32 v5, 8, v20
	v_lshlrev_b32_e32 v2, 20, v2
	v_and_b32_e32 v5, 0x80000000, v5
	v_lshl_add_u32 v3, v3, 23, v27
	v_or3_b32 v3, v5, v3, v2
.LBB4_1953:                             ;   in Loop: Header=BB4_1703 Depth=2
	s_or_b64 exec, exec, s[54:55]
.LBB4_1954:                             ;   in Loop: Header=BB4_1703 Depth=2
	s_or_b64 exec, exec, s[52:53]
.LBB4_1955:                             ;   in Loop: Header=BB4_1703 Depth=2
	s_or_b64 exec, exec, s[18:19]
	v_add_f32_e32 v2, v4, v3
	v_and_b32_sdwa v4, v2, s69 dst_sel:DWORD dst_unused:UNUSED_PAD src0_sel:BYTE_3 src1_sel:DWORD
	v_and_b32_e32 v6, 0x7f800000, v2
	v_mov_b32_e32 v7, v53
	v_and_b32_e32 v52, 0x7fffff, v2
	v_or_b32_e32 v31, 0x7e, v4
	v_cmp_ne_u64_e32 vcc, s[38:39], v[6:7]
	s_and_saveexec_b64 s[18:19], vcc
	s_xor_b64 s[52:53], exec, s[18:19]
	s_cbranch_execz .LBB4_1965
; %bb.1956:                             ;   in Loop: Header=BB4_1703 Depth=2
	v_and_b32_e32 v6, 0x7fffffff, v2
	v_mov_b32_e32 v7, v53
	v_cmp_gt_u64_e32 vcc, s[40:41], v[6:7]
	s_and_saveexec_b64 s[54:55], vcc
	s_cbranch_execz .LBB4_1964
; %bb.1957:                             ;   in Loop: Header=BB4_1703 Depth=2
	v_cmp_ne_u32_e32 vcc, 0, v2
	v_mov_b32_e32 v31, 0
	s_and_saveexec_b64 s[56:57], vcc
	s_cbranch_execz .LBB4_1963
; %bb.1958:                             ;   in Loop: Header=BB4_1703 Depth=2
	v_bfe_u32 v2, v2, 23, 8
	v_sub_u32_e32 v5, 0x79, v2
	v_cmp_gt_u32_e32 vcc, s72, v2
	v_add_u32_e32 v3, 0xffffff81, v2
	v_cndmask_b32_e32 v5, 0, v5, vcc
	v_cmp_eq_u32_e32 vcc, 0, v2
	v_mov_b32_e32 v2, 0xffffff82
	v_cndmask_b32_e32 v18, v3, v2, vcc
	v_mov_b32_e32 v2, 0x78
	v_or_b32_e32 v6, 0x800000, v52
	v_cndmask_b32_e32 v5, v5, v2, vcc
	v_cndmask_b32_e32 v52, v6, v52, vcc
	v_add_u32_e32 v2, 20, v5
	v_lshlrev_b64 v[2:3], v2, -1
	v_lshrrev_b64 v[8:9], v5, v[52:53]
	v_not_b32_e32 v3, v3
	v_not_b32_e32 v2, v2
	v_add_u32_e32 v6, 19, v5
	v_lshrrev_b32_e32 v26, 23, v8
	v_and_b32_e32 v3, 0, v3
	v_and_b32_e32 v2, v52, v2
	v_lshlrev_b64 v[6:7], v6, 1
	v_add3_u32 v26, v5, v18, v26
	v_bfe_u32 v5, v8, 20, 1
	v_add_u32_e32 v5, -1, v5
	v_cmp_eq_u64_e32 vcc, v[2:3], v[6:7]
	v_cndmask_b32_e32 v2, 0, v5, vcc
	v_add_u32_e32 v2, v2, v8
	v_and_b32_e32 v2, 0xfffff, v2
	v_add_co_u32_e32 v2, vcc, v2, v8
	v_add_u32_e32 v18, 6, v26
	v_addc_co_u32_e32 v3, vcc, 0, v9, vcc
	v_cmp_ne_u32_e32 vcc, 0, v18
                                        ; implicit-def: $vgpr5
	s_and_saveexec_b64 s[18:19], vcc
	s_xor_b64 s[18:19], exec, s[18:19]
; %bb.1959:                             ;   in Loop: Header=BB4_1703 Depth=2
	v_cmp_lt_u64_e32 vcc, s[44:45], v[2:3]
	v_add_u32_e32 v5, 7, v26
	v_cndmask_b32_e64 v6, 0, 1, vcc
	v_cndmask_b32_e32 v5, v18, v5, vcc
	v_lshrrev_b64 v[2:3], v6, v[2:3]
; %bb.1960:                             ;   in Loop: Header=BB4_1703 Depth=2
	s_andn2_saveexec_b64 s[18:19], s[18:19]
; %bb.1961:                             ;   in Loop: Header=BB4_1703 Depth=2
	v_bfe_u32 v5, v2, 23, 1
; %bb.1962:                             ;   in Loop: Header=BB4_1703 Depth=2
	s_or_b64 exec, exec, s[18:19]
	v_lshrrev_b64 v[2:3], 20, v[2:3]
	v_cmp_gt_i32_e32 vcc, 16, v5
	v_cndmask_b32_e32 v3, 0, v3, vcc
	v_cndmask_b32_e32 v2, 7, v2, vcc
	v_cmp_eq_u64_e64 s[18:19], 0, v[2:3]
	v_min_i32_e32 v3, 15, v5
	v_cmp_eq_u32_e32 vcc, 0, v5
	v_lshlrev_b32_e32 v3, 3, v3
	v_and_or_b32 v2, v2, 7, v3
	s_and_b64 s[18:19], vcc, s[18:19]
	v_cndmask_b32_e64 v2, v2, 0, s[18:19]
	v_or_b32_e32 v31, v2, v4
.LBB4_1963:                             ;   in Loop: Header=BB4_1703 Depth=2
	s_or_b64 exec, exec, s[56:57]
.LBB4_1964:                             ;   in Loop: Header=BB4_1703 Depth=2
	s_or_b64 exec, exec, s[54:55]
                                        ; implicit-def: $vgpr2
.LBB4_1965:                             ;   in Loop: Header=BB4_1703 Depth=2
	s_andn2_saveexec_b64 s[18:19], s[52:53]
; %bb.1966:                             ;   in Loop: Header=BB4_1703 Depth=2
	v_or_b32_sdwa v2, v2, s71 dst_sel:DWORD dst_unused:UNUSED_PAD src0_sel:BYTE_3 src1_sel:DWORD
	v_cmp_eq_u64_e32 vcc, 0, v[52:53]
	v_cndmask_b32_e32 v31, v2, v31, vcc
; %bb.1967:                             ;   in Loop: Header=BB4_1703 Depth=2
	s_or_b64 exec, exec, s[18:19]
	v_cmp_lt_u32_e32 vcc, s43, v24
	v_mov_b32_e32 v3, 0
	v_mov_b32_e32 v4, 0
	s_and_saveexec_b64 s[18:19], vcc
	s_cbranch_execz .LBB4_1973
; %bb.1968:                             ;   in Loop: Header=BB4_1703 Depth=2
	v_lshrrev_b32_e32 v2, 24, v24
	v_cmp_ne_u32_e32 vcc, s69, v2
	v_bfrev_b32_e32 v4, 1
	s_and_saveexec_b64 s[52:53], vcc
	s_cbranch_execz .LBB4_1972
; %bb.1969:                             ;   in Loop: Header=BB4_1703 Depth=2
	v_bfe_u32 v5, v24, 24, 7
	v_cmp_ne_u32_e32 vcc, s71, v5
	v_mov_b32_e32 v4, 0x7f800001
	s_and_saveexec_b64 s[54:55], vcc
	s_cbranch_execz .LBB4_1971
; %bb.1970:                             ;   in Loop: Header=BB4_1703 Depth=2
	v_and_b32_e32 v4, 7, v2
	v_ffbh_u32_e32 v6, v4
	v_min_u32_e32 v9, 32, v6
	v_subrev_u32_e32 v6, 28, v9
	v_lshlrev_b64 v[6:7], v6, v[2:3]
	v_lshrrev_b32_e32 v8, 3, v5
	v_sub_u32_e32 v7, 29, v9
	v_and_b32_e32 v6, 7, v6
	v_cmp_gt_u32_e32 vcc, 8, v5
	v_cndmask_b32_e32 v5, v8, v7, vcc
	v_cndmask_b32_e32 v4, v4, v6, vcc
	v_lshlrev_b32_e32 v2, 24, v2
	v_lshlrev_b32_e32 v4, 20, v4
	v_and_b32_e32 v2, 0x80000000, v2
	v_lshl_add_u32 v5, v5, 23, v27
	v_or3_b32 v4, v2, v5, v4
.LBB4_1971:                             ;   in Loop: Header=BB4_1703 Depth=2
	s_or_b64 exec, exec, s[54:55]
.LBB4_1972:                             ;   in Loop: Header=BB4_1703 Depth=2
	s_or_b64 exec, exec, s[52:53]
.LBB4_1973:                             ;   in Loop: Header=BB4_1703 Depth=2
	s_or_b64 exec, exec, s[18:19]
	v_cmp_lt_u32_e32 vcc, s43, v20
	s_and_saveexec_b64 s[18:19], vcc
	s_cbranch_execz .LBB4_1979
; %bb.1974:                             ;   in Loop: Header=BB4_1703 Depth=2
	v_lshrrev_b32_e32 v2, 24, v20
	v_cmp_ne_u32_e32 vcc, s69, v2
	v_bfrev_b32_e32 v3, 1
	s_and_saveexec_b64 s[52:53], vcc
	s_cbranch_execz .LBB4_1978
; %bb.1975:                             ;   in Loop: Header=BB4_1703 Depth=2
	v_bfe_u32 v5, v20, 24, 7
	v_cmp_ne_u32_e32 vcc, s71, v5
	v_mov_b32_e32 v3, 0x7f800001
	s_and_saveexec_b64 s[54:55], vcc
	s_cbranch_execz .LBB4_1977
; %bb.1976:                             ;   in Loop: Header=BB4_1703 Depth=2
	v_and_b32_e32 v3, 7, v2
	v_ffbh_u32_e32 v6, v3
	v_min_u32_e32 v9, 32, v6
	v_subrev_u32_e32 v6, 28, v9
	v_lshlrev_b64 v[6:7], v6, v[2:3]
	v_lshrrev_b32_e32 v8, 3, v5
	v_sub_u32_e32 v7, 29, v9
	v_and_b32_e32 v6, 7, v6
	v_cmp_gt_u32_e32 vcc, 8, v5
	v_cndmask_b32_e32 v5, v8, v7, vcc
	v_cndmask_b32_e32 v3, v3, v6, vcc
	v_lshlrev_b32_e32 v2, 24, v2
	v_lshlrev_b32_e32 v3, 20, v3
	v_and_b32_e32 v2, 0x80000000, v2
	v_lshl_add_u32 v5, v5, 23, v27
	v_or3_b32 v3, v2, v5, v3
.LBB4_1977:                             ;   in Loop: Header=BB4_1703 Depth=2
	s_or_b64 exec, exec, s[54:55]
.LBB4_1978:                             ;   in Loop: Header=BB4_1703 Depth=2
	s_or_b64 exec, exec, s[52:53]
.LBB4_1979:                             ;   in Loop: Header=BB4_1703 Depth=2
	s_or_b64 exec, exec, s[18:19]
	v_add_f32_e32 v2, v4, v3
	v_and_b32_sdwa v4, v2, s69 dst_sel:DWORD dst_unused:UNUSED_PAD src0_sel:BYTE_3 src1_sel:DWORD
	v_and_b32_e32 v6, 0x7f800000, v2
	v_mov_b32_e32 v7, v53
	v_and_b32_e32 v52, 0x7fffff, v2
	v_or_b32_e32 v41, 0x7e, v4
	v_cmp_ne_u64_e32 vcc, s[38:39], v[6:7]
	s_and_saveexec_b64 s[18:19], vcc
	s_xor_b64 s[52:53], exec, s[18:19]
	s_cbranch_execz .LBB4_1989
; %bb.1980:                             ;   in Loop: Header=BB4_1703 Depth=2
	v_and_b32_e32 v6, 0x7fffffff, v2
	v_mov_b32_e32 v7, v53
	v_cmp_gt_u64_e32 vcc, s[40:41], v[6:7]
	s_and_saveexec_b64 s[54:55], vcc
	s_cbranch_execz .LBB4_1988
; %bb.1981:                             ;   in Loop: Header=BB4_1703 Depth=2
	v_cmp_ne_u32_e32 vcc, 0, v2
	v_mov_b32_e32 v41, 0
	s_and_saveexec_b64 s[56:57], vcc
	s_cbranch_execz .LBB4_1987
; %bb.1982:                             ;   in Loop: Header=BB4_1703 Depth=2
	v_bfe_u32 v2, v2, 23, 8
	v_sub_u32_e32 v5, 0x79, v2
	v_cmp_gt_u32_e32 vcc, s72, v2
	v_add_u32_e32 v3, 0xffffff81, v2
	v_cndmask_b32_e32 v5, 0, v5, vcc
	v_cmp_eq_u32_e32 vcc, 0, v2
	v_mov_b32_e32 v2, 0xffffff82
	v_cndmask_b32_e32 v18, v3, v2, vcc
	v_mov_b32_e32 v2, 0x78
	v_or_b32_e32 v6, 0x800000, v52
	v_cndmask_b32_e32 v5, v5, v2, vcc
	v_cndmask_b32_e32 v52, v6, v52, vcc
	v_add_u32_e32 v2, 20, v5
	v_lshlrev_b64 v[2:3], v2, -1
	v_lshrrev_b64 v[8:9], v5, v[52:53]
	v_not_b32_e32 v3, v3
	v_not_b32_e32 v2, v2
	v_add_u32_e32 v6, 19, v5
	v_lshrrev_b32_e32 v26, 23, v8
	v_and_b32_e32 v3, 0, v3
	v_and_b32_e32 v2, v52, v2
	v_lshlrev_b64 v[6:7], v6, 1
	v_add3_u32 v26, v5, v18, v26
	v_bfe_u32 v5, v8, 20, 1
	v_add_u32_e32 v5, -1, v5
	v_cmp_eq_u64_e32 vcc, v[2:3], v[6:7]
	v_cndmask_b32_e32 v2, 0, v5, vcc
	v_add_u32_e32 v2, v2, v8
	v_and_b32_e32 v2, 0xfffff, v2
	v_add_co_u32_e32 v2, vcc, v2, v8
	v_add_u32_e32 v18, 6, v26
	v_addc_co_u32_e32 v3, vcc, 0, v9, vcc
	v_cmp_ne_u32_e32 vcc, 0, v18
                                        ; implicit-def: $vgpr5
	s_and_saveexec_b64 s[18:19], vcc
	s_xor_b64 s[18:19], exec, s[18:19]
; %bb.1983:                             ;   in Loop: Header=BB4_1703 Depth=2
	v_cmp_lt_u64_e32 vcc, s[44:45], v[2:3]
	v_add_u32_e32 v5, 7, v26
	v_cndmask_b32_e64 v6, 0, 1, vcc
	v_cndmask_b32_e32 v5, v18, v5, vcc
	v_lshrrev_b64 v[2:3], v6, v[2:3]
; %bb.1984:                             ;   in Loop: Header=BB4_1703 Depth=2
	s_andn2_saveexec_b64 s[18:19], s[18:19]
; %bb.1985:                             ;   in Loop: Header=BB4_1703 Depth=2
	v_bfe_u32 v5, v2, 23, 1
; %bb.1986:                             ;   in Loop: Header=BB4_1703 Depth=2
	s_or_b64 exec, exec, s[18:19]
	v_lshrrev_b64 v[2:3], 20, v[2:3]
	v_cmp_gt_i32_e32 vcc, 16, v5
	v_cndmask_b32_e32 v3, 0, v3, vcc
	v_cndmask_b32_e32 v2, 7, v2, vcc
	v_cmp_eq_u64_e64 s[18:19], 0, v[2:3]
	v_min_i32_e32 v3, 15, v5
	v_cmp_eq_u32_e32 vcc, 0, v5
	v_lshlrev_b32_e32 v3, 3, v3
	v_and_or_b32 v2, v2, 7, v3
	s_and_b64 s[18:19], vcc, s[18:19]
	v_cndmask_b32_e64 v2, v2, 0, s[18:19]
	v_or_b32_e32 v41, v2, v4
.LBB4_1987:                             ;   in Loop: Header=BB4_1703 Depth=2
	s_or_b64 exec, exec, s[56:57]
.LBB4_1988:                             ;   in Loop: Header=BB4_1703 Depth=2
	s_or_b64 exec, exec, s[54:55]
                                        ; implicit-def: $vgpr2
.LBB4_1989:                             ;   in Loop: Header=BB4_1703 Depth=2
	s_andn2_saveexec_b64 s[18:19], s[52:53]
; %bb.1990:                             ;   in Loop: Header=BB4_1703 Depth=2
	v_or_b32_sdwa v2, v2, s71 dst_sel:DWORD dst_unused:UNUSED_PAD src0_sel:BYTE_3 src1_sel:DWORD
	v_cmp_eq_u64_e32 vcc, 0, v[52:53]
	v_cndmask_b32_e32 v41, v2, v41, vcc
; %bb.1991:                             ;   in Loop: Header=BB4_1703 Depth=2
	s_or_b64 exec, exec, s[18:19]
	v_mov_b32_e32 v52, v25
	v_cmp_ne_u16_sdwa vcc, v25, v53 src0_sel:BYTE_0 src1_sel:DWORD
	v_mov_b32_e32 v3, 0
	v_mov_b32_e32 v2, 0
	s_and_saveexec_b64 s[18:19], vcc
	s_cbranch_execz .LBB4_1997
; %bb.1992:                             ;   in Loop: Header=BB4_1703 Depth=2
	v_cmp_ne_u16_sdwa vcc, v25, s69 src0_sel:BYTE_0 src1_sel:DWORD
	v_bfrev_b32_e32 v2, 1
	s_and_saveexec_b64 s[52:53], vcc
	s_cbranch_execz .LBB4_1996
; %bb.1993:                             ;   in Loop: Header=BB4_1703 Depth=2
	v_and_b32_e32 v4, 0x7f, v25
	v_cmp_ne_u32_e32 vcc, s71, v4
	v_mov_b32_e32 v2, 0x7f800001
	s_and_saveexec_b64 s[54:55], vcc
	s_cbranch_execz .LBB4_1995
; %bb.1994:                             ;   in Loop: Header=BB4_1703 Depth=2
	v_and_b32_e32 v2, 7, v25
	v_ffbh_u32_e32 v2, v2
	v_min_u32_e32 v2, 32, v2
	v_subrev_u32_e32 v6, 28, v2
	v_cmp_gt_u32_e32 vcc, 8, v4
	v_lshrrev_b32_e32 v5, 3, v4
	v_sub_u32_e32 v2, 29, v2
	v_cndmask_b32_e32 v4, 0, v6, vcc
	v_cndmask_b32_e32 v2, v5, v2, vcc
	v_lshlrev_b64 v[4:5], v4, v[52:53]
	v_lshlrev_b32_e32 v4, 20, v4
	v_lshlrev_b32_e32 v5, 24, v52
	v_and_b32_e32 v4, 0x700000, v4
	v_and_b32_e32 v5, 0x80000000, v5
	v_lshl_add_u32 v2, v2, 23, v27
	v_or3_b32 v2, v5, v2, v4
.LBB4_1995:                             ;   in Loop: Header=BB4_1703 Depth=2
	s_or_b64 exec, exec, s[54:55]
.LBB4_1996:                             ;   in Loop: Header=BB4_1703 Depth=2
	s_or_b64 exec, exec, s[52:53]
.LBB4_1997:                             ;   in Loop: Header=BB4_1703 Depth=2
	s_or_b64 exec, exec, s[18:19]
	v_cmp_ne_u16_sdwa vcc, v21, v53 src0_sel:BYTE_0 src1_sel:DWORD
	s_and_saveexec_b64 s[18:19], vcc
	s_cbranch_execz .LBB4_2003
; %bb.1998:                             ;   in Loop: Header=BB4_1703 Depth=2
	v_cmp_ne_u16_sdwa vcc, v21, s69 src0_sel:BYTE_0 src1_sel:DWORD
	v_bfrev_b32_e32 v3, 1
	s_and_saveexec_b64 s[52:53], vcc
	s_cbranch_execz .LBB4_2002
; %bb.1999:                             ;   in Loop: Header=BB4_1703 Depth=2
	v_and_b32_e32 v4, 0x7f, v21
	v_cmp_ne_u32_e32 vcc, s71, v4
	v_mov_b32_e32 v3, 0x7f800001
	s_and_saveexec_b64 s[54:55], vcc
	s_cbranch_execz .LBB4_2001
; %bb.2000:                             ;   in Loop: Header=BB4_1703 Depth=2
	v_and_b32_e32 v3, 7, v21
	v_ffbh_u32_e32 v3, v3
	v_min_u32_e32 v3, 32, v3
	v_subrev_u32_e32 v8, 28, v3
	v_cmp_gt_u32_e32 vcc, 8, v4
	v_mov_b32_e32 v6, v21
	v_mov_b32_e32 v7, v53
	v_lshrrev_b32_e32 v5, 3, v4
	v_sub_u32_e32 v3, 29, v3
	v_cndmask_b32_e32 v4, 0, v8, vcc
	v_cndmask_b32_e32 v3, v5, v3, vcc
	v_lshlrev_b64 v[4:5], v4, v[6:7]
	v_lshlrev_b32_e32 v4, 20, v4
	v_lshlrev_b32_e32 v5, 24, v6
	v_and_b32_e32 v4, 0x700000, v4
	v_and_b32_e32 v5, 0x80000000, v5
	v_lshl_add_u32 v3, v3, 23, v27
	v_or3_b32 v3, v5, v3, v4
.LBB4_2001:                             ;   in Loop: Header=BB4_1703 Depth=2
	s_or_b64 exec, exec, s[54:55]
.LBB4_2002:                             ;   in Loop: Header=BB4_1703 Depth=2
	s_or_b64 exec, exec, s[52:53]
.LBB4_2003:                             ;   in Loop: Header=BB4_1703 Depth=2
	s_or_b64 exec, exec, s[18:19]
	v_add_f32_e32 v5, v2, v3
	v_and_b32_sdwa v4, v5, s69 dst_sel:DWORD dst_unused:UNUSED_PAD src0_sel:BYTE_3 src1_sel:DWORD
	v_and_b32_e32 v6, 0x7f800000, v5
	v_mov_b32_e32 v7, v53
	v_and_b32_e32 v2, 0x7fffff, v5
	v_mov_b32_e32 v3, v53
	v_or_b32_e32 v50, 0x7e, v4
	v_cmp_ne_u64_e32 vcc, s[38:39], v[6:7]
	s_and_saveexec_b64 s[18:19], vcc
	s_xor_b64 s[52:53], exec, s[18:19]
	s_cbranch_execz .LBB4_2013
; %bb.2004:                             ;   in Loop: Header=BB4_1703 Depth=2
	v_and_b32_e32 v6, 0x7fffffff, v5
	v_mov_b32_e32 v7, v53
	v_cmp_gt_u64_e32 vcc, s[40:41], v[6:7]
	s_and_saveexec_b64 s[54:55], vcc
	s_cbranch_execz .LBB4_2012
; %bb.2005:                             ;   in Loop: Header=BB4_1703 Depth=2
	v_cmp_ne_u32_e32 vcc, 0, v5
	v_mov_b32_e32 v50, 0
	s_and_saveexec_b64 s[56:57], vcc
	s_cbranch_execz .LBB4_2011
; %bb.2006:                             ;   in Loop: Header=BB4_1703 Depth=2
	v_bfe_u32 v5, v5, 23, 8
	v_sub_u32_e32 v7, 0x79, v5
	v_cmp_gt_u32_e32 vcc, s72, v5
	v_add_u32_e32 v6, 0xffffff81, v5
	v_cndmask_b32_e32 v7, 0, v7, vcc
	v_cmp_eq_u32_e32 vcc, 0, v5
	v_mov_b32_e32 v5, 0xffffff82
	v_cndmask_b32_e32 v5, v6, v5, vcc
	v_mov_b32_e32 v6, 0x78
	v_cndmask_b32_e32 v18, v7, v6, vcc
	v_add_u32_e32 v6, 20, v18
	v_or_b32_e32 v8, 0x800000, v2
	v_lshlrev_b64 v[6:7], v6, -1
	v_cndmask_b32_e32 v2, v8, v2, vcc
	v_not_b32_e32 v6, v6
	v_and_b32_e32 v6, v2, v6
	v_lshrrev_b64 v[2:3], v18, v[2:3]
	v_not_b32_e32 v7, v7
	v_add_u32_e32 v8, 19, v18
	v_lshrrev_b32_e32 v26, 23, v2
	v_and_b32_e32 v7, 0, v7
	v_lshlrev_b64 v[8:9], v8, 1
	v_add3_u32 v26, v18, v5, v26
	v_bfe_u32 v5, v2, 20, 1
	v_add_u32_e32 v5, -1, v5
	v_cmp_eq_u64_e32 vcc, v[6:7], v[8:9]
	v_cndmask_b32_e32 v5, 0, v5, vcc
	v_add_u32_e32 v5, v5, v2
	v_and_b32_e32 v5, 0xfffff, v5
	v_add_co_u32_e32 v2, vcc, v5, v2
	v_add_u32_e32 v18, 6, v26
	v_addc_co_u32_e32 v3, vcc, 0, v3, vcc
	v_cmp_ne_u32_e32 vcc, 0, v18
                                        ; implicit-def: $vgpr5
	s_and_saveexec_b64 s[18:19], vcc
	s_xor_b64 s[18:19], exec, s[18:19]
; %bb.2007:                             ;   in Loop: Header=BB4_1703 Depth=2
	v_cmp_lt_u64_e32 vcc, s[44:45], v[2:3]
	v_add_u32_e32 v5, 7, v26
	v_cndmask_b32_e64 v6, 0, 1, vcc
	v_cndmask_b32_e32 v5, v18, v5, vcc
	v_lshrrev_b64 v[2:3], v6, v[2:3]
; %bb.2008:                             ;   in Loop: Header=BB4_1703 Depth=2
	s_andn2_saveexec_b64 s[18:19], s[18:19]
; %bb.2009:                             ;   in Loop: Header=BB4_1703 Depth=2
	v_bfe_u32 v5, v2, 23, 1
; %bb.2010:                             ;   in Loop: Header=BB4_1703 Depth=2
	s_or_b64 exec, exec, s[18:19]
	v_lshrrev_b64 v[2:3], 20, v[2:3]
	v_cmp_gt_i32_e32 vcc, 16, v5
	v_cndmask_b32_e32 v3, 0, v3, vcc
	v_cndmask_b32_e32 v2, 7, v2, vcc
	v_cmp_eq_u64_e64 s[18:19], 0, v[2:3]
	v_min_i32_e32 v3, 15, v5
	v_cmp_eq_u32_e32 vcc, 0, v5
	v_lshlrev_b32_e32 v3, 3, v3
	v_and_or_b32 v2, v2, 7, v3
	s_and_b64 s[18:19], vcc, s[18:19]
	v_cndmask_b32_e64 v2, v2, 0, s[18:19]
	v_or_b32_e32 v50, v2, v4
.LBB4_2011:                             ;   in Loop: Header=BB4_1703 Depth=2
	s_or_b64 exec, exec, s[56:57]
.LBB4_2012:                             ;   in Loop: Header=BB4_1703 Depth=2
	s_or_b64 exec, exec, s[54:55]
                                        ; implicit-def: $vgpr5
                                        ; implicit-def: $vgpr2_vgpr3
.LBB4_2013:                             ;   in Loop: Header=BB4_1703 Depth=2
	s_andn2_saveexec_b64 s[18:19], s[52:53]
; %bb.2014:                             ;   in Loop: Header=BB4_1703 Depth=2
	v_or_b32_sdwa v4, v5, s71 dst_sel:DWORD dst_unused:UNUSED_PAD src0_sel:BYTE_3 src1_sel:DWORD
	v_cmp_eq_u64_e32 vcc, 0, v[2:3]
	v_cndmask_b32_e32 v50, v4, v50, vcc
; %bb.2015:                             ;   in Loop: Header=BB4_1703 Depth=2
	s_or_b64 exec, exec, s[18:19]
	v_lshrrev_b16_e32 v2, 8, v52
	v_cmp_ne_u16_e32 vcc, 0, v2
	v_mov_b32_e32 v3, 0
	v_mov_b32_e32 v4, 0
	s_and_saveexec_b64 s[18:19], vcc
	s_cbranch_execz .LBB4_2021
; %bb.2016:                             ;   in Loop: Header=BB4_1703 Depth=2
	v_cmp_ne_u16_e32 vcc, s69, v2
	v_bfrev_b32_e32 v4, 1
	s_and_saveexec_b64 s[52:53], vcc
	s_cbranch_execz .LBB4_2020
; %bb.2017:                             ;   in Loop: Header=BB4_1703 Depth=2
	v_and_b32_e32 v5, 0x7f, v2
	v_cmp_ne_u32_e32 vcc, s71, v5
	v_mov_b32_e32 v4, 0x7f800001
	s_and_saveexec_b64 s[54:55], vcc
	s_cbranch_execz .LBB4_2019
; %bb.2018:                             ;   in Loop: Header=BB4_1703 Depth=2
	v_and_b32_e32 v4, 7, v2
	v_ffbh_u32_e32 v6, v4
	v_min_u32_e32 v9, 32, v6
	v_subrev_u32_e32 v6, 28, v9
	v_lshlrev_b64 v[6:7], v6, v[2:3]
	v_lshrrev_b32_e32 v8, 3, v5
	v_sub_u32_e32 v2, 29, v9
	v_and_b32_e32 v6, 7, v6
	v_cmp_gt_u32_e32 vcc, 8, v5
	v_cndmask_b32_e32 v2, v8, v2, vcc
	v_cndmask_b32_e32 v4, v4, v6, vcc
	v_lshlrev_b32_e32 v5, 16, v52
	v_lshlrev_b32_e32 v4, 20, v4
	v_and_b32_e32 v5, 0x80000000, v5
	v_lshl_add_u32 v2, v2, 23, v27
	v_or3_b32 v4, v5, v2, v4
.LBB4_2019:                             ;   in Loop: Header=BB4_1703 Depth=2
	s_or_b64 exec, exec, s[54:55]
.LBB4_2020:                             ;   in Loop: Header=BB4_1703 Depth=2
	s_or_b64 exec, exec, s[52:53]
.LBB4_2021:                             ;   in Loop: Header=BB4_1703 Depth=2
	s_or_b64 exec, exec, s[18:19]
	v_mov_b32_e32 v2, v21
	v_lshrrev_b16_e32 v18, 8, v2
	v_cmp_ne_u16_e32 vcc, 0, v18
	s_and_saveexec_b64 s[18:19], vcc
	s_cbranch_execz .LBB4_2027
; %bb.2022:                             ;   in Loop: Header=BB4_1703 Depth=2
	v_cmp_ne_u16_e32 vcc, s69, v18
	v_bfrev_b32_e32 v3, 1
	s_and_saveexec_b64 s[52:53], vcc
	s_cbranch_execz .LBB4_2026
; %bb.2023:                             ;   in Loop: Header=BB4_1703 Depth=2
	v_and_b32_e32 v5, 0x7f, v18
	v_cmp_ne_u32_e32 vcc, s71, v5
	v_mov_b32_e32 v3, 0x7f800001
	s_and_saveexec_b64 s[54:55], vcc
	s_cbranch_execz .LBB4_2025
; %bb.2024:                             ;   in Loop: Header=BB4_1703 Depth=2
	v_and_b32_e32 v3, 7, v18
	v_ffbh_u32_e32 v6, v3
	v_min_u32_e32 v9, 32, v6
	v_subrev_u32_e32 v6, 28, v9
	v_lshlrev_b64 v[6:7], v6, v[18:19]
	v_lshrrev_b32_e32 v8, 3, v5
	v_sub_u32_e32 v7, 29, v9
	v_and_b32_e32 v6, 7, v6
	v_cmp_gt_u32_e32 vcc, 8, v5
	v_cndmask_b32_e32 v5, v8, v7, vcc
	v_cndmask_b32_e32 v3, v3, v6, vcc
	v_lshlrev_b32_e32 v2, 16, v2
	v_lshlrev_b32_e32 v3, 20, v3
	v_and_b32_e32 v2, 0x80000000, v2
	v_lshl_add_u32 v5, v5, 23, v27
	v_or3_b32 v3, v2, v5, v3
.LBB4_2025:                             ;   in Loop: Header=BB4_1703 Depth=2
	s_or_b64 exec, exec, s[54:55]
.LBB4_2026:                             ;   in Loop: Header=BB4_1703 Depth=2
	s_or_b64 exec, exec, s[52:53]
.LBB4_2027:                             ;   in Loop: Header=BB4_1703 Depth=2
	s_or_b64 exec, exec, s[18:19]
	v_add_f32_e32 v2, v4, v3
	v_and_b32_sdwa v4, v2, s69 dst_sel:DWORD dst_unused:UNUSED_PAD src0_sel:BYTE_3 src1_sel:DWORD
	v_and_b32_e32 v6, 0x7f800000, v2
	v_mov_b32_e32 v7, v53
	v_and_b32_e32 v52, 0x7fffff, v2
	v_or_b32_e32 v44, 0x7e, v4
	v_cmp_ne_u64_e32 vcc, s[38:39], v[6:7]
	s_and_saveexec_b64 s[18:19], vcc
	s_xor_b64 s[52:53], exec, s[18:19]
	s_cbranch_execz .LBB4_2037
; %bb.2028:                             ;   in Loop: Header=BB4_1703 Depth=2
	v_and_b32_e32 v6, 0x7fffffff, v2
	v_mov_b32_e32 v7, v53
	v_cmp_gt_u64_e32 vcc, s[40:41], v[6:7]
	s_and_saveexec_b64 s[54:55], vcc
	s_cbranch_execz .LBB4_2036
; %bb.2029:                             ;   in Loop: Header=BB4_1703 Depth=2
	v_cmp_ne_u32_e32 vcc, 0, v2
	v_mov_b32_e32 v44, 0
	s_and_saveexec_b64 s[56:57], vcc
	s_cbranch_execz .LBB4_2035
; %bb.2030:                             ;   in Loop: Header=BB4_1703 Depth=2
	v_bfe_u32 v2, v2, 23, 8
	v_sub_u32_e32 v5, 0x79, v2
	v_cmp_gt_u32_e32 vcc, s72, v2
	v_add_u32_e32 v3, 0xffffff81, v2
	v_cndmask_b32_e32 v5, 0, v5, vcc
	v_cmp_eq_u32_e32 vcc, 0, v2
	v_mov_b32_e32 v2, 0xffffff82
	v_cndmask_b32_e32 v18, v3, v2, vcc
	v_mov_b32_e32 v2, 0x78
	v_or_b32_e32 v6, 0x800000, v52
	v_cndmask_b32_e32 v5, v5, v2, vcc
	v_cndmask_b32_e32 v52, v6, v52, vcc
	v_add_u32_e32 v2, 20, v5
	v_lshlrev_b64 v[2:3], v2, -1
	v_lshrrev_b64 v[8:9], v5, v[52:53]
	v_not_b32_e32 v3, v3
	v_not_b32_e32 v2, v2
	v_add_u32_e32 v6, 19, v5
	v_lshrrev_b32_e32 v26, 23, v8
	v_and_b32_e32 v3, 0, v3
	v_and_b32_e32 v2, v52, v2
	v_lshlrev_b64 v[6:7], v6, 1
	v_add3_u32 v26, v5, v18, v26
	v_bfe_u32 v5, v8, 20, 1
	v_add_u32_e32 v5, -1, v5
	v_cmp_eq_u64_e32 vcc, v[2:3], v[6:7]
	v_cndmask_b32_e32 v2, 0, v5, vcc
	v_add_u32_e32 v2, v2, v8
	v_and_b32_e32 v2, 0xfffff, v2
	v_add_co_u32_e32 v2, vcc, v2, v8
	v_add_u32_e32 v18, 6, v26
	v_addc_co_u32_e32 v3, vcc, 0, v9, vcc
	v_cmp_ne_u32_e32 vcc, 0, v18
                                        ; implicit-def: $vgpr5
	s_and_saveexec_b64 s[18:19], vcc
	s_xor_b64 s[18:19], exec, s[18:19]
; %bb.2031:                             ;   in Loop: Header=BB4_1703 Depth=2
	v_cmp_lt_u64_e32 vcc, s[44:45], v[2:3]
	v_add_u32_e32 v5, 7, v26
	v_cndmask_b32_e64 v6, 0, 1, vcc
	v_cndmask_b32_e32 v5, v18, v5, vcc
	v_lshrrev_b64 v[2:3], v6, v[2:3]
; %bb.2032:                             ;   in Loop: Header=BB4_1703 Depth=2
	s_andn2_saveexec_b64 s[18:19], s[18:19]
; %bb.2033:                             ;   in Loop: Header=BB4_1703 Depth=2
	v_bfe_u32 v5, v2, 23, 1
; %bb.2034:                             ;   in Loop: Header=BB4_1703 Depth=2
	s_or_b64 exec, exec, s[18:19]
	v_lshrrev_b64 v[2:3], 20, v[2:3]
	v_cmp_gt_i32_e32 vcc, 16, v5
	v_cndmask_b32_e32 v3, 0, v3, vcc
	v_cndmask_b32_e32 v2, 7, v2, vcc
	v_cmp_eq_u64_e64 s[18:19], 0, v[2:3]
	v_min_i32_e32 v3, 15, v5
	v_cmp_eq_u32_e32 vcc, 0, v5
	v_lshlrev_b32_e32 v3, 3, v3
	v_and_or_b32 v2, v2, 7, v3
	s_and_b64 s[18:19], vcc, s[18:19]
	v_cndmask_b32_e64 v2, v2, 0, s[18:19]
	v_or_b32_e32 v44, v2, v4
.LBB4_2035:                             ;   in Loop: Header=BB4_1703 Depth=2
	s_or_b64 exec, exec, s[56:57]
.LBB4_2036:                             ;   in Loop: Header=BB4_1703 Depth=2
	s_or_b64 exec, exec, s[54:55]
                                        ; implicit-def: $vgpr2
.LBB4_2037:                             ;   in Loop: Header=BB4_1703 Depth=2
	s_andn2_saveexec_b64 s[18:19], s[52:53]
; %bb.2038:                             ;   in Loop: Header=BB4_1703 Depth=2
	v_or_b32_sdwa v2, v2, s71 dst_sel:DWORD dst_unused:UNUSED_PAD src0_sel:BYTE_3 src1_sel:DWORD
	v_cmp_eq_u64_e32 vcc, 0, v[52:53]
	v_cndmask_b32_e32 v44, v2, v44, vcc
; %bb.2039:                             ;   in Loop: Header=BB4_1703 Depth=2
	s_or_b64 exec, exec, s[18:19]
	v_lshrrev_b32_e32 v2, 16, v25
	v_cmp_ne_u16_sdwa vcc, v2, v53 src0_sel:BYTE_0 src1_sel:DWORD
	v_mov_b32_e32 v3, 0
	v_mov_b32_e32 v4, 0
	s_and_saveexec_b64 s[18:19], vcc
	s_cbranch_execz .LBB4_2045
; %bb.2040:                             ;   in Loop: Header=BB4_1703 Depth=2
	v_cmp_ne_u16_sdwa vcc, v2, s69 src0_sel:BYTE_0 src1_sel:DWORD
	v_bfrev_b32_e32 v4, 1
	s_and_saveexec_b64 s[52:53], vcc
	s_cbranch_execz .LBB4_2044
; %bb.2041:                             ;   in Loop: Header=BB4_1703 Depth=2
	v_bfe_u32 v5, v25, 16, 7
	v_cmp_ne_u32_e32 vcc, s71, v5
	v_mov_b32_e32 v4, 0x7f800001
	s_and_saveexec_b64 s[54:55], vcc
	s_cbranch_execz .LBB4_2043
; %bb.2042:                             ;   in Loop: Header=BB4_1703 Depth=2
	v_and_b32_e32 v4, 7, v2
	v_ffbh_u32_e32 v6, v4
	v_min_u32_e32 v9, 32, v6
	v_subrev_u32_e32 v6, 28, v9
	v_lshlrev_b64 v[6:7], v6, v[2:3]
	v_lshrrev_b32_e32 v8, 3, v5
	v_sub_u32_e32 v7, 29, v9
	v_and_b32_e32 v6, 7, v6
	v_cmp_gt_u32_e32 vcc, 8, v5
	v_cndmask_b32_e32 v5, v8, v7, vcc
	v_cndmask_b32_e32 v4, v4, v6, vcc
	v_lshlrev_b32_e32 v2, 24, v2
	v_lshlrev_b32_e32 v4, 20, v4
	v_and_b32_e32 v2, 0x80000000, v2
	v_lshl_add_u32 v5, v5, 23, v27
	v_or3_b32 v4, v2, v5, v4
.LBB4_2043:                             ;   in Loop: Header=BB4_1703 Depth=2
	s_or_b64 exec, exec, s[54:55]
.LBB4_2044:                             ;   in Loop: Header=BB4_1703 Depth=2
	s_or_b64 exec, exec, s[52:53]
.LBB4_2045:                             ;   in Loop: Header=BB4_1703 Depth=2
	s_or_b64 exec, exec, s[18:19]
	v_lshrrev_b32_e32 v2, 16, v21
	v_cmp_ne_u16_sdwa vcc, v2, v53 src0_sel:BYTE_0 src1_sel:DWORD
	s_and_saveexec_b64 s[18:19], vcc
	s_cbranch_execz .LBB4_2051
; %bb.2046:                             ;   in Loop: Header=BB4_1703 Depth=2
	v_cmp_ne_u16_sdwa vcc, v2, s69 src0_sel:BYTE_0 src1_sel:DWORD
	v_bfrev_b32_e32 v3, 1
	s_and_saveexec_b64 s[52:53], vcc
	s_cbranch_execz .LBB4_2050
; %bb.2047:                             ;   in Loop: Header=BB4_1703 Depth=2
	v_bfe_u32 v5, v21, 16, 7
	v_cmp_ne_u32_e32 vcc, s71, v5
	v_mov_b32_e32 v3, 0x7f800001
	s_and_saveexec_b64 s[54:55], vcc
	s_cbranch_execz .LBB4_2049
; %bb.2048:                             ;   in Loop: Header=BB4_1703 Depth=2
	v_and_b32_e32 v6, 7, v2
	v_ffbh_u32_e32 v3, v6
	v_min_u32_e32 v8, 32, v3
	v_subrev_u32_e32 v3, 28, v8
	v_lshlrev_b64 v[2:3], v3, v[2:3]
	v_lshrrev_b32_e32 v7, 3, v5
	v_sub_u32_e32 v3, 29, v8
	v_and_b32_e32 v2, 7, v2
	v_cmp_gt_u32_e32 vcc, 8, v5
	v_cndmask_b32_e32 v3, v7, v3, vcc
	v_cndmask_b32_e32 v2, v6, v2, vcc
	v_lshlrev_b32_e32 v5, 8, v21
	v_lshlrev_b32_e32 v2, 20, v2
	v_and_b32_e32 v5, 0x80000000, v5
	v_lshl_add_u32 v3, v3, 23, v27
	v_or3_b32 v3, v5, v3, v2
.LBB4_2049:                             ;   in Loop: Header=BB4_1703 Depth=2
	s_or_b64 exec, exec, s[54:55]
.LBB4_2050:                             ;   in Loop: Header=BB4_1703 Depth=2
	s_or_b64 exec, exec, s[52:53]
.LBB4_2051:                             ;   in Loop: Header=BB4_1703 Depth=2
	s_or_b64 exec, exec, s[18:19]
	v_add_f32_e32 v2, v4, v3
	v_and_b32_sdwa v4, v2, s69 dst_sel:DWORD dst_unused:UNUSED_PAD src0_sel:BYTE_3 src1_sel:DWORD
	v_and_b32_e32 v6, 0x7f800000, v2
	v_mov_b32_e32 v7, v53
	v_and_b32_e32 v52, 0x7fffff, v2
	v_or_b32_e32 v26, 0x7e, v4
	v_cmp_ne_u64_e32 vcc, s[38:39], v[6:7]
	s_and_saveexec_b64 s[18:19], vcc
	s_xor_b64 s[52:53], exec, s[18:19]
	s_cbranch_execz .LBB4_2061
; %bb.2052:                             ;   in Loop: Header=BB4_1703 Depth=2
	v_and_b32_e32 v6, 0x7fffffff, v2
	v_mov_b32_e32 v7, v53
	v_cmp_gt_u64_e32 vcc, s[40:41], v[6:7]
	s_and_saveexec_b64 s[54:55], vcc
	s_cbranch_execz .LBB4_2060
; %bb.2053:                             ;   in Loop: Header=BB4_1703 Depth=2
	v_cmp_ne_u32_e32 vcc, 0, v2
	v_mov_b32_e32 v26, 0
	s_and_saveexec_b64 s[56:57], vcc
	s_cbranch_execz .LBB4_2059
; %bb.2054:                             ;   in Loop: Header=BB4_1703 Depth=2
	v_bfe_u32 v2, v2, 23, 8
	v_sub_u32_e32 v5, 0x79, v2
	v_cmp_gt_u32_e32 vcc, s72, v2
	v_add_u32_e32 v3, 0xffffff81, v2
	v_cndmask_b32_e32 v5, 0, v5, vcc
	v_cmp_eq_u32_e32 vcc, 0, v2
	v_mov_b32_e32 v2, 0xffffff82
	v_cndmask_b32_e32 v18, v3, v2, vcc
	v_mov_b32_e32 v2, 0x78
	v_or_b32_e32 v6, 0x800000, v52
	v_cndmask_b32_e32 v5, v5, v2, vcc
	v_cndmask_b32_e32 v52, v6, v52, vcc
	v_add_u32_e32 v2, 20, v5
	v_lshlrev_b64 v[2:3], v2, -1
	v_lshrrev_b64 v[8:9], v5, v[52:53]
	v_not_b32_e32 v3, v3
	v_not_b32_e32 v2, v2
	v_add_u32_e32 v6, 19, v5
	v_lshrrev_b32_e32 v26, 23, v8
	v_and_b32_e32 v3, 0, v3
	v_and_b32_e32 v2, v52, v2
	v_lshlrev_b64 v[6:7], v6, 1
	v_add3_u32 v26, v5, v18, v26
	v_bfe_u32 v5, v8, 20, 1
	v_add_u32_e32 v5, -1, v5
	v_cmp_eq_u64_e32 vcc, v[2:3], v[6:7]
	v_cndmask_b32_e32 v2, 0, v5, vcc
	v_add_u32_e32 v2, v2, v8
	v_and_b32_e32 v2, 0xfffff, v2
	v_add_co_u32_e32 v2, vcc, v2, v8
	v_add_u32_e32 v18, 6, v26
	v_addc_co_u32_e32 v3, vcc, 0, v9, vcc
	v_cmp_ne_u32_e32 vcc, 0, v18
                                        ; implicit-def: $vgpr5
	s_and_saveexec_b64 s[18:19], vcc
	s_xor_b64 s[18:19], exec, s[18:19]
; %bb.2055:                             ;   in Loop: Header=BB4_1703 Depth=2
	v_cmp_lt_u64_e32 vcc, s[44:45], v[2:3]
	v_add_u32_e32 v5, 7, v26
	v_cndmask_b32_e64 v6, 0, 1, vcc
	v_cndmask_b32_e32 v5, v18, v5, vcc
	v_lshrrev_b64 v[2:3], v6, v[2:3]
; %bb.2056:                             ;   in Loop: Header=BB4_1703 Depth=2
	s_andn2_saveexec_b64 s[18:19], s[18:19]
; %bb.2057:                             ;   in Loop: Header=BB4_1703 Depth=2
	v_bfe_u32 v5, v2, 23, 1
; %bb.2058:                             ;   in Loop: Header=BB4_1703 Depth=2
	s_or_b64 exec, exec, s[18:19]
	v_lshrrev_b64 v[2:3], 20, v[2:3]
	v_cmp_gt_i32_e32 vcc, 16, v5
	v_cndmask_b32_e32 v3, 0, v3, vcc
	v_cndmask_b32_e32 v2, 7, v2, vcc
	v_cmp_eq_u64_e64 s[18:19], 0, v[2:3]
	v_min_i32_e32 v3, 15, v5
	v_lshlrev_b32_e32 v3, 3, v3
	v_cmp_eq_u32_e32 vcc, 0, v5
	v_and_b32_e32 v3, 0xf8, v3
	v_and_or_b32 v2, v2, 7, v3
	s_and_b64 s[18:19], vcc, s[18:19]
	v_cndmask_b32_e64 v2, v2, 0, s[18:19]
	v_or_b32_e32 v26, v2, v4
.LBB4_2059:                             ;   in Loop: Header=BB4_1703 Depth=2
	s_or_b64 exec, exec, s[56:57]
.LBB4_2060:                             ;   in Loop: Header=BB4_1703 Depth=2
	s_or_b64 exec, exec, s[54:55]
                                        ; implicit-def: $vgpr2
.LBB4_2061:                             ;   in Loop: Header=BB4_1703 Depth=2
	s_andn2_saveexec_b64 s[18:19], s[52:53]
; %bb.2062:                             ;   in Loop: Header=BB4_1703 Depth=2
	v_or_b32_sdwa v2, v2, s71 dst_sel:DWORD dst_unused:UNUSED_PAD src0_sel:BYTE_3 src1_sel:DWORD
	v_cmp_eq_u64_e32 vcc, 0, v[52:53]
	v_cndmask_b32_e32 v26, v2, v26, vcc
; %bb.2063:                             ;   in Loop: Header=BB4_1703 Depth=2
	s_or_b64 exec, exec, s[18:19]
	v_cmp_lt_u64_e32 vcc, s[42:43], v[24:25]
	v_mov_b32_e32 v3, 0
	v_mov_b32_e32 v4, 0
	s_and_saveexec_b64 s[18:19], vcc
	s_cbranch_execz .LBB4_2069
; %bb.2064:                             ;   in Loop: Header=BB4_1703 Depth=2
	v_lshrrev_b32_e32 v2, 24, v25
	v_cmp_ne_u32_e32 vcc, s69, v2
	v_bfrev_b32_e32 v4, 1
	s_and_saveexec_b64 s[52:53], vcc
	s_cbranch_execz .LBB4_2068
; %bb.2065:                             ;   in Loop: Header=BB4_1703 Depth=2
	v_bfe_u32 v5, v25, 24, 7
	v_cmp_ne_u32_e32 vcc, s71, v5
	v_mov_b32_e32 v4, 0x7f800001
	s_and_saveexec_b64 s[54:55], vcc
	s_cbranch_execz .LBB4_2067
; %bb.2066:                             ;   in Loop: Header=BB4_1703 Depth=2
	v_and_b32_e32 v4, 7, v2
	v_ffbh_u32_e32 v6, v4
	v_min_u32_e32 v9, 32, v6
	v_subrev_u32_e32 v6, 28, v9
	v_lshlrev_b64 v[6:7], v6, v[2:3]
	v_lshrrev_b32_e32 v8, 3, v5
	v_sub_u32_e32 v7, 29, v9
	v_and_b32_e32 v6, 7, v6
	v_cmp_gt_u32_e32 vcc, 8, v5
	v_cndmask_b32_e32 v5, v8, v7, vcc
	v_cndmask_b32_e32 v4, v4, v6, vcc
	v_lshlrev_b32_e32 v2, 24, v2
	v_lshlrev_b32_e32 v4, 20, v4
	v_and_b32_e32 v2, 0x80000000, v2
	v_lshl_add_u32 v5, v5, 23, v27
	v_or3_b32 v4, v2, v5, v4
.LBB4_2067:                             ;   in Loop: Header=BB4_1703 Depth=2
	s_or_b64 exec, exec, s[54:55]
.LBB4_2068:                             ;   in Loop: Header=BB4_1703 Depth=2
	s_or_b64 exec, exec, s[52:53]
.LBB4_2069:                             ;   in Loop: Header=BB4_1703 Depth=2
	s_or_b64 exec, exec, s[18:19]
	v_cmp_lt_u64_e32 vcc, s[42:43], v[20:21]
	s_and_saveexec_b64 s[18:19], vcc
	s_cbranch_execz .LBB4_2075
; %bb.2070:                             ;   in Loop: Header=BB4_1703 Depth=2
	v_lshrrev_b32_e32 v2, 24, v21
	v_cmp_ne_u32_e32 vcc, s69, v2
	v_bfrev_b32_e32 v3, 1
	s_and_saveexec_b64 s[52:53], vcc
	s_cbranch_execz .LBB4_2074
; %bb.2071:                             ;   in Loop: Header=BB4_1703 Depth=2
	v_bfe_u32 v5, v21, 24, 7
	v_cmp_ne_u32_e32 vcc, s71, v5
	v_mov_b32_e32 v3, 0x7f800001
	s_and_saveexec_b64 s[54:55], vcc
	s_cbranch_execz .LBB4_2073
; %bb.2072:                             ;   in Loop: Header=BB4_1703 Depth=2
	v_and_b32_e32 v3, 7, v2
	v_ffbh_u32_e32 v6, v3
	v_min_u32_e32 v9, 32, v6
	v_subrev_u32_e32 v6, 28, v9
	v_lshlrev_b64 v[6:7], v6, v[2:3]
	v_lshrrev_b32_e32 v8, 3, v5
	v_sub_u32_e32 v7, 29, v9
	v_and_b32_e32 v6, 7, v6
	v_cmp_gt_u32_e32 vcc, 8, v5
	v_cndmask_b32_e32 v5, v8, v7, vcc
	v_cndmask_b32_e32 v3, v3, v6, vcc
	v_lshlrev_b32_e32 v2, 24, v2
	v_lshlrev_b32_e32 v3, 20, v3
	v_and_b32_e32 v2, 0x80000000, v2
	v_lshl_add_u32 v5, v5, 23, v27
	v_or3_b32 v3, v2, v5, v3
.LBB4_2073:                             ;   in Loop: Header=BB4_1703 Depth=2
	s_or_b64 exec, exec, s[54:55]
.LBB4_2074:                             ;   in Loop: Header=BB4_1703 Depth=2
	s_or_b64 exec, exec, s[52:53]
.LBB4_2075:                             ;   in Loop: Header=BB4_1703 Depth=2
	s_or_b64 exec, exec, s[18:19]
	v_add_f32_e32 v2, v4, v3
	v_and_b32_sdwa v4, v2, s69 dst_sel:DWORD dst_unused:UNUSED_PAD src0_sel:BYTE_3 src1_sel:DWORD
	v_and_b32_e32 v6, 0x7f800000, v2
	v_mov_b32_e32 v7, v53
	v_and_b32_e32 v52, 0x7fffff, v2
	v_or_b32_e32 v20, 0x7e, v4
	v_cmp_ne_u64_e32 vcc, s[38:39], v[6:7]
	s_and_saveexec_b64 s[18:19], vcc
	s_xor_b64 s[52:53], exec, s[18:19]
	s_cbranch_execz .LBB4_2085
; %bb.2076:                             ;   in Loop: Header=BB4_1703 Depth=2
	v_and_b32_e32 v6, 0x7fffffff, v2
	v_mov_b32_e32 v7, v53
	v_cmp_gt_u64_e32 vcc, s[40:41], v[6:7]
	s_and_saveexec_b64 s[54:55], vcc
	s_cbranch_execz .LBB4_2084
; %bb.2077:                             ;   in Loop: Header=BB4_1703 Depth=2
	v_cmp_ne_u32_e32 vcc, 0, v2
	v_mov_b32_e32 v20, 0
	s_and_saveexec_b64 s[56:57], vcc
	s_cbranch_execz .LBB4_2083
; %bb.2078:                             ;   in Loop: Header=BB4_1703 Depth=2
	v_bfe_u32 v2, v2, 23, 8
	v_sub_u32_e32 v5, 0x79, v2
	v_cmp_gt_u32_e32 vcc, s72, v2
	v_add_u32_e32 v3, 0xffffff81, v2
	v_cndmask_b32_e32 v5, 0, v5, vcc
	v_cmp_eq_u32_e32 vcc, 0, v2
	v_mov_b32_e32 v2, 0xffffff82
	v_cndmask_b32_e32 v18, v3, v2, vcc
	v_mov_b32_e32 v2, 0x78
	v_or_b32_e32 v6, 0x800000, v52
	v_cndmask_b32_e32 v5, v5, v2, vcc
	v_cndmask_b32_e32 v52, v6, v52, vcc
	v_add_u32_e32 v2, 20, v5
	v_lshlrev_b64 v[2:3], v2, -1
	v_lshrrev_b64 v[8:9], v5, v[52:53]
	v_not_b32_e32 v3, v3
	v_not_b32_e32 v2, v2
	v_add_u32_e32 v6, 19, v5
	v_lshrrev_b32_e32 v20, 23, v8
	v_and_b32_e32 v3, 0, v3
	v_and_b32_e32 v2, v52, v2
	v_lshlrev_b64 v[6:7], v6, 1
	v_add3_u32 v20, v5, v18, v20
	v_bfe_u32 v5, v8, 20, 1
	v_add_u32_e32 v5, -1, v5
	v_cmp_eq_u64_e32 vcc, v[2:3], v[6:7]
	v_cndmask_b32_e32 v2, 0, v5, vcc
	v_add_u32_e32 v2, v2, v8
	v_and_b32_e32 v2, 0xfffff, v2
	v_add_co_u32_e32 v2, vcc, v2, v8
	v_add_u32_e32 v18, 6, v20
	v_addc_co_u32_e32 v3, vcc, 0, v9, vcc
	v_cmp_ne_u32_e32 vcc, 0, v18
                                        ; implicit-def: $vgpr5
	s_and_saveexec_b64 s[18:19], vcc
	s_xor_b64 s[18:19], exec, s[18:19]
; %bb.2079:                             ;   in Loop: Header=BB4_1703 Depth=2
	v_cmp_lt_u64_e32 vcc, s[44:45], v[2:3]
	v_add_u32_e32 v5, 7, v20
	v_cndmask_b32_e64 v6, 0, 1, vcc
	v_cndmask_b32_e32 v5, v18, v5, vcc
	v_lshrrev_b64 v[2:3], v6, v[2:3]
; %bb.2080:                             ;   in Loop: Header=BB4_1703 Depth=2
	s_andn2_saveexec_b64 s[18:19], s[18:19]
; %bb.2081:                             ;   in Loop: Header=BB4_1703 Depth=2
	v_bfe_u32 v5, v2, 23, 1
; %bb.2082:                             ;   in Loop: Header=BB4_1703 Depth=2
	s_or_b64 exec, exec, s[18:19]
	v_lshrrev_b64 v[2:3], 20, v[2:3]
	v_cmp_gt_i32_e32 vcc, 16, v5
	v_cndmask_b32_e32 v3, 0, v3, vcc
	v_cndmask_b32_e32 v2, 7, v2, vcc
	v_cmp_eq_u64_e64 s[18:19], 0, v[2:3]
	v_min_i32_e32 v3, 15, v5
	v_lshlrev_b32_e32 v3, 3, v3
	v_cmp_eq_u32_e32 vcc, 0, v5
	v_and_b32_e32 v3, 0xf8, v3
	v_and_or_b32 v2, v2, 7, v3
	s_and_b64 s[18:19], vcc, s[18:19]
	v_cndmask_b32_e64 v2, v2, 0, s[18:19]
	v_or_b32_e32 v20, v2, v4
.LBB4_2083:                             ;   in Loop: Header=BB4_1703 Depth=2
	s_or_b64 exec, exec, s[56:57]
.LBB4_2084:                             ;   in Loop: Header=BB4_1703 Depth=2
	s_or_b64 exec, exec, s[54:55]
                                        ; implicit-def: $vgpr2
.LBB4_2085:                             ;   in Loop: Header=BB4_1703 Depth=2
	s_andn2_saveexec_b64 s[18:19], s[52:53]
; %bb.2086:                             ;   in Loop: Header=BB4_1703 Depth=2
	v_or_b32_sdwa v2, v2, s71 dst_sel:DWORD dst_unused:UNUSED_PAD src0_sel:BYTE_3 src1_sel:DWORD
	v_cmp_eq_u64_e32 vcc, 0, v[52:53]
	v_cndmask_b32_e32 v20, v2, v20, vcc
; %bb.2087:                             ;   in Loop: Header=BB4_1703 Depth=2
	s_or_b64 exec, exec, s[18:19]
	v_cmp_ne_u16_sdwa vcc, v14, v53 src0_sel:BYTE_0 src1_sel:DWORD
	v_mov_b32_e32 v2, 0
	v_mov_b32_e32 v3, 0
	s_and_saveexec_b64 s[18:19], vcc
	s_cbranch_execz .LBB4_2093
; %bb.2088:                             ;   in Loop: Header=BB4_1703 Depth=2
	v_cmp_ne_u16_sdwa vcc, v14, s69 src0_sel:BYTE_0 src1_sel:DWORD
	v_bfrev_b32_e32 v3, 1
	s_and_saveexec_b64 s[52:53], vcc
	s_cbranch_execz .LBB4_2092
; %bb.2089:                             ;   in Loop: Header=BB4_1703 Depth=2
	v_and_b32_e32 v4, 0x7f, v14
	v_cmp_ne_u32_e32 vcc, s71, v4
	v_mov_b32_e32 v3, 0x7f800001
	s_and_saveexec_b64 s[54:55], vcc
	s_cbranch_execz .LBB4_2091
; %bb.2090:                             ;   in Loop: Header=BB4_1703 Depth=2
	v_and_b32_e32 v3, 7, v14
	v_ffbh_u32_e32 v3, v3
	v_min_u32_e32 v3, 32, v3
	v_subrev_u32_e32 v6, 28, v3
	v_cmp_gt_u32_e32 vcc, 8, v4
	v_lshrrev_b32_e32 v5, 3, v4
	v_sub_u32_e32 v3, 29, v3
	v_cndmask_b32_e32 v4, 0, v6, vcc
	v_cndmask_b32_e32 v3, v5, v3, vcc
	v_lshlrev_b64 v[4:5], v4, v[14:15]
	v_lshlrev_b32_e32 v4, 20, v4
	v_lshlrev_b32_e32 v5, 24, v14
	v_and_b32_e32 v4, 0x700000, v4
	v_and_b32_e32 v5, 0x80000000, v5
	v_lshl_add_u32 v3, v3, 23, v27
	v_or3_b32 v3, v5, v3, v4
.LBB4_2091:                             ;   in Loop: Header=BB4_1703 Depth=2
	s_or_b64 exec, exec, s[54:55]
.LBB4_2092:                             ;   in Loop: Header=BB4_1703 Depth=2
	s_or_b64 exec, exec, s[52:53]
.LBB4_2093:                             ;   in Loop: Header=BB4_1703 Depth=2
	s_or_b64 exec, exec, s[18:19]
	s_waitcnt vmcnt(0)
	v_cmp_ne_u16_sdwa vcc, v10, v53 src0_sel:BYTE_0 src1_sel:DWORD
	s_and_saveexec_b64 s[18:19], vcc
	s_cbranch_execz .LBB4_2099
; %bb.2094:                             ;   in Loop: Header=BB4_1703 Depth=2
	v_cmp_ne_u16_sdwa vcc, v10, s69 src0_sel:BYTE_0 src1_sel:DWORD
	v_bfrev_b32_e32 v2, 1
	s_and_saveexec_b64 s[52:53], vcc
	s_cbranch_execz .LBB4_2098
; %bb.2095:                             ;   in Loop: Header=BB4_1703 Depth=2
	v_and_b32_e32 v4, 0x7f, v10
	v_cmp_ne_u32_e32 vcc, s71, v4
	v_mov_b32_e32 v2, 0x7f800001
	s_and_saveexec_b64 s[54:55], vcc
	s_cbranch_execz .LBB4_2097
; %bb.2096:                             ;   in Loop: Header=BB4_1703 Depth=2
	v_and_b32_e32 v2, 7, v10
	v_ffbh_u32_e32 v2, v2
	v_min_u32_e32 v2, 32, v2
	v_subrev_u32_e32 v6, 28, v2
	v_cmp_gt_u32_e32 vcc, 8, v4
	v_lshrrev_b32_e32 v5, 3, v4
	v_sub_u32_e32 v2, 29, v2
	v_cndmask_b32_e32 v4, 0, v6, vcc
	v_cndmask_b32_e32 v2, v5, v2, vcc
	v_lshlrev_b64 v[4:5], v4, v[10:11]
	v_lshlrev_b32_e32 v4, 20, v4
	v_lshlrev_b32_e32 v5, 24, v10
	v_and_b32_e32 v4, 0x700000, v4
	v_and_b32_e32 v5, 0x80000000, v5
	v_lshl_add_u32 v2, v2, 23, v27
	v_or3_b32 v2, v5, v2, v4
.LBB4_2097:                             ;   in Loop: Header=BB4_1703 Depth=2
	s_or_b64 exec, exec, s[54:55]
.LBB4_2098:                             ;   in Loop: Header=BB4_1703 Depth=2
	s_or_b64 exec, exec, s[52:53]
.LBB4_2099:                             ;   in Loop: Header=BB4_1703 Depth=2
	s_or_b64 exec, exec, s[18:19]
	v_add_f32_e32 v2, v3, v2
	v_and_b32_sdwa v4, v2, s69 dst_sel:DWORD dst_unused:UNUSED_PAD src0_sel:BYTE_3 src1_sel:DWORD
	v_and_b32_e32 v6, 0x7f800000, v2
	v_mov_b32_e32 v7, v53
	v_and_b32_e32 v52, 0x7fffff, v2
	v_or_b32_e32 v21, 0x7e, v4
	v_cmp_ne_u64_e32 vcc, s[38:39], v[6:7]
	s_and_saveexec_b64 s[18:19], vcc
	s_xor_b64 s[52:53], exec, s[18:19]
	s_cbranch_execz .LBB4_2109
; %bb.2100:                             ;   in Loop: Header=BB4_1703 Depth=2
	v_and_b32_e32 v6, 0x7fffffff, v2
	v_mov_b32_e32 v7, v53
	v_cmp_gt_u64_e32 vcc, s[40:41], v[6:7]
	s_and_saveexec_b64 s[54:55], vcc
	s_cbranch_execz .LBB4_2108
; %bb.2101:                             ;   in Loop: Header=BB4_1703 Depth=2
	v_cmp_ne_u32_e32 vcc, 0, v2
	v_mov_b32_e32 v21, 0
	s_and_saveexec_b64 s[56:57], vcc
	s_cbranch_execz .LBB4_2107
; %bb.2102:                             ;   in Loop: Header=BB4_1703 Depth=2
	v_bfe_u32 v2, v2, 23, 8
	v_sub_u32_e32 v5, 0x79, v2
	v_cmp_gt_u32_e32 vcc, s72, v2
	v_add_u32_e32 v3, 0xffffff81, v2
	v_cndmask_b32_e32 v5, 0, v5, vcc
	v_cmp_eq_u32_e32 vcc, 0, v2
	v_mov_b32_e32 v2, 0xffffff82
	v_cndmask_b32_e32 v18, v3, v2, vcc
	v_mov_b32_e32 v2, 0x78
	v_or_b32_e32 v6, 0x800000, v52
	v_cndmask_b32_e32 v5, v5, v2, vcc
	v_cndmask_b32_e32 v52, v6, v52, vcc
	v_add_u32_e32 v2, 20, v5
	v_lshlrev_b64 v[2:3], v2, -1
	v_lshrrev_b64 v[8:9], v5, v[52:53]
	v_not_b32_e32 v3, v3
	v_not_b32_e32 v2, v2
	v_add_u32_e32 v6, 19, v5
	v_lshrrev_b32_e32 v21, 23, v8
	v_and_b32_e32 v3, 0, v3
	v_and_b32_e32 v2, v52, v2
	v_lshlrev_b64 v[6:7], v6, 1
	v_add3_u32 v21, v5, v18, v21
	v_bfe_u32 v5, v8, 20, 1
	v_add_u32_e32 v5, -1, v5
	v_cmp_eq_u64_e32 vcc, v[2:3], v[6:7]
	v_cndmask_b32_e32 v2, 0, v5, vcc
	v_add_u32_e32 v2, v2, v8
	v_and_b32_e32 v2, 0xfffff, v2
	v_add_co_u32_e32 v2, vcc, v2, v8
	v_add_u32_e32 v18, 6, v21
	v_addc_co_u32_e32 v3, vcc, 0, v9, vcc
	v_cmp_ne_u32_e32 vcc, 0, v18
                                        ; implicit-def: $vgpr5
	s_and_saveexec_b64 s[18:19], vcc
	s_xor_b64 s[18:19], exec, s[18:19]
; %bb.2103:                             ;   in Loop: Header=BB4_1703 Depth=2
	v_cmp_lt_u64_e32 vcc, s[44:45], v[2:3]
	v_add_u32_e32 v5, 7, v21
	v_cndmask_b32_e64 v6, 0, 1, vcc
	v_cndmask_b32_e32 v5, v18, v5, vcc
	v_lshrrev_b64 v[2:3], v6, v[2:3]
; %bb.2104:                             ;   in Loop: Header=BB4_1703 Depth=2
	s_andn2_saveexec_b64 s[18:19], s[18:19]
; %bb.2105:                             ;   in Loop: Header=BB4_1703 Depth=2
	v_bfe_u32 v5, v2, 23, 1
; %bb.2106:                             ;   in Loop: Header=BB4_1703 Depth=2
	s_or_b64 exec, exec, s[18:19]
	v_lshrrev_b64 v[2:3], 20, v[2:3]
	v_cmp_gt_i32_e32 vcc, 16, v5
	v_cndmask_b32_e32 v3, 0, v3, vcc
	v_cndmask_b32_e32 v2, 7, v2, vcc
	v_cmp_eq_u64_e64 s[18:19], 0, v[2:3]
	v_min_i32_e32 v3, 15, v5
	v_cmp_eq_u32_e32 vcc, 0, v5
	v_lshlrev_b32_e32 v3, 3, v3
	v_and_or_b32 v2, v2, 7, v3
	s_and_b64 s[18:19], vcc, s[18:19]
	v_cndmask_b32_e64 v2, v2, 0, s[18:19]
	v_or_b32_e32 v21, v2, v4
.LBB4_2107:                             ;   in Loop: Header=BB4_1703 Depth=2
	s_or_b64 exec, exec, s[56:57]
.LBB4_2108:                             ;   in Loop: Header=BB4_1703 Depth=2
	s_or_b64 exec, exec, s[54:55]
                                        ; implicit-def: $vgpr2
.LBB4_2109:                             ;   in Loop: Header=BB4_1703 Depth=2
	s_andn2_saveexec_b64 s[18:19], s[52:53]
; %bb.2110:                             ;   in Loop: Header=BB4_1703 Depth=2
	v_or_b32_sdwa v2, v2, s71 dst_sel:DWORD dst_unused:UNUSED_PAD src0_sel:BYTE_3 src1_sel:DWORD
	v_cmp_eq_u64_e32 vcc, 0, v[52:53]
	v_cndmask_b32_e32 v21, v2, v21, vcc
; %bb.2111:                             ;   in Loop: Header=BB4_1703 Depth=2
	s_or_b64 exec, exec, s[18:19]
	v_lshrrev_b16_e32 v2, 8, v14
	v_cmp_ne_u16_e32 vcc, 0, v2
	v_mov_b32_e32 v3, 0
	v_mov_b32_e32 v4, 0
	s_and_saveexec_b64 s[18:19], vcc
	s_cbranch_execz .LBB4_2117
; %bb.2112:                             ;   in Loop: Header=BB4_1703 Depth=2
	v_cmp_ne_u16_e32 vcc, s69, v2
	v_bfrev_b32_e32 v4, 1
	s_and_saveexec_b64 s[52:53], vcc
	s_cbranch_execz .LBB4_2116
; %bb.2113:                             ;   in Loop: Header=BB4_1703 Depth=2
	v_and_b32_e32 v5, 0x7f, v2
	v_cmp_ne_u32_e32 vcc, s71, v5
	v_mov_b32_e32 v4, 0x7f800001
	s_and_saveexec_b64 s[54:55], vcc
	s_cbranch_execz .LBB4_2115
; %bb.2114:                             ;   in Loop: Header=BB4_1703 Depth=2
	v_and_b32_e32 v4, 7, v2
	v_ffbh_u32_e32 v6, v4
	v_min_u32_e32 v9, 32, v6
	v_subrev_u32_e32 v6, 28, v9
	v_lshlrev_b64 v[6:7], v6, v[2:3]
	v_lshrrev_b32_e32 v8, 3, v5
	v_sub_u32_e32 v2, 29, v9
	v_and_b32_e32 v6, 7, v6
	v_cmp_gt_u32_e32 vcc, 8, v5
	v_cndmask_b32_e32 v2, v8, v2, vcc
	v_cndmask_b32_e32 v4, v4, v6, vcc
	v_lshlrev_b32_e32 v5, 16, v14
	v_lshlrev_b32_e32 v4, 20, v4
	v_and_b32_e32 v5, 0x80000000, v5
	v_lshl_add_u32 v2, v2, 23, v27
	v_or3_b32 v4, v5, v2, v4
.LBB4_2115:                             ;   in Loop: Header=BB4_1703 Depth=2
	s_or_b64 exec, exec, s[54:55]
.LBB4_2116:                             ;   in Loop: Header=BB4_1703 Depth=2
	s_or_b64 exec, exec, s[52:53]
.LBB4_2117:                             ;   in Loop: Header=BB4_1703 Depth=2
	s_or_b64 exec, exec, s[18:19]
	v_lshrrev_b16_e32 v2, 8, v10
	v_cmp_ne_u16_e32 vcc, 0, v2
	s_and_saveexec_b64 s[18:19], vcc
	s_cbranch_execz .LBB4_2123
; %bb.2118:                             ;   in Loop: Header=BB4_1703 Depth=2
	v_cmp_ne_u16_e32 vcc, s69, v2
	v_bfrev_b32_e32 v3, 1
	s_and_saveexec_b64 s[52:53], vcc
	s_cbranch_execz .LBB4_2122
; %bb.2119:                             ;   in Loop: Header=BB4_1703 Depth=2
	v_and_b32_e32 v5, 0x7f, v2
	v_cmp_ne_u32_e32 vcc, s71, v5
	v_mov_b32_e32 v3, 0x7f800001
	s_and_saveexec_b64 s[54:55], vcc
	s_cbranch_execz .LBB4_2121
; %bb.2120:                             ;   in Loop: Header=BB4_1703 Depth=2
	v_and_b32_e32 v6, 7, v2
	v_ffbh_u32_e32 v3, v6
	v_min_u32_e32 v8, 32, v3
	v_subrev_u32_e32 v3, 28, v8
	v_lshlrev_b64 v[2:3], v3, v[2:3]
	v_lshrrev_b32_e32 v7, 3, v5
	v_sub_u32_e32 v3, 29, v8
	v_and_b32_e32 v2, 7, v2
	v_cmp_gt_u32_e32 vcc, 8, v5
	v_cndmask_b32_e32 v3, v7, v3, vcc
	v_cndmask_b32_e32 v2, v6, v2, vcc
	v_lshlrev_b32_e32 v5, 16, v10
	v_lshlrev_b32_e32 v2, 20, v2
	v_and_b32_e32 v5, 0x80000000, v5
	v_lshl_add_u32 v3, v3, 23, v27
	v_or3_b32 v3, v5, v3, v2
.LBB4_2121:                             ;   in Loop: Header=BB4_1703 Depth=2
	s_or_b64 exec, exec, s[54:55]
.LBB4_2122:                             ;   in Loop: Header=BB4_1703 Depth=2
	s_or_b64 exec, exec, s[52:53]
.LBB4_2123:                             ;   in Loop: Header=BB4_1703 Depth=2
	s_or_b64 exec, exec, s[18:19]
	v_add_f32_e32 v2, v4, v3
	v_and_b32_sdwa v4, v2, s69 dst_sel:DWORD dst_unused:UNUSED_PAD src0_sel:BYTE_3 src1_sel:DWORD
	v_and_b32_e32 v6, 0x7f800000, v2
	v_mov_b32_e32 v7, v53
	v_and_b32_e32 v52, 0x7fffff, v2
	v_or_b32_e32 v24, 0x7e, v4
	v_cmp_ne_u64_e32 vcc, s[38:39], v[6:7]
	s_and_saveexec_b64 s[18:19], vcc
	s_xor_b64 s[52:53], exec, s[18:19]
	s_cbranch_execz .LBB4_2133
; %bb.2124:                             ;   in Loop: Header=BB4_1703 Depth=2
	v_and_b32_e32 v6, 0x7fffffff, v2
	v_mov_b32_e32 v7, v53
	v_cmp_gt_u64_e32 vcc, s[40:41], v[6:7]
	s_and_saveexec_b64 s[54:55], vcc
	s_cbranch_execz .LBB4_2132
; %bb.2125:                             ;   in Loop: Header=BB4_1703 Depth=2
	v_cmp_ne_u32_e32 vcc, 0, v2
	v_mov_b32_e32 v24, 0
	s_and_saveexec_b64 s[56:57], vcc
	s_cbranch_execz .LBB4_2131
; %bb.2126:                             ;   in Loop: Header=BB4_1703 Depth=2
	v_bfe_u32 v2, v2, 23, 8
	v_sub_u32_e32 v5, 0x79, v2
	v_cmp_gt_u32_e32 vcc, s72, v2
	v_add_u32_e32 v3, 0xffffff81, v2
	v_cndmask_b32_e32 v5, 0, v5, vcc
	v_cmp_eq_u32_e32 vcc, 0, v2
	v_mov_b32_e32 v2, 0xffffff82
	v_cndmask_b32_e32 v18, v3, v2, vcc
	v_mov_b32_e32 v2, 0x78
	v_or_b32_e32 v6, 0x800000, v52
	v_cndmask_b32_e32 v5, v5, v2, vcc
	v_cndmask_b32_e32 v52, v6, v52, vcc
	v_add_u32_e32 v2, 20, v5
	v_lshlrev_b64 v[2:3], v2, -1
	v_lshrrev_b64 v[8:9], v5, v[52:53]
	v_not_b32_e32 v3, v3
	v_not_b32_e32 v2, v2
	v_add_u32_e32 v6, 19, v5
	v_lshrrev_b32_e32 v24, 23, v8
	v_and_b32_e32 v3, 0, v3
	v_and_b32_e32 v2, v52, v2
	v_lshlrev_b64 v[6:7], v6, 1
	v_add3_u32 v24, v5, v18, v24
	v_bfe_u32 v5, v8, 20, 1
	v_add_u32_e32 v5, -1, v5
	v_cmp_eq_u64_e32 vcc, v[2:3], v[6:7]
	v_cndmask_b32_e32 v2, 0, v5, vcc
	v_add_u32_e32 v2, v2, v8
	v_and_b32_e32 v2, 0xfffff, v2
	v_add_co_u32_e32 v2, vcc, v2, v8
	v_add_u32_e32 v18, 6, v24
	v_addc_co_u32_e32 v3, vcc, 0, v9, vcc
	v_cmp_ne_u32_e32 vcc, 0, v18
                                        ; implicit-def: $vgpr5
	s_and_saveexec_b64 s[18:19], vcc
	s_xor_b64 s[18:19], exec, s[18:19]
; %bb.2127:                             ;   in Loop: Header=BB4_1703 Depth=2
	v_cmp_lt_u64_e32 vcc, s[44:45], v[2:3]
	v_add_u32_e32 v5, 7, v24
	v_cndmask_b32_e64 v6, 0, 1, vcc
	v_cndmask_b32_e32 v5, v18, v5, vcc
	v_lshrrev_b64 v[2:3], v6, v[2:3]
; %bb.2128:                             ;   in Loop: Header=BB4_1703 Depth=2
	s_andn2_saveexec_b64 s[18:19], s[18:19]
; %bb.2129:                             ;   in Loop: Header=BB4_1703 Depth=2
	v_bfe_u32 v5, v2, 23, 1
; %bb.2130:                             ;   in Loop: Header=BB4_1703 Depth=2
	s_or_b64 exec, exec, s[18:19]
	v_lshrrev_b64 v[2:3], 20, v[2:3]
	v_cmp_gt_i32_e32 vcc, 16, v5
	v_cndmask_b32_e32 v3, 0, v3, vcc
	v_cndmask_b32_e32 v2, 7, v2, vcc
	v_cmp_eq_u64_e64 s[18:19], 0, v[2:3]
	v_min_i32_e32 v3, 15, v5
	v_cmp_eq_u32_e32 vcc, 0, v5
	v_lshlrev_b32_e32 v3, 3, v3
	v_and_or_b32 v2, v2, 7, v3
	s_and_b64 s[18:19], vcc, s[18:19]
	v_cndmask_b32_e64 v2, v2, 0, s[18:19]
	v_or_b32_e32 v24, v2, v4
.LBB4_2131:                             ;   in Loop: Header=BB4_1703 Depth=2
	s_or_b64 exec, exec, s[56:57]
.LBB4_2132:                             ;   in Loop: Header=BB4_1703 Depth=2
	s_or_b64 exec, exec, s[54:55]
                                        ; implicit-def: $vgpr2
.LBB4_2133:                             ;   in Loop: Header=BB4_1703 Depth=2
	s_andn2_saveexec_b64 s[18:19], s[52:53]
; %bb.2134:                             ;   in Loop: Header=BB4_1703 Depth=2
	v_or_b32_sdwa v2, v2, s71 dst_sel:DWORD dst_unused:UNUSED_PAD src0_sel:BYTE_3 src1_sel:DWORD
	v_cmp_eq_u64_e32 vcc, 0, v[52:53]
	v_cndmask_b32_e32 v24, v2, v24, vcc
; %bb.2135:                             ;   in Loop: Header=BB4_1703 Depth=2
	s_or_b64 exec, exec, s[18:19]
	v_lshrrev_b32_e32 v2, 16, v14
	v_cmp_ne_u16_sdwa vcc, v2, v53 src0_sel:BYTE_0 src1_sel:DWORD
	v_mov_b32_e32 v3, 0
	v_mov_b32_e32 v4, 0
	s_and_saveexec_b64 s[18:19], vcc
	s_cbranch_execz .LBB4_2141
; %bb.2136:                             ;   in Loop: Header=BB4_1703 Depth=2
	v_cmp_ne_u16_sdwa vcc, v2, s69 src0_sel:BYTE_0 src1_sel:DWORD
	v_bfrev_b32_e32 v4, 1
	s_and_saveexec_b64 s[52:53], vcc
	s_cbranch_execz .LBB4_2140
; %bb.2137:                             ;   in Loop: Header=BB4_1703 Depth=2
	v_bfe_u32 v5, v14, 16, 7
	v_cmp_ne_u32_e32 vcc, s71, v5
	v_mov_b32_e32 v4, 0x7f800001
	s_and_saveexec_b64 s[54:55], vcc
	s_cbranch_execz .LBB4_2139
; %bb.2138:                             ;   in Loop: Header=BB4_1703 Depth=2
	v_and_b32_e32 v4, 7, v2
	v_ffbh_u32_e32 v6, v4
	v_min_u32_e32 v9, 32, v6
	v_subrev_u32_e32 v6, 28, v9
	v_lshlrev_b64 v[6:7], v6, v[2:3]
	v_lshrrev_b32_e32 v8, 3, v5
	v_sub_u32_e32 v7, 29, v9
	v_and_b32_e32 v6, 7, v6
	v_cmp_gt_u32_e32 vcc, 8, v5
	v_cndmask_b32_e32 v5, v8, v7, vcc
	v_cndmask_b32_e32 v4, v4, v6, vcc
	v_lshlrev_b32_e32 v2, 24, v2
	v_lshlrev_b32_e32 v4, 20, v4
	v_and_b32_e32 v2, 0x80000000, v2
	v_lshl_add_u32 v5, v5, 23, v27
	v_or3_b32 v4, v2, v5, v4
.LBB4_2139:                             ;   in Loop: Header=BB4_1703 Depth=2
	s_or_b64 exec, exec, s[54:55]
.LBB4_2140:                             ;   in Loop: Header=BB4_1703 Depth=2
	s_or_b64 exec, exec, s[52:53]
.LBB4_2141:                             ;   in Loop: Header=BB4_1703 Depth=2
	s_or_b64 exec, exec, s[18:19]
	v_lshrrev_b32_e32 v2, 16, v10
	v_cmp_ne_u16_sdwa vcc, v2, v53 src0_sel:BYTE_0 src1_sel:DWORD
	s_and_saveexec_b64 s[18:19], vcc
	s_cbranch_execz .LBB4_2147
; %bb.2142:                             ;   in Loop: Header=BB4_1703 Depth=2
	v_cmp_ne_u16_sdwa vcc, v2, s69 src0_sel:BYTE_0 src1_sel:DWORD
	v_bfrev_b32_e32 v3, 1
	s_and_saveexec_b64 s[52:53], vcc
	s_cbranch_execz .LBB4_2146
; %bb.2143:                             ;   in Loop: Header=BB4_1703 Depth=2
	v_bfe_u32 v5, v10, 16, 7
	v_cmp_ne_u32_e32 vcc, s71, v5
	v_mov_b32_e32 v3, 0x7f800001
	s_and_saveexec_b64 s[54:55], vcc
	s_cbranch_execz .LBB4_2145
; %bb.2144:                             ;   in Loop: Header=BB4_1703 Depth=2
	v_and_b32_e32 v6, 7, v2
	v_ffbh_u32_e32 v3, v6
	v_min_u32_e32 v8, 32, v3
	v_subrev_u32_e32 v3, 28, v8
	v_lshlrev_b64 v[2:3], v3, v[2:3]
	v_lshrrev_b32_e32 v7, 3, v5
	v_sub_u32_e32 v3, 29, v8
	v_and_b32_e32 v2, 7, v2
	v_cmp_gt_u32_e32 vcc, 8, v5
	v_cndmask_b32_e32 v3, v7, v3, vcc
	v_cndmask_b32_e32 v2, v6, v2, vcc
	v_lshlrev_b32_e32 v5, 8, v10
	v_lshlrev_b32_e32 v2, 20, v2
	v_and_b32_e32 v5, 0x80000000, v5
	v_lshl_add_u32 v3, v3, 23, v27
	v_or3_b32 v3, v5, v3, v2
.LBB4_2145:                             ;   in Loop: Header=BB4_1703 Depth=2
	s_or_b64 exec, exec, s[54:55]
.LBB4_2146:                             ;   in Loop: Header=BB4_1703 Depth=2
	s_or_b64 exec, exec, s[52:53]
.LBB4_2147:                             ;   in Loop: Header=BB4_1703 Depth=2
	s_or_b64 exec, exec, s[18:19]
	v_add_f32_e32 v2, v4, v3
	v_and_b32_sdwa v4, v2, s69 dst_sel:DWORD dst_unused:UNUSED_PAD src0_sel:BYTE_3 src1_sel:DWORD
	v_and_b32_e32 v6, 0x7f800000, v2
	v_mov_b32_e32 v7, v53
	v_and_b32_e32 v52, 0x7fffff, v2
	v_or_b32_e32 v25, 0x7e, v4
	v_cmp_ne_u64_e32 vcc, s[38:39], v[6:7]
	s_and_saveexec_b64 s[18:19], vcc
	s_xor_b64 s[52:53], exec, s[18:19]
	s_cbranch_execz .LBB4_2157
; %bb.2148:                             ;   in Loop: Header=BB4_1703 Depth=2
	v_and_b32_e32 v6, 0x7fffffff, v2
	v_mov_b32_e32 v7, v53
	v_cmp_gt_u64_e32 vcc, s[40:41], v[6:7]
	s_and_saveexec_b64 s[54:55], vcc
	s_cbranch_execz .LBB4_2156
; %bb.2149:                             ;   in Loop: Header=BB4_1703 Depth=2
	v_cmp_ne_u32_e32 vcc, 0, v2
	v_mov_b32_e32 v25, 0
	s_and_saveexec_b64 s[56:57], vcc
	s_cbranch_execz .LBB4_2155
; %bb.2150:                             ;   in Loop: Header=BB4_1703 Depth=2
	v_bfe_u32 v2, v2, 23, 8
	v_sub_u32_e32 v5, 0x79, v2
	v_cmp_gt_u32_e32 vcc, s72, v2
	v_add_u32_e32 v3, 0xffffff81, v2
	v_cndmask_b32_e32 v5, 0, v5, vcc
	v_cmp_eq_u32_e32 vcc, 0, v2
	v_mov_b32_e32 v2, 0xffffff82
	v_cndmask_b32_e32 v18, v3, v2, vcc
	v_mov_b32_e32 v2, 0x78
	v_or_b32_e32 v6, 0x800000, v52
	v_cndmask_b32_e32 v5, v5, v2, vcc
	v_cndmask_b32_e32 v52, v6, v52, vcc
	v_add_u32_e32 v2, 20, v5
	v_lshlrev_b64 v[2:3], v2, -1
	v_lshrrev_b64 v[8:9], v5, v[52:53]
	v_not_b32_e32 v3, v3
	v_not_b32_e32 v2, v2
	v_add_u32_e32 v6, 19, v5
	v_lshrrev_b32_e32 v25, 23, v8
	v_and_b32_e32 v3, 0, v3
	v_and_b32_e32 v2, v52, v2
	v_lshlrev_b64 v[6:7], v6, 1
	v_add3_u32 v25, v5, v18, v25
	v_bfe_u32 v5, v8, 20, 1
	v_add_u32_e32 v5, -1, v5
	v_cmp_eq_u64_e32 vcc, v[2:3], v[6:7]
	v_cndmask_b32_e32 v2, 0, v5, vcc
	v_add_u32_e32 v2, v2, v8
	v_and_b32_e32 v2, 0xfffff, v2
	v_add_co_u32_e32 v2, vcc, v2, v8
	v_add_u32_e32 v18, 6, v25
	v_addc_co_u32_e32 v3, vcc, 0, v9, vcc
	v_cmp_ne_u32_e32 vcc, 0, v18
                                        ; implicit-def: $vgpr5
	s_and_saveexec_b64 s[18:19], vcc
	s_xor_b64 s[18:19], exec, s[18:19]
; %bb.2151:                             ;   in Loop: Header=BB4_1703 Depth=2
	v_cmp_lt_u64_e32 vcc, s[44:45], v[2:3]
	v_add_u32_e32 v5, 7, v25
	v_cndmask_b32_e64 v6, 0, 1, vcc
	v_cndmask_b32_e32 v5, v18, v5, vcc
	v_lshrrev_b64 v[2:3], v6, v[2:3]
; %bb.2152:                             ;   in Loop: Header=BB4_1703 Depth=2
	s_andn2_saveexec_b64 s[18:19], s[18:19]
; %bb.2153:                             ;   in Loop: Header=BB4_1703 Depth=2
	v_bfe_u32 v5, v2, 23, 1
; %bb.2154:                             ;   in Loop: Header=BB4_1703 Depth=2
	s_or_b64 exec, exec, s[18:19]
	v_lshrrev_b64 v[2:3], 20, v[2:3]
	v_cmp_gt_i32_e32 vcc, 16, v5
	v_cndmask_b32_e32 v3, 0, v3, vcc
	v_cndmask_b32_e32 v2, 7, v2, vcc
	v_cmp_eq_u64_e64 s[18:19], 0, v[2:3]
	v_min_i32_e32 v3, 15, v5
	v_cmp_eq_u32_e32 vcc, 0, v5
	v_lshlrev_b32_e32 v3, 3, v3
	v_and_or_b32 v2, v2, 7, v3
	s_and_b64 s[18:19], vcc, s[18:19]
	v_cndmask_b32_e64 v2, v2, 0, s[18:19]
	v_or_b32_e32 v25, v2, v4
.LBB4_2155:                             ;   in Loop: Header=BB4_1703 Depth=2
	s_or_b64 exec, exec, s[56:57]
.LBB4_2156:                             ;   in Loop: Header=BB4_1703 Depth=2
	s_or_b64 exec, exec, s[54:55]
                                        ; implicit-def: $vgpr2
.LBB4_2157:                             ;   in Loop: Header=BB4_1703 Depth=2
	s_andn2_saveexec_b64 s[18:19], s[52:53]
; %bb.2158:                             ;   in Loop: Header=BB4_1703 Depth=2
	v_or_b32_sdwa v2, v2, s71 dst_sel:DWORD dst_unused:UNUSED_PAD src0_sel:BYTE_3 src1_sel:DWORD
	v_cmp_eq_u64_e32 vcc, 0, v[52:53]
	v_cndmask_b32_e32 v25, v2, v25, vcc
; %bb.2159:                             ;   in Loop: Header=BB4_1703 Depth=2
	s_or_b64 exec, exec, s[18:19]
	v_cmp_lt_u32_e32 vcc, s43, v14
	v_mov_b32_e32 v3, 0
	v_mov_b32_e32 v4, 0
	s_and_saveexec_b64 s[18:19], vcc
	s_cbranch_execz .LBB4_2165
; %bb.2160:                             ;   in Loop: Header=BB4_1703 Depth=2
	v_lshrrev_b32_e32 v2, 24, v14
	v_cmp_ne_u32_e32 vcc, s69, v2
	v_bfrev_b32_e32 v4, 1
	s_and_saveexec_b64 s[52:53], vcc
	s_cbranch_execz .LBB4_2164
; %bb.2161:                             ;   in Loop: Header=BB4_1703 Depth=2
	v_bfe_u32 v5, v14, 24, 7
	v_cmp_ne_u32_e32 vcc, s71, v5
	v_mov_b32_e32 v4, 0x7f800001
	s_and_saveexec_b64 s[54:55], vcc
	s_cbranch_execz .LBB4_2163
; %bb.2162:                             ;   in Loop: Header=BB4_1703 Depth=2
	v_and_b32_e32 v4, 7, v2
	v_ffbh_u32_e32 v6, v4
	v_min_u32_e32 v9, 32, v6
	v_subrev_u32_e32 v6, 28, v9
	v_lshlrev_b64 v[6:7], v6, v[2:3]
	v_lshrrev_b32_e32 v8, 3, v5
	v_sub_u32_e32 v7, 29, v9
	v_and_b32_e32 v6, 7, v6
	v_cmp_gt_u32_e32 vcc, 8, v5
	v_cndmask_b32_e32 v5, v8, v7, vcc
	v_cndmask_b32_e32 v4, v4, v6, vcc
	v_lshlrev_b32_e32 v2, 24, v2
	v_lshlrev_b32_e32 v4, 20, v4
	v_and_b32_e32 v2, 0x80000000, v2
	v_lshl_add_u32 v5, v5, 23, v27
	v_or3_b32 v4, v2, v5, v4
.LBB4_2163:                             ;   in Loop: Header=BB4_1703 Depth=2
	s_or_b64 exec, exec, s[54:55]
.LBB4_2164:                             ;   in Loop: Header=BB4_1703 Depth=2
	s_or_b64 exec, exec, s[52:53]
.LBB4_2165:                             ;   in Loop: Header=BB4_1703 Depth=2
	s_or_b64 exec, exec, s[18:19]
	v_cmp_lt_u32_e32 vcc, s43, v10
	s_and_saveexec_b64 s[18:19], vcc
	s_cbranch_execz .LBB4_2171
; %bb.2166:                             ;   in Loop: Header=BB4_1703 Depth=2
	v_lshrrev_b32_e32 v2, 24, v10
	v_cmp_ne_u32_e32 vcc, s69, v2
	v_bfrev_b32_e32 v3, 1
	s_and_saveexec_b64 s[52:53], vcc
	s_cbranch_execz .LBB4_2170
; %bb.2167:                             ;   in Loop: Header=BB4_1703 Depth=2
	v_bfe_u32 v5, v10, 24, 7
	v_cmp_ne_u32_e32 vcc, s71, v5
	v_mov_b32_e32 v3, 0x7f800001
	s_and_saveexec_b64 s[54:55], vcc
	s_cbranch_execz .LBB4_2169
; %bb.2168:                             ;   in Loop: Header=BB4_1703 Depth=2
	v_and_b32_e32 v3, 7, v2
	v_ffbh_u32_e32 v6, v3
	v_min_u32_e32 v9, 32, v6
	v_subrev_u32_e32 v6, 28, v9
	v_lshlrev_b64 v[6:7], v6, v[2:3]
	v_lshrrev_b32_e32 v8, 3, v5
	v_sub_u32_e32 v7, 29, v9
	v_and_b32_e32 v6, 7, v6
	v_cmp_gt_u32_e32 vcc, 8, v5
	v_cndmask_b32_e32 v5, v8, v7, vcc
	v_cndmask_b32_e32 v3, v3, v6, vcc
	v_lshlrev_b32_e32 v2, 24, v2
	v_lshlrev_b32_e32 v3, 20, v3
	v_and_b32_e32 v2, 0x80000000, v2
	v_lshl_add_u32 v5, v5, 23, v27
	v_or3_b32 v3, v2, v5, v3
.LBB4_2169:                             ;   in Loop: Header=BB4_1703 Depth=2
	s_or_b64 exec, exec, s[54:55]
.LBB4_2170:                             ;   in Loop: Header=BB4_1703 Depth=2
	s_or_b64 exec, exec, s[52:53]
.LBB4_2171:                             ;   in Loop: Header=BB4_1703 Depth=2
	s_or_b64 exec, exec, s[18:19]
	v_add_f32_e32 v2, v4, v3
	v_and_b32_sdwa v4, v2, s69 dst_sel:DWORD dst_unused:UNUSED_PAD src0_sel:BYTE_3 src1_sel:DWORD
	v_and_b32_e32 v6, 0x7f800000, v2
	v_mov_b32_e32 v7, v53
	v_and_b32_e32 v52, 0x7fffff, v2
	v_or_b32_e32 v28, 0x7e, v4
	v_cmp_ne_u64_e32 vcc, s[38:39], v[6:7]
	s_and_saveexec_b64 s[18:19], vcc
	s_xor_b64 s[52:53], exec, s[18:19]
	s_cbranch_execz .LBB4_2181
; %bb.2172:                             ;   in Loop: Header=BB4_1703 Depth=2
	v_and_b32_e32 v6, 0x7fffffff, v2
	v_mov_b32_e32 v7, v53
	v_cmp_gt_u64_e32 vcc, s[40:41], v[6:7]
	s_and_saveexec_b64 s[54:55], vcc
	s_cbranch_execz .LBB4_2180
; %bb.2173:                             ;   in Loop: Header=BB4_1703 Depth=2
	v_cmp_ne_u32_e32 vcc, 0, v2
	v_mov_b32_e32 v28, 0
	s_and_saveexec_b64 s[56:57], vcc
	s_cbranch_execz .LBB4_2179
; %bb.2174:                             ;   in Loop: Header=BB4_1703 Depth=2
	v_bfe_u32 v2, v2, 23, 8
	v_sub_u32_e32 v5, 0x79, v2
	v_cmp_gt_u32_e32 vcc, s72, v2
	v_add_u32_e32 v3, 0xffffff81, v2
	v_cndmask_b32_e32 v5, 0, v5, vcc
	v_cmp_eq_u32_e32 vcc, 0, v2
	v_mov_b32_e32 v2, 0xffffff82
	v_cndmask_b32_e32 v18, v3, v2, vcc
	v_mov_b32_e32 v2, 0x78
	v_or_b32_e32 v6, 0x800000, v52
	v_cndmask_b32_e32 v5, v5, v2, vcc
	v_cndmask_b32_e32 v52, v6, v52, vcc
	v_add_u32_e32 v2, 20, v5
	v_lshlrev_b64 v[2:3], v2, -1
	v_lshrrev_b64 v[8:9], v5, v[52:53]
	v_not_b32_e32 v3, v3
	v_not_b32_e32 v2, v2
	v_add_u32_e32 v6, 19, v5
	v_lshrrev_b32_e32 v28, 23, v8
	v_and_b32_e32 v3, 0, v3
	v_and_b32_e32 v2, v52, v2
	v_lshlrev_b64 v[6:7], v6, 1
	v_add3_u32 v28, v5, v18, v28
	v_bfe_u32 v5, v8, 20, 1
	v_add_u32_e32 v5, -1, v5
	v_cmp_eq_u64_e32 vcc, v[2:3], v[6:7]
	v_cndmask_b32_e32 v2, 0, v5, vcc
	v_add_u32_e32 v2, v2, v8
	v_and_b32_e32 v2, 0xfffff, v2
	v_add_co_u32_e32 v2, vcc, v2, v8
	v_add_u32_e32 v18, 6, v28
	v_addc_co_u32_e32 v3, vcc, 0, v9, vcc
	v_cmp_ne_u32_e32 vcc, 0, v18
                                        ; implicit-def: $vgpr5
	s_and_saveexec_b64 s[18:19], vcc
	s_xor_b64 s[18:19], exec, s[18:19]
; %bb.2175:                             ;   in Loop: Header=BB4_1703 Depth=2
	v_cmp_lt_u64_e32 vcc, s[44:45], v[2:3]
	v_add_u32_e32 v5, 7, v28
	v_cndmask_b32_e64 v6, 0, 1, vcc
	v_cndmask_b32_e32 v5, v18, v5, vcc
	v_lshrrev_b64 v[2:3], v6, v[2:3]
; %bb.2176:                             ;   in Loop: Header=BB4_1703 Depth=2
	s_andn2_saveexec_b64 s[18:19], s[18:19]
; %bb.2177:                             ;   in Loop: Header=BB4_1703 Depth=2
	v_bfe_u32 v5, v2, 23, 1
; %bb.2178:                             ;   in Loop: Header=BB4_1703 Depth=2
	s_or_b64 exec, exec, s[18:19]
	v_lshrrev_b64 v[2:3], 20, v[2:3]
	v_cmp_gt_i32_e32 vcc, 16, v5
	v_cndmask_b32_e32 v3, 0, v3, vcc
	v_cndmask_b32_e32 v2, 7, v2, vcc
	v_cmp_eq_u64_e64 s[18:19], 0, v[2:3]
	v_min_i32_e32 v3, 15, v5
	v_cmp_eq_u32_e32 vcc, 0, v5
	v_lshlrev_b32_e32 v3, 3, v3
	v_and_or_b32 v2, v2, 7, v3
	s_and_b64 s[18:19], vcc, s[18:19]
	v_cndmask_b32_e64 v2, v2, 0, s[18:19]
	v_or_b32_e32 v28, v2, v4
.LBB4_2179:                             ;   in Loop: Header=BB4_1703 Depth=2
	s_or_b64 exec, exec, s[56:57]
.LBB4_2180:                             ;   in Loop: Header=BB4_1703 Depth=2
	s_or_b64 exec, exec, s[54:55]
                                        ; implicit-def: $vgpr2
.LBB4_2181:                             ;   in Loop: Header=BB4_1703 Depth=2
	s_andn2_saveexec_b64 s[18:19], s[52:53]
; %bb.2182:                             ;   in Loop: Header=BB4_1703 Depth=2
	v_or_b32_sdwa v2, v2, s71 dst_sel:DWORD dst_unused:UNUSED_PAD src0_sel:BYTE_3 src1_sel:DWORD
	v_cmp_eq_u64_e32 vcc, 0, v[52:53]
	v_cndmask_b32_e32 v28, v2, v28, vcc
; %bb.2183:                             ;   in Loop: Header=BB4_1703 Depth=2
	s_or_b64 exec, exec, s[18:19]
	v_mov_b32_e32 v52, v15
	v_cmp_ne_u16_sdwa vcc, v15, v53 src0_sel:BYTE_0 src1_sel:DWORD
	v_mov_b32_e32 v3, 0
	v_mov_b32_e32 v2, 0
	s_and_saveexec_b64 s[18:19], vcc
	s_cbranch_execz .LBB4_2189
; %bb.2184:                             ;   in Loop: Header=BB4_1703 Depth=2
	v_cmp_ne_u16_sdwa vcc, v15, s69 src0_sel:BYTE_0 src1_sel:DWORD
	v_bfrev_b32_e32 v2, 1
	s_and_saveexec_b64 s[52:53], vcc
	s_cbranch_execz .LBB4_2188
; %bb.2185:                             ;   in Loop: Header=BB4_1703 Depth=2
	v_and_b32_e32 v4, 0x7f, v15
	v_cmp_ne_u32_e32 vcc, s71, v4
	v_mov_b32_e32 v2, 0x7f800001
	s_and_saveexec_b64 s[54:55], vcc
	s_cbranch_execz .LBB4_2187
; %bb.2186:                             ;   in Loop: Header=BB4_1703 Depth=2
	v_and_b32_e32 v2, 7, v15
	v_ffbh_u32_e32 v2, v2
	v_min_u32_e32 v2, 32, v2
	v_subrev_u32_e32 v6, 28, v2
	v_cmp_gt_u32_e32 vcc, 8, v4
	v_lshrrev_b32_e32 v5, 3, v4
	v_sub_u32_e32 v2, 29, v2
	v_cndmask_b32_e32 v4, 0, v6, vcc
	v_cndmask_b32_e32 v2, v5, v2, vcc
	v_lshlrev_b64 v[4:5], v4, v[52:53]
	v_lshlrev_b32_e32 v4, 20, v4
	v_lshlrev_b32_e32 v5, 24, v52
	v_and_b32_e32 v4, 0x700000, v4
	v_and_b32_e32 v5, 0x80000000, v5
	v_lshl_add_u32 v2, v2, 23, v27
	v_or3_b32 v2, v5, v2, v4
.LBB4_2187:                             ;   in Loop: Header=BB4_1703 Depth=2
	s_or_b64 exec, exec, s[54:55]
.LBB4_2188:                             ;   in Loop: Header=BB4_1703 Depth=2
	s_or_b64 exec, exec, s[52:53]
.LBB4_2189:                             ;   in Loop: Header=BB4_1703 Depth=2
	s_or_b64 exec, exec, s[18:19]
	v_cmp_ne_u16_sdwa vcc, v11, v53 src0_sel:BYTE_0 src1_sel:DWORD
	s_and_saveexec_b64 s[18:19], vcc
	s_cbranch_execz .LBB4_2195
; %bb.2190:                             ;   in Loop: Header=BB4_1703 Depth=2
	v_cmp_ne_u16_sdwa vcc, v11, s69 src0_sel:BYTE_0 src1_sel:DWORD
	v_bfrev_b32_e32 v3, 1
	s_and_saveexec_b64 s[52:53], vcc
	s_cbranch_execz .LBB4_2194
; %bb.2191:                             ;   in Loop: Header=BB4_1703 Depth=2
	v_and_b32_e32 v4, 0x7f, v11
	v_cmp_ne_u32_e32 vcc, s71, v4
	v_mov_b32_e32 v3, 0x7f800001
	s_and_saveexec_b64 s[54:55], vcc
	s_cbranch_execz .LBB4_2193
; %bb.2192:                             ;   in Loop: Header=BB4_1703 Depth=2
	v_and_b32_e32 v3, 7, v11
	v_ffbh_u32_e32 v3, v3
	v_min_u32_e32 v3, 32, v3
	v_subrev_u32_e32 v8, 28, v3
	v_cmp_gt_u32_e32 vcc, 8, v4
	v_mov_b32_e32 v6, v11
	v_mov_b32_e32 v7, v53
	v_lshrrev_b32_e32 v5, 3, v4
	v_sub_u32_e32 v3, 29, v3
	v_cndmask_b32_e32 v4, 0, v8, vcc
	v_cndmask_b32_e32 v3, v5, v3, vcc
	v_lshlrev_b64 v[4:5], v4, v[6:7]
	v_lshlrev_b32_e32 v4, 20, v4
	v_lshlrev_b32_e32 v5, 24, v6
	v_and_b32_e32 v4, 0x700000, v4
	v_and_b32_e32 v5, 0x80000000, v5
	v_lshl_add_u32 v3, v3, 23, v27
	v_or3_b32 v3, v5, v3, v4
.LBB4_2193:                             ;   in Loop: Header=BB4_1703 Depth=2
	s_or_b64 exec, exec, s[54:55]
.LBB4_2194:                             ;   in Loop: Header=BB4_1703 Depth=2
	s_or_b64 exec, exec, s[52:53]
.LBB4_2195:                             ;   in Loop: Header=BB4_1703 Depth=2
	s_or_b64 exec, exec, s[18:19]
	v_add_f32_e32 v5, v2, v3
	v_and_b32_sdwa v4, v5, s69 dst_sel:DWORD dst_unused:UNUSED_PAD src0_sel:BYTE_3 src1_sel:DWORD
	v_and_b32_e32 v6, 0x7f800000, v5
	v_mov_b32_e32 v7, v53
	v_and_b32_e32 v2, 0x7fffff, v5
	v_mov_b32_e32 v3, v53
	v_or_b32_e32 v29, 0x7e, v4
	v_cmp_ne_u64_e32 vcc, s[38:39], v[6:7]
	s_and_saveexec_b64 s[18:19], vcc
	s_xor_b64 s[52:53], exec, s[18:19]
	s_cbranch_execz .LBB4_2205
; %bb.2196:                             ;   in Loop: Header=BB4_1703 Depth=2
	v_and_b32_e32 v6, 0x7fffffff, v5
	v_mov_b32_e32 v7, v53
	v_cmp_gt_u64_e32 vcc, s[40:41], v[6:7]
	s_and_saveexec_b64 s[54:55], vcc
	s_cbranch_execz .LBB4_2204
; %bb.2197:                             ;   in Loop: Header=BB4_1703 Depth=2
	v_cmp_ne_u32_e32 vcc, 0, v5
	v_mov_b32_e32 v29, 0
	s_and_saveexec_b64 s[56:57], vcc
	s_cbranch_execz .LBB4_2203
; %bb.2198:                             ;   in Loop: Header=BB4_1703 Depth=2
	v_bfe_u32 v5, v5, 23, 8
	v_sub_u32_e32 v7, 0x79, v5
	v_cmp_gt_u32_e32 vcc, s72, v5
	v_add_u32_e32 v6, 0xffffff81, v5
	v_cndmask_b32_e32 v7, 0, v7, vcc
	v_cmp_eq_u32_e32 vcc, 0, v5
	v_mov_b32_e32 v5, 0xffffff82
	v_cndmask_b32_e32 v5, v6, v5, vcc
	v_mov_b32_e32 v6, 0x78
	v_cndmask_b32_e32 v18, v7, v6, vcc
	v_add_u32_e32 v6, 20, v18
	v_or_b32_e32 v8, 0x800000, v2
	v_lshlrev_b64 v[6:7], v6, -1
	v_cndmask_b32_e32 v2, v8, v2, vcc
	v_not_b32_e32 v6, v6
	v_and_b32_e32 v6, v2, v6
	v_lshrrev_b64 v[2:3], v18, v[2:3]
	v_not_b32_e32 v7, v7
	v_add_u32_e32 v8, 19, v18
	v_lshrrev_b32_e32 v29, 23, v2
	v_and_b32_e32 v7, 0, v7
	v_lshlrev_b64 v[8:9], v8, 1
	v_add3_u32 v29, v18, v5, v29
	v_bfe_u32 v5, v2, 20, 1
	v_add_u32_e32 v5, -1, v5
	v_cmp_eq_u64_e32 vcc, v[6:7], v[8:9]
	v_cndmask_b32_e32 v5, 0, v5, vcc
	v_add_u32_e32 v5, v5, v2
	v_and_b32_e32 v5, 0xfffff, v5
	v_add_co_u32_e32 v2, vcc, v5, v2
	v_add_u32_e32 v18, 6, v29
	v_addc_co_u32_e32 v3, vcc, 0, v3, vcc
	v_cmp_ne_u32_e32 vcc, 0, v18
                                        ; implicit-def: $vgpr5
	s_and_saveexec_b64 s[18:19], vcc
	s_xor_b64 s[18:19], exec, s[18:19]
; %bb.2199:                             ;   in Loop: Header=BB4_1703 Depth=2
	v_cmp_lt_u64_e32 vcc, s[44:45], v[2:3]
	v_add_u32_e32 v5, 7, v29
	v_cndmask_b32_e64 v6, 0, 1, vcc
	v_cndmask_b32_e32 v5, v18, v5, vcc
	v_lshrrev_b64 v[2:3], v6, v[2:3]
; %bb.2200:                             ;   in Loop: Header=BB4_1703 Depth=2
	s_andn2_saveexec_b64 s[18:19], s[18:19]
; %bb.2201:                             ;   in Loop: Header=BB4_1703 Depth=2
	v_bfe_u32 v5, v2, 23, 1
; %bb.2202:                             ;   in Loop: Header=BB4_1703 Depth=2
	s_or_b64 exec, exec, s[18:19]
	v_lshrrev_b64 v[2:3], 20, v[2:3]
	v_cmp_gt_i32_e32 vcc, 16, v5
	v_cndmask_b32_e32 v3, 0, v3, vcc
	v_cndmask_b32_e32 v2, 7, v2, vcc
	v_cmp_eq_u64_e64 s[18:19], 0, v[2:3]
	v_min_i32_e32 v3, 15, v5
	v_cmp_eq_u32_e32 vcc, 0, v5
	v_lshlrev_b32_e32 v3, 3, v3
	v_and_or_b32 v2, v2, 7, v3
	s_and_b64 s[18:19], vcc, s[18:19]
	v_cndmask_b32_e64 v2, v2, 0, s[18:19]
	v_or_b32_e32 v29, v2, v4
.LBB4_2203:                             ;   in Loop: Header=BB4_1703 Depth=2
	s_or_b64 exec, exec, s[56:57]
.LBB4_2204:                             ;   in Loop: Header=BB4_1703 Depth=2
	s_or_b64 exec, exec, s[54:55]
                                        ; implicit-def: $vgpr5
                                        ; implicit-def: $vgpr2_vgpr3
.LBB4_2205:                             ;   in Loop: Header=BB4_1703 Depth=2
	s_andn2_saveexec_b64 s[18:19], s[52:53]
; %bb.2206:                             ;   in Loop: Header=BB4_1703 Depth=2
	v_or_b32_sdwa v4, v5, s71 dst_sel:DWORD dst_unused:UNUSED_PAD src0_sel:BYTE_3 src1_sel:DWORD
	v_cmp_eq_u64_e32 vcc, 0, v[2:3]
	v_cndmask_b32_e32 v29, v4, v29, vcc
; %bb.2207:                             ;   in Loop: Header=BB4_1703 Depth=2
	s_or_b64 exec, exec, s[18:19]
	v_lshrrev_b16_e32 v2, 8, v52
	v_cmp_ne_u16_e32 vcc, 0, v2
	v_mov_b32_e32 v3, 0
	v_mov_b32_e32 v4, 0
	s_and_saveexec_b64 s[18:19], vcc
	s_cbranch_execz .LBB4_2213
; %bb.2208:                             ;   in Loop: Header=BB4_1703 Depth=2
	v_cmp_ne_u16_e32 vcc, s69, v2
	v_bfrev_b32_e32 v4, 1
	s_and_saveexec_b64 s[52:53], vcc
	s_cbranch_execz .LBB4_2212
; %bb.2209:                             ;   in Loop: Header=BB4_1703 Depth=2
	v_and_b32_e32 v5, 0x7f, v2
	v_cmp_ne_u32_e32 vcc, s71, v5
	v_mov_b32_e32 v4, 0x7f800001
	s_and_saveexec_b64 s[54:55], vcc
	s_cbranch_execz .LBB4_2211
; %bb.2210:                             ;   in Loop: Header=BB4_1703 Depth=2
	v_and_b32_e32 v4, 7, v2
	v_ffbh_u32_e32 v6, v4
	v_min_u32_e32 v9, 32, v6
	v_subrev_u32_e32 v6, 28, v9
	v_lshlrev_b64 v[6:7], v6, v[2:3]
	v_lshrrev_b32_e32 v8, 3, v5
	v_sub_u32_e32 v2, 29, v9
	v_and_b32_e32 v6, 7, v6
	v_cmp_gt_u32_e32 vcc, 8, v5
	v_cndmask_b32_e32 v2, v8, v2, vcc
	v_cndmask_b32_e32 v4, v4, v6, vcc
	v_lshlrev_b32_e32 v5, 16, v52
	v_lshlrev_b32_e32 v4, 20, v4
	v_and_b32_e32 v5, 0x80000000, v5
	v_lshl_add_u32 v2, v2, 23, v27
	v_or3_b32 v4, v5, v2, v4
.LBB4_2211:                             ;   in Loop: Header=BB4_1703 Depth=2
	s_or_b64 exec, exec, s[54:55]
.LBB4_2212:                             ;   in Loop: Header=BB4_1703 Depth=2
	s_or_b64 exec, exec, s[52:53]
.LBB4_2213:                             ;   in Loop: Header=BB4_1703 Depth=2
	s_or_b64 exec, exec, s[18:19]
	v_mov_b32_e32 v2, v11
	v_lshrrev_b16_e32 v18, 8, v2
	v_cmp_ne_u16_e32 vcc, 0, v18
	s_and_saveexec_b64 s[18:19], vcc
	s_cbranch_execz .LBB4_2219
; %bb.2214:                             ;   in Loop: Header=BB4_1703 Depth=2
	v_cmp_ne_u16_e32 vcc, s69, v18
	v_bfrev_b32_e32 v3, 1
	s_and_saveexec_b64 s[52:53], vcc
	s_cbranch_execz .LBB4_2218
; %bb.2215:                             ;   in Loop: Header=BB4_1703 Depth=2
	v_and_b32_e32 v5, 0x7f, v18
	v_cmp_ne_u32_e32 vcc, s71, v5
	v_mov_b32_e32 v3, 0x7f800001
	s_and_saveexec_b64 s[54:55], vcc
	s_cbranch_execz .LBB4_2217
; %bb.2216:                             ;   in Loop: Header=BB4_1703 Depth=2
	v_and_b32_e32 v3, 7, v18
	v_ffbh_u32_e32 v6, v3
	v_min_u32_e32 v9, 32, v6
	v_subrev_u32_e32 v6, 28, v9
	v_lshlrev_b64 v[6:7], v6, v[18:19]
	v_lshrrev_b32_e32 v8, 3, v5
	v_sub_u32_e32 v7, 29, v9
	v_and_b32_e32 v6, 7, v6
	v_cmp_gt_u32_e32 vcc, 8, v5
	v_cndmask_b32_e32 v5, v8, v7, vcc
	v_cndmask_b32_e32 v3, v3, v6, vcc
	v_lshlrev_b32_e32 v2, 16, v2
	v_lshlrev_b32_e32 v3, 20, v3
	v_and_b32_e32 v2, 0x80000000, v2
	v_lshl_add_u32 v5, v5, 23, v27
	v_or3_b32 v3, v2, v5, v3
.LBB4_2217:                             ;   in Loop: Header=BB4_1703 Depth=2
	s_or_b64 exec, exec, s[54:55]
.LBB4_2218:                             ;   in Loop: Header=BB4_1703 Depth=2
	s_or_b64 exec, exec, s[52:53]
.LBB4_2219:                             ;   in Loop: Header=BB4_1703 Depth=2
	s_or_b64 exec, exec, s[18:19]
	v_add_f32_e32 v2, v4, v3
	v_and_b32_sdwa v4, v2, s69 dst_sel:DWORD dst_unused:UNUSED_PAD src0_sel:BYTE_3 src1_sel:DWORD
	v_and_b32_e32 v6, 0x7f800000, v2
	v_mov_b32_e32 v7, v53
	v_and_b32_e32 v52, 0x7fffff, v2
	v_or_b32_e32 v18, 0x7e, v4
	v_cmp_ne_u64_e32 vcc, s[38:39], v[6:7]
	s_and_saveexec_b64 s[18:19], vcc
	s_xor_b64 s[52:53], exec, s[18:19]
	s_cbranch_execz .LBB4_2229
; %bb.2220:                             ;   in Loop: Header=BB4_1703 Depth=2
	v_and_b32_e32 v6, 0x7fffffff, v2
	v_mov_b32_e32 v7, v53
	v_cmp_gt_u64_e32 vcc, s[40:41], v[6:7]
	s_and_saveexec_b64 s[54:55], vcc
	s_cbranch_execz .LBB4_2228
; %bb.2221:                             ;   in Loop: Header=BB4_1703 Depth=2
	v_cmp_ne_u32_e32 vcc, 0, v2
	v_mov_b32_e32 v18, 0
	s_and_saveexec_b64 s[56:57], vcc
	s_cbranch_execz .LBB4_2227
; %bb.2222:                             ;   in Loop: Header=BB4_1703 Depth=2
	v_bfe_u32 v2, v2, 23, 8
	v_sub_u32_e32 v5, 0x79, v2
	v_cmp_gt_u32_e32 vcc, s72, v2
	v_add_u32_e32 v3, 0xffffff81, v2
	v_cndmask_b32_e32 v5, 0, v5, vcc
	v_cmp_eq_u32_e32 vcc, 0, v2
	v_mov_b32_e32 v2, 0xffffff82
	v_cndmask_b32_e32 v18, v3, v2, vcc
	v_mov_b32_e32 v2, 0x78
	v_or_b32_e32 v6, 0x800000, v52
	v_cndmask_b32_e32 v5, v5, v2, vcc
	v_cndmask_b32_e32 v52, v6, v52, vcc
	v_add_u32_e32 v2, 20, v5
	v_lshlrev_b64 v[2:3], v2, -1
	v_lshrrev_b64 v[8:9], v5, v[52:53]
	v_not_b32_e32 v3, v3
	v_not_b32_e32 v2, v2
	v_add_u32_e32 v6, 19, v5
	v_lshrrev_b32_e32 v48, 23, v8
	v_and_b32_e32 v3, 0, v3
	v_and_b32_e32 v2, v52, v2
	v_lshlrev_b64 v[6:7], v6, 1
	v_add3_u32 v48, v5, v18, v48
	v_bfe_u32 v5, v8, 20, 1
	v_add_u32_e32 v5, -1, v5
	v_cmp_eq_u64_e32 vcc, v[2:3], v[6:7]
	v_cndmask_b32_e32 v2, 0, v5, vcc
	v_add_u32_e32 v2, v2, v8
	v_and_b32_e32 v2, 0xfffff, v2
	v_add_co_u32_e32 v2, vcc, v2, v8
	v_add_u32_e32 v18, 6, v48
	v_addc_co_u32_e32 v3, vcc, 0, v9, vcc
	v_cmp_ne_u32_e32 vcc, 0, v18
                                        ; implicit-def: $vgpr5
	s_and_saveexec_b64 s[18:19], vcc
	s_xor_b64 s[18:19], exec, s[18:19]
; %bb.2223:                             ;   in Loop: Header=BB4_1703 Depth=2
	v_cmp_lt_u64_e32 vcc, s[44:45], v[2:3]
	v_add_u32_e32 v5, 7, v48
	v_cndmask_b32_e64 v6, 0, 1, vcc
	v_cndmask_b32_e32 v5, v18, v5, vcc
	v_lshrrev_b64 v[2:3], v6, v[2:3]
; %bb.2224:                             ;   in Loop: Header=BB4_1703 Depth=2
	s_andn2_saveexec_b64 s[18:19], s[18:19]
; %bb.2225:                             ;   in Loop: Header=BB4_1703 Depth=2
	v_bfe_u32 v5, v2, 23, 1
; %bb.2226:                             ;   in Loop: Header=BB4_1703 Depth=2
	s_or_b64 exec, exec, s[18:19]
	v_lshrrev_b64 v[2:3], 20, v[2:3]
	v_cmp_gt_i32_e32 vcc, 16, v5
	v_cndmask_b32_e32 v3, 0, v3, vcc
	v_cndmask_b32_e32 v2, 7, v2, vcc
	v_cmp_eq_u64_e64 s[18:19], 0, v[2:3]
	v_min_i32_e32 v3, 15, v5
	v_cmp_eq_u32_e32 vcc, 0, v5
	v_lshlrev_b32_e32 v3, 3, v3
	v_and_or_b32 v2, v2, 7, v3
	s_and_b64 s[18:19], vcc, s[18:19]
	v_cndmask_b32_e64 v2, v2, 0, s[18:19]
	v_or_b32_e32 v18, v2, v4
.LBB4_2227:                             ;   in Loop: Header=BB4_1703 Depth=2
	s_or_b64 exec, exec, s[56:57]
.LBB4_2228:                             ;   in Loop: Header=BB4_1703 Depth=2
	s_or_b64 exec, exec, s[54:55]
                                        ; implicit-def: $vgpr2
.LBB4_2229:                             ;   in Loop: Header=BB4_1703 Depth=2
	s_andn2_saveexec_b64 s[18:19], s[52:53]
; %bb.2230:                             ;   in Loop: Header=BB4_1703 Depth=2
	v_or_b32_sdwa v2, v2, s71 dst_sel:DWORD dst_unused:UNUSED_PAD src0_sel:BYTE_3 src1_sel:DWORD
	v_cmp_eq_u64_e32 vcc, 0, v[52:53]
	v_cndmask_b32_e32 v18, v2, v18, vcc
; %bb.2231:                             ;   in Loop: Header=BB4_1703 Depth=2
	s_or_b64 exec, exec, s[18:19]
	v_lshrrev_b32_e32 v2, 16, v15
	v_cmp_ne_u16_sdwa vcc, v2, v53 src0_sel:BYTE_0 src1_sel:DWORD
	v_mov_b32_e32 v3, 0
	v_mov_b32_e32 v4, 0
	s_and_saveexec_b64 s[18:19], vcc
	s_cbranch_execz .LBB4_2237
; %bb.2232:                             ;   in Loop: Header=BB4_1703 Depth=2
	v_cmp_ne_u16_sdwa vcc, v2, s69 src0_sel:BYTE_0 src1_sel:DWORD
	v_bfrev_b32_e32 v4, 1
	s_and_saveexec_b64 s[52:53], vcc
	s_cbranch_execz .LBB4_2236
; %bb.2233:                             ;   in Loop: Header=BB4_1703 Depth=2
	v_bfe_u32 v5, v15, 16, 7
	v_cmp_ne_u32_e32 vcc, s71, v5
	v_mov_b32_e32 v4, 0x7f800001
	s_and_saveexec_b64 s[54:55], vcc
	s_cbranch_execz .LBB4_2235
; %bb.2234:                             ;   in Loop: Header=BB4_1703 Depth=2
	v_and_b32_e32 v4, 7, v2
	v_ffbh_u32_e32 v6, v4
	v_min_u32_e32 v9, 32, v6
	v_subrev_u32_e32 v6, 28, v9
	v_lshlrev_b64 v[6:7], v6, v[2:3]
	v_lshrrev_b32_e32 v8, 3, v5
	v_sub_u32_e32 v7, 29, v9
	v_and_b32_e32 v6, 7, v6
	v_cmp_gt_u32_e32 vcc, 8, v5
	v_cndmask_b32_e32 v5, v8, v7, vcc
	v_cndmask_b32_e32 v4, v4, v6, vcc
	v_lshlrev_b32_e32 v2, 24, v2
	v_lshlrev_b32_e32 v4, 20, v4
	v_and_b32_e32 v2, 0x80000000, v2
	v_lshl_add_u32 v5, v5, 23, v27
	v_or3_b32 v4, v2, v5, v4
.LBB4_2235:                             ;   in Loop: Header=BB4_1703 Depth=2
	s_or_b64 exec, exec, s[54:55]
.LBB4_2236:                             ;   in Loop: Header=BB4_1703 Depth=2
	s_or_b64 exec, exec, s[52:53]
.LBB4_2237:                             ;   in Loop: Header=BB4_1703 Depth=2
	s_or_b64 exec, exec, s[18:19]
	v_lshrrev_b32_e32 v2, 16, v11
	v_cmp_ne_u16_sdwa vcc, v2, v53 src0_sel:BYTE_0 src1_sel:DWORD
	s_and_saveexec_b64 s[18:19], vcc
	s_cbranch_execz .LBB4_2243
; %bb.2238:                             ;   in Loop: Header=BB4_1703 Depth=2
	v_cmp_ne_u16_sdwa vcc, v2, s69 src0_sel:BYTE_0 src1_sel:DWORD
	v_bfrev_b32_e32 v3, 1
	s_and_saveexec_b64 s[52:53], vcc
	s_cbranch_execz .LBB4_2242
; %bb.2239:                             ;   in Loop: Header=BB4_1703 Depth=2
	v_bfe_u32 v5, v11, 16, 7
	v_cmp_ne_u32_e32 vcc, s71, v5
	v_mov_b32_e32 v3, 0x7f800001
	s_and_saveexec_b64 s[54:55], vcc
	s_cbranch_execz .LBB4_2241
; %bb.2240:                             ;   in Loop: Header=BB4_1703 Depth=2
	v_and_b32_e32 v6, 7, v2
	v_ffbh_u32_e32 v3, v6
	v_min_u32_e32 v8, 32, v3
	v_subrev_u32_e32 v3, 28, v8
	v_lshlrev_b64 v[2:3], v3, v[2:3]
	v_lshrrev_b32_e32 v7, 3, v5
	v_sub_u32_e32 v3, 29, v8
	v_and_b32_e32 v2, 7, v2
	v_cmp_gt_u32_e32 vcc, 8, v5
	v_cndmask_b32_e32 v3, v7, v3, vcc
	v_cndmask_b32_e32 v2, v6, v2, vcc
	v_lshlrev_b32_e32 v5, 8, v11
	v_lshlrev_b32_e32 v2, 20, v2
	v_and_b32_e32 v5, 0x80000000, v5
	v_lshl_add_u32 v3, v3, 23, v27
	v_or3_b32 v3, v5, v3, v2
.LBB4_2241:                             ;   in Loop: Header=BB4_1703 Depth=2
	s_or_b64 exec, exec, s[54:55]
.LBB4_2242:                             ;   in Loop: Header=BB4_1703 Depth=2
	s_or_b64 exec, exec, s[52:53]
.LBB4_2243:                             ;   in Loop: Header=BB4_1703 Depth=2
	s_or_b64 exec, exec, s[18:19]
	v_add_f32_e32 v2, v4, v3
	v_and_b32_sdwa v4, v2, s69 dst_sel:DWORD dst_unused:UNUSED_PAD src0_sel:BYTE_3 src1_sel:DWORD
	v_and_b32_e32 v6, 0x7f800000, v2
	v_mov_b32_e32 v7, v53
	v_and_b32_e32 v52, 0x7fffff, v2
	v_or_b32_e32 v51, 0x7e, v4
	v_cmp_ne_u64_e32 vcc, s[38:39], v[6:7]
	s_and_saveexec_b64 s[18:19], vcc
	s_xor_b64 s[52:53], exec, s[18:19]
	s_cbranch_execz .LBB4_2253
; %bb.2244:                             ;   in Loop: Header=BB4_1703 Depth=2
	v_and_b32_e32 v6, 0x7fffffff, v2
	v_mov_b32_e32 v7, v53
	v_cmp_gt_u64_e32 vcc, s[40:41], v[6:7]
	s_and_saveexec_b64 s[54:55], vcc
	s_cbranch_execz .LBB4_2252
; %bb.2245:                             ;   in Loop: Header=BB4_1703 Depth=2
	v_cmp_ne_u32_e32 vcc, 0, v2
	v_mov_b32_e32 v51, 0
	s_and_saveexec_b64 s[56:57], vcc
	s_cbranch_execz .LBB4_2251
; %bb.2246:                             ;   in Loop: Header=BB4_1703 Depth=2
	v_bfe_u32 v2, v2, 23, 8
	v_sub_u32_e32 v5, 0x79, v2
	v_cmp_gt_u32_e32 vcc, s72, v2
	v_add_u32_e32 v3, 0xffffff81, v2
	v_cndmask_b32_e32 v5, 0, v5, vcc
	v_cmp_eq_u32_e32 vcc, 0, v2
	v_mov_b32_e32 v2, 0xffffff82
	v_cndmask_b32_e32 v48, v3, v2, vcc
	v_mov_b32_e32 v2, 0x78
	v_or_b32_e32 v6, 0x800000, v52
	v_cndmask_b32_e32 v5, v5, v2, vcc
	v_cndmask_b32_e32 v52, v6, v52, vcc
	v_add_u32_e32 v2, 20, v5
	v_lshlrev_b64 v[2:3], v2, -1
	v_lshrrev_b64 v[8:9], v5, v[52:53]
	v_not_b32_e32 v3, v3
	v_not_b32_e32 v2, v2
	v_add_u32_e32 v6, 19, v5
	v_lshrrev_b32_e32 v49, 23, v8
	v_and_b32_e32 v3, 0, v3
	v_and_b32_e32 v2, v52, v2
	v_lshlrev_b64 v[6:7], v6, 1
	v_add3_u32 v49, v5, v48, v49
	v_bfe_u32 v5, v8, 20, 1
	v_add_u32_e32 v5, -1, v5
	v_cmp_eq_u64_e32 vcc, v[2:3], v[6:7]
	v_cndmask_b32_e32 v2, 0, v5, vcc
	v_add_u32_e32 v2, v2, v8
	v_and_b32_e32 v2, 0xfffff, v2
	v_add_co_u32_e32 v2, vcc, v2, v8
	v_add_u32_e32 v48, 6, v49
	v_addc_co_u32_e32 v3, vcc, 0, v9, vcc
	v_cmp_ne_u32_e32 vcc, 0, v48
                                        ; implicit-def: $vgpr5
	s_and_saveexec_b64 s[18:19], vcc
	s_xor_b64 s[18:19], exec, s[18:19]
; %bb.2247:                             ;   in Loop: Header=BB4_1703 Depth=2
	v_cmp_lt_u64_e32 vcc, s[44:45], v[2:3]
	v_add_u32_e32 v5, 7, v49
	v_cndmask_b32_e64 v6, 0, 1, vcc
	v_cndmask_b32_e32 v5, v48, v5, vcc
	v_lshrrev_b64 v[2:3], v6, v[2:3]
; %bb.2248:                             ;   in Loop: Header=BB4_1703 Depth=2
	s_andn2_saveexec_b64 s[18:19], s[18:19]
; %bb.2249:                             ;   in Loop: Header=BB4_1703 Depth=2
	v_bfe_u32 v5, v2, 23, 1
; %bb.2250:                             ;   in Loop: Header=BB4_1703 Depth=2
	s_or_b64 exec, exec, s[18:19]
	v_lshrrev_b64 v[2:3], 20, v[2:3]
	v_cmp_gt_i32_e32 vcc, 16, v5
	v_cndmask_b32_e32 v3, 0, v3, vcc
	v_cndmask_b32_e32 v2, 7, v2, vcc
	v_cmp_eq_u64_e64 s[18:19], 0, v[2:3]
	v_min_i32_e32 v3, 15, v5
	v_lshlrev_b32_e32 v3, 3, v3
	v_cmp_eq_u32_e32 vcc, 0, v5
	v_and_b32_e32 v3, 0xf8, v3
	v_and_or_b32 v2, v2, 7, v3
	s_and_b64 s[18:19], vcc, s[18:19]
	v_cndmask_b32_e64 v2, v2, 0, s[18:19]
	v_or_b32_e32 v51, v2, v4
.LBB4_2251:                             ;   in Loop: Header=BB4_1703 Depth=2
	s_or_b64 exec, exec, s[56:57]
.LBB4_2252:                             ;   in Loop: Header=BB4_1703 Depth=2
	s_or_b64 exec, exec, s[54:55]
                                        ; implicit-def: $vgpr2
.LBB4_2253:                             ;   in Loop: Header=BB4_1703 Depth=2
	s_andn2_saveexec_b64 s[18:19], s[52:53]
; %bb.2254:                             ;   in Loop: Header=BB4_1703 Depth=2
	v_or_b32_sdwa v2, v2, s71 dst_sel:DWORD dst_unused:UNUSED_PAD src0_sel:BYTE_3 src1_sel:DWORD
	v_cmp_eq_u64_e32 vcc, 0, v[52:53]
	v_cndmask_b32_e32 v51, v2, v51, vcc
; %bb.2255:                             ;   in Loop: Header=BB4_1703 Depth=2
	s_or_b64 exec, exec, s[18:19]
	v_cmp_lt_u64_e32 vcc, s[42:43], v[14:15]
	v_mov_b32_e32 v3, 0
	v_mov_b32_e32 v4, 0
	s_and_saveexec_b64 s[18:19], vcc
	s_cbranch_execz .LBB4_2261
; %bb.2256:                             ;   in Loop: Header=BB4_1703 Depth=2
	v_lshrrev_b32_e32 v2, 24, v15
	v_cmp_ne_u32_e32 vcc, s69, v2
	v_bfrev_b32_e32 v4, 1
	s_and_saveexec_b64 s[52:53], vcc
	s_cbranch_execz .LBB4_2260
; %bb.2257:                             ;   in Loop: Header=BB4_1703 Depth=2
	v_bfe_u32 v5, v15, 24, 7
	v_cmp_ne_u32_e32 vcc, s71, v5
	v_mov_b32_e32 v4, 0x7f800001
	s_and_saveexec_b64 s[54:55], vcc
	s_cbranch_execz .LBB4_2259
; %bb.2258:                             ;   in Loop: Header=BB4_1703 Depth=2
	v_and_b32_e32 v4, 7, v2
	v_ffbh_u32_e32 v6, v4
	v_min_u32_e32 v9, 32, v6
	v_subrev_u32_e32 v6, 28, v9
	v_lshlrev_b64 v[6:7], v6, v[2:3]
	v_lshrrev_b32_e32 v8, 3, v5
	v_sub_u32_e32 v7, 29, v9
	v_and_b32_e32 v6, 7, v6
	v_cmp_gt_u32_e32 vcc, 8, v5
	v_cndmask_b32_e32 v5, v8, v7, vcc
	v_cndmask_b32_e32 v4, v4, v6, vcc
	v_lshlrev_b32_e32 v2, 24, v2
	v_lshlrev_b32_e32 v4, 20, v4
	v_and_b32_e32 v2, 0x80000000, v2
	v_lshl_add_u32 v5, v5, 23, v27
	v_or3_b32 v4, v2, v5, v4
.LBB4_2259:                             ;   in Loop: Header=BB4_1703 Depth=2
	s_or_b64 exec, exec, s[54:55]
.LBB4_2260:                             ;   in Loop: Header=BB4_1703 Depth=2
	s_or_b64 exec, exec, s[52:53]
.LBB4_2261:                             ;   in Loop: Header=BB4_1703 Depth=2
	s_or_b64 exec, exec, s[18:19]
	v_cmp_lt_u64_e32 vcc, s[42:43], v[10:11]
	s_and_saveexec_b64 s[18:19], vcc
	s_cbranch_execz .LBB4_2267
; %bb.2262:                             ;   in Loop: Header=BB4_1703 Depth=2
	v_lshrrev_b32_e32 v2, 24, v11
	v_cmp_ne_u32_e32 vcc, s69, v2
	v_bfrev_b32_e32 v3, 1
	s_and_saveexec_b64 s[52:53], vcc
	s_cbranch_execz .LBB4_2266
; %bb.2263:                             ;   in Loop: Header=BB4_1703 Depth=2
	v_bfe_u32 v5, v11, 24, 7
	v_cmp_ne_u32_e32 vcc, s71, v5
	v_mov_b32_e32 v3, 0x7f800001
	s_and_saveexec_b64 s[54:55], vcc
	s_cbranch_execz .LBB4_2265
; %bb.2264:                             ;   in Loop: Header=BB4_1703 Depth=2
	v_and_b32_e32 v3, 7, v2
	v_ffbh_u32_e32 v6, v3
	v_min_u32_e32 v9, 32, v6
	v_subrev_u32_e32 v6, 28, v9
	v_lshlrev_b64 v[6:7], v6, v[2:3]
	v_lshrrev_b32_e32 v8, 3, v5
	v_sub_u32_e32 v7, 29, v9
	v_and_b32_e32 v6, 7, v6
	v_cmp_gt_u32_e32 vcc, 8, v5
	v_cndmask_b32_e32 v5, v8, v7, vcc
	v_cndmask_b32_e32 v3, v3, v6, vcc
	v_lshlrev_b32_e32 v2, 24, v2
	v_lshlrev_b32_e32 v3, 20, v3
	v_and_b32_e32 v2, 0x80000000, v2
	v_lshl_add_u32 v5, v5, 23, v27
	v_or3_b32 v3, v2, v5, v3
.LBB4_2265:                             ;   in Loop: Header=BB4_1703 Depth=2
	s_or_b64 exec, exec, s[54:55]
.LBB4_2266:                             ;   in Loop: Header=BB4_1703 Depth=2
	s_or_b64 exec, exec, s[52:53]
.LBB4_2267:                             ;   in Loop: Header=BB4_1703 Depth=2
	s_or_b64 exec, exec, s[18:19]
	v_add_f32_e32 v2, v4, v3
	v_and_b32_sdwa v4, v2, s69 dst_sel:DWORD dst_unused:UNUSED_PAD src0_sel:BYTE_3 src1_sel:DWORD
	v_and_b32_e32 v6, 0x7f800000, v2
	v_mov_b32_e32 v7, v53
	v_and_b32_e32 v52, 0x7fffff, v2
	v_or_b32_e32 v11, 0x7e, v4
	v_cmp_ne_u64_e32 vcc, s[38:39], v[6:7]
	s_and_saveexec_b64 s[18:19], vcc
	s_xor_b64 s[52:53], exec, s[18:19]
	s_cbranch_execz .LBB4_2277
; %bb.2268:                             ;   in Loop: Header=BB4_1703 Depth=2
	v_and_b32_e32 v6, 0x7fffffff, v2
	v_mov_b32_e32 v7, v53
	v_cmp_gt_u64_e32 vcc, s[40:41], v[6:7]
	s_and_saveexec_b64 s[54:55], vcc
	s_cbranch_execz .LBB4_2276
; %bb.2269:                             ;   in Loop: Header=BB4_1703 Depth=2
	v_cmp_ne_u32_e32 vcc, 0, v2
	v_mov_b32_e32 v11, 0
	s_and_saveexec_b64 s[56:57], vcc
	s_cbranch_execz .LBB4_2275
; %bb.2270:                             ;   in Loop: Header=BB4_1703 Depth=2
	v_bfe_u32 v2, v2, 23, 8
	v_sub_u32_e32 v5, 0x79, v2
	v_cmp_gt_u32_e32 vcc, s72, v2
	v_add_u32_e32 v3, 0xffffff81, v2
	v_cndmask_b32_e32 v5, 0, v5, vcc
	v_cmp_eq_u32_e32 vcc, 0, v2
	v_mov_b32_e32 v2, 0xffffff82
	v_cndmask_b32_e32 v10, v3, v2, vcc
	v_mov_b32_e32 v2, 0x78
	v_or_b32_e32 v6, 0x800000, v52
	v_cndmask_b32_e32 v5, v5, v2, vcc
	v_cndmask_b32_e32 v52, v6, v52, vcc
	v_add_u32_e32 v2, 20, v5
	v_lshlrev_b64 v[2:3], v2, -1
	v_lshrrev_b64 v[8:9], v5, v[52:53]
	v_not_b32_e32 v3, v3
	v_not_b32_e32 v2, v2
	v_add_u32_e32 v6, 19, v5
	v_lshrrev_b32_e32 v11, 23, v8
	v_and_b32_e32 v3, 0, v3
	v_and_b32_e32 v2, v52, v2
	v_lshlrev_b64 v[6:7], v6, 1
	v_add3_u32 v11, v5, v10, v11
	v_bfe_u32 v5, v8, 20, 1
	v_add_u32_e32 v5, -1, v5
	v_cmp_eq_u64_e32 vcc, v[2:3], v[6:7]
	v_cndmask_b32_e32 v2, 0, v5, vcc
	v_add_u32_e32 v2, v2, v8
	v_and_b32_e32 v2, 0xfffff, v2
	v_add_co_u32_e32 v2, vcc, v2, v8
	v_add_u32_e32 v10, 6, v11
	v_addc_co_u32_e32 v3, vcc, 0, v9, vcc
	v_cmp_ne_u32_e32 vcc, 0, v10
                                        ; implicit-def: $vgpr5
	s_and_saveexec_b64 s[18:19], vcc
	s_xor_b64 s[18:19], exec, s[18:19]
; %bb.2271:                             ;   in Loop: Header=BB4_1703 Depth=2
	v_cmp_lt_u64_e32 vcc, s[44:45], v[2:3]
	v_add_u32_e32 v5, 7, v11
	v_cndmask_b32_e64 v6, 0, 1, vcc
	v_cndmask_b32_e32 v5, v10, v5, vcc
	v_lshrrev_b64 v[2:3], v6, v[2:3]
; %bb.2272:                             ;   in Loop: Header=BB4_1703 Depth=2
	s_andn2_saveexec_b64 s[18:19], s[18:19]
; %bb.2273:                             ;   in Loop: Header=BB4_1703 Depth=2
	v_bfe_u32 v5, v2, 23, 1
; %bb.2274:                             ;   in Loop: Header=BB4_1703 Depth=2
	s_or_b64 exec, exec, s[18:19]
	v_lshrrev_b64 v[2:3], 20, v[2:3]
	v_cmp_gt_i32_e32 vcc, 16, v5
	v_cndmask_b32_e32 v3, 0, v3, vcc
	v_cndmask_b32_e32 v2, 7, v2, vcc
	v_cmp_eq_u64_e64 s[18:19], 0, v[2:3]
	v_min_i32_e32 v3, 15, v5
	v_lshlrev_b32_e32 v3, 3, v3
	v_cmp_eq_u32_e32 vcc, 0, v5
	v_and_b32_e32 v3, 0xf8, v3
	v_and_or_b32 v2, v2, 7, v3
	s_and_b64 s[18:19], vcc, s[18:19]
	v_cndmask_b32_e64 v2, v2, 0, s[18:19]
	v_or_b32_e32 v11, v2, v4
.LBB4_2275:                             ;   in Loop: Header=BB4_1703 Depth=2
	s_or_b64 exec, exec, s[56:57]
.LBB4_2276:                             ;   in Loop: Header=BB4_1703 Depth=2
	s_or_b64 exec, exec, s[54:55]
                                        ; implicit-def: $vgpr2
.LBB4_2277:                             ;   in Loop: Header=BB4_1703 Depth=2
	s_andn2_saveexec_b64 s[18:19], s[52:53]
; %bb.2278:                             ;   in Loop: Header=BB4_1703 Depth=2
	v_or_b32_sdwa v2, v2, s71 dst_sel:DWORD dst_unused:UNUSED_PAD src0_sel:BYTE_3 src1_sel:DWORD
	v_cmp_eq_u64_e32 vcc, 0, v[52:53]
	v_cndmask_b32_e32 v11, v2, v11, vcc
; %bb.2279:                             ;   in Loop: Header=BB4_1703 Depth=2
	s_or_b64 exec, exec, s[18:19]
	v_cmp_ne_u16_sdwa vcc, v16, v53 src0_sel:BYTE_0 src1_sel:DWORD
	v_mov_b32_e32 v2, 0
	v_mov_b32_e32 v3, 0
	s_and_saveexec_b64 s[18:19], vcc
	s_cbranch_execz .LBB4_2285
; %bb.2280:                             ;   in Loop: Header=BB4_1703 Depth=2
	v_cmp_ne_u16_sdwa vcc, v16, s69 src0_sel:BYTE_0 src1_sel:DWORD
	v_bfrev_b32_e32 v3, 1
	s_and_saveexec_b64 s[52:53], vcc
	s_cbranch_execz .LBB4_2284
; %bb.2281:                             ;   in Loop: Header=BB4_1703 Depth=2
	v_and_b32_e32 v4, 0x7f, v16
	v_cmp_ne_u32_e32 vcc, s71, v4
	v_mov_b32_e32 v3, 0x7f800001
	s_and_saveexec_b64 s[54:55], vcc
	s_cbranch_execz .LBB4_2283
; %bb.2282:                             ;   in Loop: Header=BB4_1703 Depth=2
	v_and_b32_e32 v3, 7, v16
	v_ffbh_u32_e32 v3, v3
	v_min_u32_e32 v3, 32, v3
	v_subrev_u32_e32 v6, 28, v3
	v_cmp_gt_u32_e32 vcc, 8, v4
	v_lshrrev_b32_e32 v5, 3, v4
	v_sub_u32_e32 v3, 29, v3
	v_cndmask_b32_e32 v4, 0, v6, vcc
	v_cndmask_b32_e32 v3, v5, v3, vcc
	v_lshlrev_b64 v[4:5], v4, v[16:17]
	v_lshlrev_b32_e32 v4, 20, v4
	v_lshlrev_b32_e32 v5, 24, v16
	v_and_b32_e32 v4, 0x700000, v4
	v_and_b32_e32 v5, 0x80000000, v5
	v_lshl_add_u32 v3, v3, 23, v27
	v_or3_b32 v3, v5, v3, v4
.LBB4_2283:                             ;   in Loop: Header=BB4_1703 Depth=2
	s_or_b64 exec, exec, s[54:55]
.LBB4_2284:                             ;   in Loop: Header=BB4_1703 Depth=2
	s_or_b64 exec, exec, s[52:53]
.LBB4_2285:                             ;   in Loop: Header=BB4_1703 Depth=2
	s_or_b64 exec, exec, s[18:19]
	v_cmp_ne_u16_sdwa vcc, v12, v53 src0_sel:BYTE_0 src1_sel:DWORD
	s_and_saveexec_b64 s[18:19], vcc
	s_cbranch_execz .LBB4_2291
; %bb.2286:                             ;   in Loop: Header=BB4_1703 Depth=2
	v_cmp_ne_u16_sdwa vcc, v12, s69 src0_sel:BYTE_0 src1_sel:DWORD
	v_bfrev_b32_e32 v2, 1
	s_and_saveexec_b64 s[52:53], vcc
	s_cbranch_execz .LBB4_2290
; %bb.2287:                             ;   in Loop: Header=BB4_1703 Depth=2
	v_and_b32_e32 v4, 0x7f, v12
	v_cmp_ne_u32_e32 vcc, s71, v4
	v_mov_b32_e32 v2, 0x7f800001
	s_and_saveexec_b64 s[54:55], vcc
	s_cbranch_execz .LBB4_2289
; %bb.2288:                             ;   in Loop: Header=BB4_1703 Depth=2
	v_and_b32_e32 v2, 7, v12
	v_ffbh_u32_e32 v2, v2
	v_min_u32_e32 v2, 32, v2
	v_subrev_u32_e32 v6, 28, v2
	v_cmp_gt_u32_e32 vcc, 8, v4
	v_lshrrev_b32_e32 v5, 3, v4
	v_sub_u32_e32 v2, 29, v2
	v_cndmask_b32_e32 v4, 0, v6, vcc
	v_cndmask_b32_e32 v2, v5, v2, vcc
	v_lshlrev_b64 v[4:5], v4, v[12:13]
	v_lshlrev_b32_e32 v4, 20, v4
	v_lshlrev_b32_e32 v5, 24, v12
	v_and_b32_e32 v4, 0x700000, v4
	v_and_b32_e32 v5, 0x80000000, v5
	v_lshl_add_u32 v2, v2, 23, v27
	v_or3_b32 v2, v5, v2, v4
.LBB4_2289:                             ;   in Loop: Header=BB4_1703 Depth=2
	s_or_b64 exec, exec, s[54:55]
.LBB4_2290:                             ;   in Loop: Header=BB4_1703 Depth=2
	s_or_b64 exec, exec, s[52:53]
.LBB4_2291:                             ;   in Loop: Header=BB4_1703 Depth=2
	s_or_b64 exec, exec, s[18:19]
	v_add_f32_e32 v2, v3, v2
	v_and_b32_sdwa v4, v2, s69 dst_sel:DWORD dst_unused:UNUSED_PAD src0_sel:BYTE_3 src1_sel:DWORD
	v_and_b32_e32 v6, 0x7f800000, v2
	v_mov_b32_e32 v7, v53
	v_and_b32_e32 v52, 0x7fffff, v2
	v_or_b32_e32 v14, 0x7e, v4
	v_cmp_ne_u64_e32 vcc, s[38:39], v[6:7]
	s_and_saveexec_b64 s[18:19], vcc
	s_xor_b64 s[52:53], exec, s[18:19]
	s_cbranch_execz .LBB4_2301
; %bb.2292:                             ;   in Loop: Header=BB4_1703 Depth=2
	v_and_b32_e32 v6, 0x7fffffff, v2
	v_mov_b32_e32 v7, v53
	v_cmp_gt_u64_e32 vcc, s[40:41], v[6:7]
	s_and_saveexec_b64 s[54:55], vcc
	s_cbranch_execz .LBB4_2300
; %bb.2293:                             ;   in Loop: Header=BB4_1703 Depth=2
	v_cmp_ne_u32_e32 vcc, 0, v2
	v_mov_b32_e32 v14, 0
	s_and_saveexec_b64 s[56:57], vcc
	s_cbranch_execz .LBB4_2299
; %bb.2294:                             ;   in Loop: Header=BB4_1703 Depth=2
	v_bfe_u32 v2, v2, 23, 8
	v_sub_u32_e32 v5, 0x79, v2
	v_cmp_gt_u32_e32 vcc, s72, v2
	v_add_u32_e32 v3, 0xffffff81, v2
	v_cndmask_b32_e32 v5, 0, v5, vcc
	v_cmp_eq_u32_e32 vcc, 0, v2
	v_mov_b32_e32 v2, 0xffffff82
	v_cndmask_b32_e32 v10, v3, v2, vcc
	v_mov_b32_e32 v2, 0x78
	v_or_b32_e32 v6, 0x800000, v52
	v_cndmask_b32_e32 v5, v5, v2, vcc
	v_cndmask_b32_e32 v52, v6, v52, vcc
	v_add_u32_e32 v2, 20, v5
	v_lshlrev_b64 v[2:3], v2, -1
	v_lshrrev_b64 v[8:9], v5, v[52:53]
	v_not_b32_e32 v3, v3
	v_not_b32_e32 v2, v2
	v_add_u32_e32 v6, 19, v5
	v_lshrrev_b32_e32 v14, 23, v8
	v_and_b32_e32 v3, 0, v3
	v_and_b32_e32 v2, v52, v2
	v_lshlrev_b64 v[6:7], v6, 1
	v_add3_u32 v14, v5, v10, v14
	v_bfe_u32 v5, v8, 20, 1
	v_add_u32_e32 v5, -1, v5
	v_cmp_eq_u64_e32 vcc, v[2:3], v[6:7]
	v_cndmask_b32_e32 v2, 0, v5, vcc
	v_add_u32_e32 v2, v2, v8
	v_and_b32_e32 v2, 0xfffff, v2
	v_add_co_u32_e32 v2, vcc, v2, v8
	v_add_u32_e32 v10, 6, v14
	v_addc_co_u32_e32 v3, vcc, 0, v9, vcc
	v_cmp_ne_u32_e32 vcc, 0, v10
                                        ; implicit-def: $vgpr5
	s_and_saveexec_b64 s[18:19], vcc
	s_xor_b64 s[18:19], exec, s[18:19]
; %bb.2295:                             ;   in Loop: Header=BB4_1703 Depth=2
	v_cmp_lt_u64_e32 vcc, s[44:45], v[2:3]
	v_add_u32_e32 v5, 7, v14
	v_cndmask_b32_e64 v6, 0, 1, vcc
	v_cndmask_b32_e32 v5, v10, v5, vcc
	v_lshrrev_b64 v[2:3], v6, v[2:3]
; %bb.2296:                             ;   in Loop: Header=BB4_1703 Depth=2
	s_andn2_saveexec_b64 s[18:19], s[18:19]
; %bb.2297:                             ;   in Loop: Header=BB4_1703 Depth=2
	v_bfe_u32 v5, v2, 23, 1
; %bb.2298:                             ;   in Loop: Header=BB4_1703 Depth=2
	s_or_b64 exec, exec, s[18:19]
	v_lshrrev_b64 v[2:3], 20, v[2:3]
	v_cmp_gt_i32_e32 vcc, 16, v5
	v_cndmask_b32_e32 v3, 0, v3, vcc
	v_cndmask_b32_e32 v2, 7, v2, vcc
	v_cmp_eq_u64_e64 s[18:19], 0, v[2:3]
	v_min_i32_e32 v3, 15, v5
	v_cmp_eq_u32_e32 vcc, 0, v5
	v_lshlrev_b32_e32 v3, 3, v3
	v_and_or_b32 v2, v2, 7, v3
	s_and_b64 s[18:19], vcc, s[18:19]
	v_cndmask_b32_e64 v2, v2, 0, s[18:19]
	v_or_b32_e32 v14, v2, v4
.LBB4_2299:                             ;   in Loop: Header=BB4_1703 Depth=2
	s_or_b64 exec, exec, s[56:57]
.LBB4_2300:                             ;   in Loop: Header=BB4_1703 Depth=2
	s_or_b64 exec, exec, s[54:55]
                                        ; implicit-def: $vgpr2
.LBB4_2301:                             ;   in Loop: Header=BB4_1703 Depth=2
	s_andn2_saveexec_b64 s[18:19], s[52:53]
; %bb.2302:                             ;   in Loop: Header=BB4_1703 Depth=2
	v_or_b32_sdwa v2, v2, s71 dst_sel:DWORD dst_unused:UNUSED_PAD src0_sel:BYTE_3 src1_sel:DWORD
	v_cmp_eq_u64_e32 vcc, 0, v[52:53]
	v_cndmask_b32_e32 v14, v2, v14, vcc
; %bb.2303:                             ;   in Loop: Header=BB4_1703 Depth=2
	s_or_b64 exec, exec, s[18:19]
	v_lshrrev_b16_e32 v2, 8, v16
	v_cmp_ne_u16_e32 vcc, 0, v2
	v_mov_b32_e32 v3, 0
	v_mov_b32_e32 v4, 0
	s_and_saveexec_b64 s[18:19], vcc
	s_cbranch_execz .LBB4_2309
; %bb.2304:                             ;   in Loop: Header=BB4_1703 Depth=2
	v_cmp_ne_u16_e32 vcc, s69, v2
	v_bfrev_b32_e32 v4, 1
	s_and_saveexec_b64 s[52:53], vcc
	s_cbranch_execz .LBB4_2308
; %bb.2305:                             ;   in Loop: Header=BB4_1703 Depth=2
	v_and_b32_e32 v5, 0x7f, v2
	v_cmp_ne_u32_e32 vcc, s71, v5
	v_mov_b32_e32 v4, 0x7f800001
	s_and_saveexec_b64 s[54:55], vcc
	s_cbranch_execz .LBB4_2307
; %bb.2306:                             ;   in Loop: Header=BB4_1703 Depth=2
	v_and_b32_e32 v4, 7, v2
	v_ffbh_u32_e32 v6, v4
	v_min_u32_e32 v9, 32, v6
	v_subrev_u32_e32 v6, 28, v9
	v_lshlrev_b64 v[6:7], v6, v[2:3]
	v_lshrrev_b32_e32 v8, 3, v5
	v_sub_u32_e32 v2, 29, v9
	v_and_b32_e32 v6, 7, v6
	v_cmp_gt_u32_e32 vcc, 8, v5
	v_cndmask_b32_e32 v2, v8, v2, vcc
	v_cndmask_b32_e32 v4, v4, v6, vcc
	v_lshlrev_b32_e32 v5, 16, v16
	v_lshlrev_b32_e32 v4, 20, v4
	v_and_b32_e32 v5, 0x80000000, v5
	v_lshl_add_u32 v2, v2, 23, v27
	v_or3_b32 v4, v5, v2, v4
.LBB4_2307:                             ;   in Loop: Header=BB4_1703 Depth=2
	s_or_b64 exec, exec, s[54:55]
.LBB4_2308:                             ;   in Loop: Header=BB4_1703 Depth=2
	s_or_b64 exec, exec, s[52:53]
.LBB4_2309:                             ;   in Loop: Header=BB4_1703 Depth=2
	s_or_b64 exec, exec, s[18:19]
	v_lshrrev_b16_e32 v2, 8, v12
	v_cmp_ne_u16_e32 vcc, 0, v2
	s_and_saveexec_b64 s[18:19], vcc
	s_cbranch_execz .LBB4_2315
; %bb.2310:                             ;   in Loop: Header=BB4_1703 Depth=2
	v_cmp_ne_u16_e32 vcc, s69, v2
	v_bfrev_b32_e32 v3, 1
	s_and_saveexec_b64 s[52:53], vcc
	s_cbranch_execz .LBB4_2314
; %bb.2311:                             ;   in Loop: Header=BB4_1703 Depth=2
	v_and_b32_e32 v5, 0x7f, v2
	v_cmp_ne_u32_e32 vcc, s71, v5
	v_mov_b32_e32 v3, 0x7f800001
	s_and_saveexec_b64 s[54:55], vcc
	s_cbranch_execz .LBB4_2313
; %bb.2312:                             ;   in Loop: Header=BB4_1703 Depth=2
	v_and_b32_e32 v6, 7, v2
	v_ffbh_u32_e32 v3, v6
	v_min_u32_e32 v8, 32, v3
	v_subrev_u32_e32 v3, 28, v8
	v_lshlrev_b64 v[2:3], v3, v[2:3]
	v_lshrrev_b32_e32 v7, 3, v5
	v_sub_u32_e32 v3, 29, v8
	v_and_b32_e32 v2, 7, v2
	v_cmp_gt_u32_e32 vcc, 8, v5
	v_cndmask_b32_e32 v3, v7, v3, vcc
	v_cndmask_b32_e32 v2, v6, v2, vcc
	v_lshlrev_b32_e32 v5, 16, v12
	v_lshlrev_b32_e32 v2, 20, v2
	v_and_b32_e32 v5, 0x80000000, v5
	v_lshl_add_u32 v3, v3, 23, v27
	v_or3_b32 v3, v5, v3, v2
.LBB4_2313:                             ;   in Loop: Header=BB4_1703 Depth=2
	s_or_b64 exec, exec, s[54:55]
.LBB4_2314:                             ;   in Loop: Header=BB4_1703 Depth=2
	s_or_b64 exec, exec, s[52:53]
.LBB4_2315:                             ;   in Loop: Header=BB4_1703 Depth=2
	s_or_b64 exec, exec, s[18:19]
	v_add_f32_e32 v2, v4, v3
	v_and_b32_sdwa v4, v2, s69 dst_sel:DWORD dst_unused:UNUSED_PAD src0_sel:BYTE_3 src1_sel:DWORD
	v_and_b32_e32 v6, 0x7f800000, v2
	v_mov_b32_e32 v7, v53
	v_and_b32_e32 v52, 0x7fffff, v2
	v_or_b32_e32 v15, 0x7e, v4
	v_cmp_ne_u64_e32 vcc, s[38:39], v[6:7]
	s_and_saveexec_b64 s[18:19], vcc
	s_xor_b64 s[52:53], exec, s[18:19]
	s_cbranch_execz .LBB4_2325
; %bb.2316:                             ;   in Loop: Header=BB4_1703 Depth=2
	v_and_b32_e32 v6, 0x7fffffff, v2
	v_mov_b32_e32 v7, v53
	v_cmp_gt_u64_e32 vcc, s[40:41], v[6:7]
	s_and_saveexec_b64 s[54:55], vcc
	s_cbranch_execz .LBB4_2324
; %bb.2317:                             ;   in Loop: Header=BB4_1703 Depth=2
	v_cmp_ne_u32_e32 vcc, 0, v2
	v_mov_b32_e32 v15, 0
	s_and_saveexec_b64 s[56:57], vcc
	s_cbranch_execz .LBB4_2323
; %bb.2318:                             ;   in Loop: Header=BB4_1703 Depth=2
	v_bfe_u32 v2, v2, 23, 8
	v_sub_u32_e32 v5, 0x79, v2
	v_cmp_gt_u32_e32 vcc, s72, v2
	v_add_u32_e32 v3, 0xffffff81, v2
	v_cndmask_b32_e32 v5, 0, v5, vcc
	v_cmp_eq_u32_e32 vcc, 0, v2
	v_mov_b32_e32 v2, 0xffffff82
	v_cndmask_b32_e32 v10, v3, v2, vcc
	v_mov_b32_e32 v2, 0x78
	v_or_b32_e32 v6, 0x800000, v52
	v_cndmask_b32_e32 v5, v5, v2, vcc
	v_cndmask_b32_e32 v52, v6, v52, vcc
	v_add_u32_e32 v2, 20, v5
	v_lshlrev_b64 v[2:3], v2, -1
	v_lshrrev_b64 v[8:9], v5, v[52:53]
	v_not_b32_e32 v3, v3
	v_not_b32_e32 v2, v2
	v_add_u32_e32 v6, 19, v5
	v_lshrrev_b32_e32 v15, 23, v8
	v_and_b32_e32 v3, 0, v3
	v_and_b32_e32 v2, v52, v2
	v_lshlrev_b64 v[6:7], v6, 1
	v_add3_u32 v15, v5, v10, v15
	v_bfe_u32 v5, v8, 20, 1
	v_add_u32_e32 v5, -1, v5
	v_cmp_eq_u64_e32 vcc, v[2:3], v[6:7]
	v_cndmask_b32_e32 v2, 0, v5, vcc
	v_add_u32_e32 v2, v2, v8
	v_and_b32_e32 v2, 0xfffff, v2
	v_add_co_u32_e32 v2, vcc, v2, v8
	v_add_u32_e32 v10, 6, v15
	v_addc_co_u32_e32 v3, vcc, 0, v9, vcc
	v_cmp_ne_u32_e32 vcc, 0, v10
                                        ; implicit-def: $vgpr5
	s_and_saveexec_b64 s[18:19], vcc
	s_xor_b64 s[18:19], exec, s[18:19]
; %bb.2319:                             ;   in Loop: Header=BB4_1703 Depth=2
	v_cmp_lt_u64_e32 vcc, s[44:45], v[2:3]
	v_add_u32_e32 v5, 7, v15
	v_cndmask_b32_e64 v6, 0, 1, vcc
	v_cndmask_b32_e32 v5, v10, v5, vcc
	v_lshrrev_b64 v[2:3], v6, v[2:3]
; %bb.2320:                             ;   in Loop: Header=BB4_1703 Depth=2
	s_andn2_saveexec_b64 s[18:19], s[18:19]
; %bb.2321:                             ;   in Loop: Header=BB4_1703 Depth=2
	v_bfe_u32 v5, v2, 23, 1
; %bb.2322:                             ;   in Loop: Header=BB4_1703 Depth=2
	s_or_b64 exec, exec, s[18:19]
	v_lshrrev_b64 v[2:3], 20, v[2:3]
	v_cmp_gt_i32_e32 vcc, 16, v5
	v_cndmask_b32_e32 v3, 0, v3, vcc
	v_cndmask_b32_e32 v2, 7, v2, vcc
	v_cmp_eq_u64_e64 s[18:19], 0, v[2:3]
	v_min_i32_e32 v3, 15, v5
	v_cmp_eq_u32_e32 vcc, 0, v5
	v_lshlrev_b32_e32 v3, 3, v3
	v_and_or_b32 v2, v2, 7, v3
	s_and_b64 s[18:19], vcc, s[18:19]
	v_cndmask_b32_e64 v2, v2, 0, s[18:19]
	v_or_b32_e32 v15, v2, v4
.LBB4_2323:                             ;   in Loop: Header=BB4_1703 Depth=2
	s_or_b64 exec, exec, s[56:57]
.LBB4_2324:                             ;   in Loop: Header=BB4_1703 Depth=2
	s_or_b64 exec, exec, s[54:55]
                                        ; implicit-def: $vgpr2
.LBB4_2325:                             ;   in Loop: Header=BB4_1703 Depth=2
	s_andn2_saveexec_b64 s[18:19], s[52:53]
; %bb.2326:                             ;   in Loop: Header=BB4_1703 Depth=2
	v_or_b32_sdwa v2, v2, s71 dst_sel:DWORD dst_unused:UNUSED_PAD src0_sel:BYTE_3 src1_sel:DWORD
	v_cmp_eq_u64_e32 vcc, 0, v[52:53]
	v_cndmask_b32_e32 v15, v2, v15, vcc
; %bb.2327:                             ;   in Loop: Header=BB4_1703 Depth=2
	s_or_b64 exec, exec, s[18:19]
	v_lshrrev_b32_e32 v2, 16, v16
	v_cmp_ne_u16_sdwa vcc, v2, v53 src0_sel:BYTE_0 src1_sel:DWORD
	v_mov_b32_e32 v3, 0
	v_mov_b32_e32 v4, 0
	s_and_saveexec_b64 s[18:19], vcc
	s_cbranch_execz .LBB4_2333
; %bb.2328:                             ;   in Loop: Header=BB4_1703 Depth=2
	v_cmp_ne_u16_sdwa vcc, v2, s69 src0_sel:BYTE_0 src1_sel:DWORD
	v_bfrev_b32_e32 v4, 1
	s_and_saveexec_b64 s[52:53], vcc
	s_cbranch_execz .LBB4_2332
; %bb.2329:                             ;   in Loop: Header=BB4_1703 Depth=2
	v_bfe_u32 v5, v16, 16, 7
	v_cmp_ne_u32_e32 vcc, s71, v5
	v_mov_b32_e32 v4, 0x7f800001
	s_and_saveexec_b64 s[54:55], vcc
	s_cbranch_execz .LBB4_2331
; %bb.2330:                             ;   in Loop: Header=BB4_1703 Depth=2
	v_and_b32_e32 v4, 7, v2
	v_ffbh_u32_e32 v6, v4
	v_min_u32_e32 v9, 32, v6
	v_subrev_u32_e32 v6, 28, v9
	v_lshlrev_b64 v[6:7], v6, v[2:3]
	v_lshrrev_b32_e32 v8, 3, v5
	v_sub_u32_e32 v7, 29, v9
	v_and_b32_e32 v6, 7, v6
	v_cmp_gt_u32_e32 vcc, 8, v5
	v_cndmask_b32_e32 v5, v8, v7, vcc
	v_cndmask_b32_e32 v4, v4, v6, vcc
	v_lshlrev_b32_e32 v2, 24, v2
	v_lshlrev_b32_e32 v4, 20, v4
	v_and_b32_e32 v2, 0x80000000, v2
	v_lshl_add_u32 v5, v5, 23, v27
	v_or3_b32 v4, v2, v5, v4
.LBB4_2331:                             ;   in Loop: Header=BB4_1703 Depth=2
	s_or_b64 exec, exec, s[54:55]
.LBB4_2332:                             ;   in Loop: Header=BB4_1703 Depth=2
	s_or_b64 exec, exec, s[52:53]
.LBB4_2333:                             ;   in Loop: Header=BB4_1703 Depth=2
	s_or_b64 exec, exec, s[18:19]
	v_lshrrev_b32_e32 v2, 16, v12
	v_cmp_ne_u16_sdwa vcc, v2, v53 src0_sel:BYTE_0 src1_sel:DWORD
	s_and_saveexec_b64 s[18:19], vcc
	s_cbranch_execz .LBB4_2339
; %bb.2334:                             ;   in Loop: Header=BB4_1703 Depth=2
	v_cmp_ne_u16_sdwa vcc, v2, s69 src0_sel:BYTE_0 src1_sel:DWORD
	v_bfrev_b32_e32 v3, 1
	s_and_saveexec_b64 s[52:53], vcc
	s_cbranch_execz .LBB4_2338
; %bb.2335:                             ;   in Loop: Header=BB4_1703 Depth=2
	v_bfe_u32 v5, v12, 16, 7
	v_cmp_ne_u32_e32 vcc, s71, v5
	v_mov_b32_e32 v3, 0x7f800001
	s_and_saveexec_b64 s[54:55], vcc
	s_cbranch_execz .LBB4_2337
; %bb.2336:                             ;   in Loop: Header=BB4_1703 Depth=2
	v_and_b32_e32 v6, 7, v2
	v_ffbh_u32_e32 v3, v6
	v_min_u32_e32 v8, 32, v3
	v_subrev_u32_e32 v3, 28, v8
	v_lshlrev_b64 v[2:3], v3, v[2:3]
	v_lshrrev_b32_e32 v7, 3, v5
	v_sub_u32_e32 v3, 29, v8
	v_and_b32_e32 v2, 7, v2
	v_cmp_gt_u32_e32 vcc, 8, v5
	v_cndmask_b32_e32 v3, v7, v3, vcc
	v_cndmask_b32_e32 v2, v6, v2, vcc
	v_lshlrev_b32_e32 v5, 8, v12
	v_lshlrev_b32_e32 v2, 20, v2
	v_and_b32_e32 v5, 0x80000000, v5
	v_lshl_add_u32 v3, v3, 23, v27
	v_or3_b32 v3, v5, v3, v2
.LBB4_2337:                             ;   in Loop: Header=BB4_1703 Depth=2
	s_or_b64 exec, exec, s[54:55]
.LBB4_2338:                             ;   in Loop: Header=BB4_1703 Depth=2
	s_or_b64 exec, exec, s[52:53]
.LBB4_2339:                             ;   in Loop: Header=BB4_1703 Depth=2
	s_or_b64 exec, exec, s[18:19]
	v_add_f32_e32 v2, v4, v3
	v_and_b32_sdwa v4, v2, s69 dst_sel:DWORD dst_unused:UNUSED_PAD src0_sel:BYTE_3 src1_sel:DWORD
	v_and_b32_e32 v6, 0x7f800000, v2
	v_mov_b32_e32 v7, v53
	v_and_b32_e32 v52, 0x7fffff, v2
	v_or_b32_e32 v54, 0x7e, v4
	v_cmp_ne_u64_e32 vcc, s[38:39], v[6:7]
	s_and_saveexec_b64 s[18:19], vcc
	s_xor_b64 s[52:53], exec, s[18:19]
	s_cbranch_execz .LBB4_2349
; %bb.2340:                             ;   in Loop: Header=BB4_1703 Depth=2
	v_and_b32_e32 v6, 0x7fffffff, v2
	v_mov_b32_e32 v7, v53
	v_cmp_gt_u64_e32 vcc, s[40:41], v[6:7]
	s_and_saveexec_b64 s[54:55], vcc
	s_cbranch_execz .LBB4_2348
; %bb.2341:                             ;   in Loop: Header=BB4_1703 Depth=2
	v_cmp_ne_u32_e32 vcc, 0, v2
	v_mov_b32_e32 v54, 0
	s_and_saveexec_b64 s[56:57], vcc
	s_cbranch_execz .LBB4_2347
; %bb.2342:                             ;   in Loop: Header=BB4_1703 Depth=2
	v_bfe_u32 v2, v2, 23, 8
	v_sub_u32_e32 v5, 0x79, v2
	v_cmp_gt_u32_e32 vcc, s72, v2
	v_add_u32_e32 v3, 0xffffff81, v2
	v_cndmask_b32_e32 v5, 0, v5, vcc
	v_cmp_eq_u32_e32 vcc, 0, v2
	v_mov_b32_e32 v2, 0xffffff82
	v_cndmask_b32_e32 v10, v3, v2, vcc
	v_mov_b32_e32 v2, 0x78
	v_or_b32_e32 v6, 0x800000, v52
	v_cndmask_b32_e32 v5, v5, v2, vcc
	v_cndmask_b32_e32 v52, v6, v52, vcc
	v_add_u32_e32 v2, 20, v5
	v_lshlrev_b64 v[2:3], v2, -1
	v_lshrrev_b64 v[8:9], v5, v[52:53]
	v_not_b32_e32 v3, v3
	v_not_b32_e32 v2, v2
	v_add_u32_e32 v6, 19, v5
	v_lshrrev_b32_e32 v48, 23, v8
	v_and_b32_e32 v3, 0, v3
	v_and_b32_e32 v2, v52, v2
	v_lshlrev_b64 v[6:7], v6, 1
	v_add3_u32 v48, v5, v10, v48
	v_bfe_u32 v5, v8, 20, 1
	v_add_u32_e32 v5, -1, v5
	v_cmp_eq_u64_e32 vcc, v[2:3], v[6:7]
	v_cndmask_b32_e32 v2, 0, v5, vcc
	v_add_u32_e32 v2, v2, v8
	v_and_b32_e32 v2, 0xfffff, v2
	v_add_co_u32_e32 v2, vcc, v2, v8
	v_add_u32_e32 v10, 6, v48
	v_addc_co_u32_e32 v3, vcc, 0, v9, vcc
	v_cmp_ne_u32_e32 vcc, 0, v10
                                        ; implicit-def: $vgpr5
	s_and_saveexec_b64 s[18:19], vcc
	s_xor_b64 s[18:19], exec, s[18:19]
; %bb.2343:                             ;   in Loop: Header=BB4_1703 Depth=2
	v_cmp_lt_u64_e32 vcc, s[44:45], v[2:3]
	v_add_u32_e32 v5, 7, v48
	v_cndmask_b32_e64 v6, 0, 1, vcc
	v_cndmask_b32_e32 v5, v10, v5, vcc
	v_lshrrev_b64 v[2:3], v6, v[2:3]
; %bb.2344:                             ;   in Loop: Header=BB4_1703 Depth=2
	s_andn2_saveexec_b64 s[18:19], s[18:19]
; %bb.2345:                             ;   in Loop: Header=BB4_1703 Depth=2
	v_bfe_u32 v5, v2, 23, 1
; %bb.2346:                             ;   in Loop: Header=BB4_1703 Depth=2
	s_or_b64 exec, exec, s[18:19]
	v_lshrrev_b64 v[2:3], 20, v[2:3]
	v_cmp_gt_i32_e32 vcc, 16, v5
	v_cndmask_b32_e32 v3, 0, v3, vcc
	v_cndmask_b32_e32 v2, 7, v2, vcc
	v_cmp_eq_u64_e64 s[18:19], 0, v[2:3]
	v_min_i32_e32 v3, 15, v5
	v_cmp_eq_u32_e32 vcc, 0, v5
	v_lshlrev_b32_e32 v3, 3, v3
	v_and_or_b32 v2, v2, 7, v3
	s_and_b64 s[18:19], vcc, s[18:19]
	v_cndmask_b32_e64 v2, v2, 0, s[18:19]
	v_or_b32_e32 v54, v2, v4
.LBB4_2347:                             ;   in Loop: Header=BB4_1703 Depth=2
	s_or_b64 exec, exec, s[56:57]
.LBB4_2348:                             ;   in Loop: Header=BB4_1703 Depth=2
	s_or_b64 exec, exec, s[54:55]
                                        ; implicit-def: $vgpr2
.LBB4_2349:                             ;   in Loop: Header=BB4_1703 Depth=2
	s_andn2_saveexec_b64 s[18:19], s[52:53]
; %bb.2350:                             ;   in Loop: Header=BB4_1703 Depth=2
	v_or_b32_sdwa v2, v2, s71 dst_sel:DWORD dst_unused:UNUSED_PAD src0_sel:BYTE_3 src1_sel:DWORD
	v_cmp_eq_u64_e32 vcc, 0, v[52:53]
	v_cndmask_b32_e32 v54, v2, v54, vcc
; %bb.2351:                             ;   in Loop: Header=BB4_1703 Depth=2
	s_or_b64 exec, exec, s[18:19]
	v_cmp_lt_u32_e32 vcc, s43, v16
	v_mov_b32_e32 v3, 0
	v_mov_b32_e32 v4, 0
	s_and_saveexec_b64 s[18:19], vcc
	s_cbranch_execz .LBB4_2357
; %bb.2352:                             ;   in Loop: Header=BB4_1703 Depth=2
	v_lshrrev_b32_e32 v2, 24, v16
	v_cmp_ne_u32_e32 vcc, s69, v2
	v_bfrev_b32_e32 v4, 1
	s_and_saveexec_b64 s[52:53], vcc
	s_cbranch_execz .LBB4_2356
; %bb.2353:                             ;   in Loop: Header=BB4_1703 Depth=2
	v_bfe_u32 v5, v16, 24, 7
	v_cmp_ne_u32_e32 vcc, s71, v5
	v_mov_b32_e32 v4, 0x7f800001
	s_and_saveexec_b64 s[54:55], vcc
	s_cbranch_execz .LBB4_2355
; %bb.2354:                             ;   in Loop: Header=BB4_1703 Depth=2
	v_and_b32_e32 v4, 7, v2
	v_ffbh_u32_e32 v6, v4
	v_min_u32_e32 v9, 32, v6
	v_subrev_u32_e32 v6, 28, v9
	v_lshlrev_b64 v[6:7], v6, v[2:3]
	v_lshrrev_b32_e32 v8, 3, v5
	v_sub_u32_e32 v7, 29, v9
	v_and_b32_e32 v6, 7, v6
	v_cmp_gt_u32_e32 vcc, 8, v5
	v_cndmask_b32_e32 v5, v8, v7, vcc
	v_cndmask_b32_e32 v4, v4, v6, vcc
	v_lshlrev_b32_e32 v2, 24, v2
	v_lshlrev_b32_e32 v4, 20, v4
	v_and_b32_e32 v2, 0x80000000, v2
	v_lshl_add_u32 v5, v5, 23, v27
	v_or3_b32 v4, v2, v5, v4
.LBB4_2355:                             ;   in Loop: Header=BB4_1703 Depth=2
	s_or_b64 exec, exec, s[54:55]
.LBB4_2356:                             ;   in Loop: Header=BB4_1703 Depth=2
	s_or_b64 exec, exec, s[52:53]
.LBB4_2357:                             ;   in Loop: Header=BB4_1703 Depth=2
	s_or_b64 exec, exec, s[18:19]
	v_cmp_lt_u32_e32 vcc, s43, v12
	s_and_saveexec_b64 s[18:19], vcc
	s_cbranch_execz .LBB4_2363
; %bb.2358:                             ;   in Loop: Header=BB4_1703 Depth=2
	v_lshrrev_b32_e32 v2, 24, v12
	v_cmp_ne_u32_e32 vcc, s69, v2
	v_bfrev_b32_e32 v3, 1
	s_and_saveexec_b64 s[52:53], vcc
	s_cbranch_execz .LBB4_2362
; %bb.2359:                             ;   in Loop: Header=BB4_1703 Depth=2
	v_bfe_u32 v5, v12, 24, 7
	v_cmp_ne_u32_e32 vcc, s71, v5
	v_mov_b32_e32 v3, 0x7f800001
	s_and_saveexec_b64 s[54:55], vcc
	s_cbranch_execz .LBB4_2361
; %bb.2360:                             ;   in Loop: Header=BB4_1703 Depth=2
	v_and_b32_e32 v3, 7, v2
	v_ffbh_u32_e32 v6, v3
	v_min_u32_e32 v9, 32, v6
	v_subrev_u32_e32 v6, 28, v9
	v_lshlrev_b64 v[6:7], v6, v[2:3]
	v_lshrrev_b32_e32 v8, 3, v5
	v_sub_u32_e32 v7, 29, v9
	v_and_b32_e32 v6, 7, v6
	v_cmp_gt_u32_e32 vcc, 8, v5
	v_cndmask_b32_e32 v5, v8, v7, vcc
	v_cndmask_b32_e32 v3, v3, v6, vcc
	v_lshlrev_b32_e32 v2, 24, v2
	v_lshlrev_b32_e32 v3, 20, v3
	v_and_b32_e32 v2, 0x80000000, v2
	v_lshl_add_u32 v5, v5, 23, v27
	v_or3_b32 v3, v2, v5, v3
.LBB4_2361:                             ;   in Loop: Header=BB4_1703 Depth=2
	s_or_b64 exec, exec, s[54:55]
.LBB4_2362:                             ;   in Loop: Header=BB4_1703 Depth=2
	s_or_b64 exec, exec, s[52:53]
.LBB4_2363:                             ;   in Loop: Header=BB4_1703 Depth=2
	s_or_b64 exec, exec, s[18:19]
	v_add_f32_e32 v2, v4, v3
	v_and_b32_sdwa v5, v2, s69 dst_sel:DWORD dst_unused:UNUSED_PAD src0_sel:BYTE_3 src1_sel:DWORD
	v_and_b32_e32 v6, 0x7f800000, v2
	v_mov_b32_e32 v7, v53
	v_and_b32_e32 v52, 0x7fffff, v2
	v_or_b32_e32 v4, 0x7e, v5
	v_cmp_ne_u64_e32 vcc, s[38:39], v[6:7]
	s_and_saveexec_b64 s[18:19], vcc
	s_xor_b64 s[52:53], exec, s[18:19]
	s_cbranch_execz .LBB4_2373
; %bb.2364:                             ;   in Loop: Header=BB4_1703 Depth=2
	v_and_b32_e32 v6, 0x7fffffff, v2
	v_mov_b32_e32 v7, v53
	v_cmp_gt_u64_e32 vcc, s[40:41], v[6:7]
	s_and_saveexec_b64 s[54:55], vcc
	s_cbranch_execz .LBB4_2372
; %bb.2365:                             ;   in Loop: Header=BB4_1703 Depth=2
	v_cmp_ne_u32_e32 vcc, 0, v2
	v_mov_b32_e32 v4, 0
	s_and_saveexec_b64 s[56:57], vcc
	s_cbranch_execz .LBB4_2371
; %bb.2366:                             ;   in Loop: Header=BB4_1703 Depth=2
	v_bfe_u32 v2, v2, 23, 8
	v_sub_u32_e32 v4, 0x79, v2
	v_cmp_gt_u32_e32 vcc, s72, v2
	v_add_u32_e32 v3, 0xffffff81, v2
	v_cndmask_b32_e32 v4, 0, v4, vcc
	v_cmp_eq_u32_e32 vcc, 0, v2
	v_mov_b32_e32 v2, 0xffffff82
	v_cndmask_b32_e32 v10, v3, v2, vcc
	v_mov_b32_e32 v2, 0x78
	v_or_b32_e32 v6, 0x800000, v52
	v_cndmask_b32_e32 v4, v4, v2, vcc
	v_cndmask_b32_e32 v52, v6, v52, vcc
	v_add_u32_e32 v2, 20, v4
	v_lshlrev_b64 v[2:3], v2, -1
	v_lshrrev_b64 v[8:9], v4, v[52:53]
	v_not_b32_e32 v3, v3
	v_not_b32_e32 v2, v2
	v_add_u32_e32 v6, 19, v4
	v_lshrrev_b32_e32 v48, 23, v8
	v_and_b32_e32 v3, 0, v3
	v_and_b32_e32 v2, v52, v2
	v_lshlrev_b64 v[6:7], v6, 1
	v_add3_u32 v48, v4, v10, v48
	v_bfe_u32 v4, v8, 20, 1
	v_add_u32_e32 v4, -1, v4
	v_cmp_eq_u64_e32 vcc, v[2:3], v[6:7]
	v_cndmask_b32_e32 v2, 0, v4, vcc
	v_add_u32_e32 v2, v2, v8
	v_and_b32_e32 v2, 0xfffff, v2
	v_add_co_u32_e32 v2, vcc, v2, v8
	v_add_u32_e32 v10, 6, v48
	v_addc_co_u32_e32 v3, vcc, 0, v9, vcc
	v_cmp_ne_u32_e32 vcc, 0, v10
                                        ; implicit-def: $vgpr4
	s_and_saveexec_b64 s[18:19], vcc
	s_xor_b64 s[18:19], exec, s[18:19]
; %bb.2367:                             ;   in Loop: Header=BB4_1703 Depth=2
	v_cmp_lt_u64_e32 vcc, s[44:45], v[2:3]
	v_add_u32_e32 v4, 7, v48
	v_cndmask_b32_e64 v6, 0, 1, vcc
	v_cndmask_b32_e32 v4, v10, v4, vcc
	v_lshrrev_b64 v[2:3], v6, v[2:3]
; %bb.2368:                             ;   in Loop: Header=BB4_1703 Depth=2
	s_andn2_saveexec_b64 s[18:19], s[18:19]
; %bb.2369:                             ;   in Loop: Header=BB4_1703 Depth=2
	v_bfe_u32 v4, v2, 23, 1
; %bb.2370:                             ;   in Loop: Header=BB4_1703 Depth=2
	s_or_b64 exec, exec, s[18:19]
	v_lshrrev_b64 v[2:3], 20, v[2:3]
	v_cmp_gt_i32_e32 vcc, 16, v4
	v_cndmask_b32_e32 v3, 0, v3, vcc
	v_cndmask_b32_e32 v2, 7, v2, vcc
	v_cmp_eq_u64_e64 s[18:19], 0, v[2:3]
	v_min_i32_e32 v3, 15, v4
	v_cmp_eq_u32_e32 vcc, 0, v4
	v_lshlrev_b32_e32 v3, 3, v3
	v_and_or_b32 v2, v2, 7, v3
	s_and_b64 s[18:19], vcc, s[18:19]
	v_cndmask_b32_e64 v2, v2, 0, s[18:19]
	v_or_b32_e32 v4, v2, v5
.LBB4_2371:                             ;   in Loop: Header=BB4_1703 Depth=2
	s_or_b64 exec, exec, s[56:57]
.LBB4_2372:                             ;   in Loop: Header=BB4_1703 Depth=2
	s_or_b64 exec, exec, s[54:55]
                                        ; implicit-def: $vgpr2
.LBB4_2373:                             ;   in Loop: Header=BB4_1703 Depth=2
	s_andn2_saveexec_b64 s[18:19], s[52:53]
; %bb.2374:                             ;   in Loop: Header=BB4_1703 Depth=2
	v_or_b32_sdwa v2, v2, s71 dst_sel:DWORD dst_unused:UNUSED_PAD src0_sel:BYTE_3 src1_sel:DWORD
	v_cmp_eq_u64_e32 vcc, 0, v[52:53]
	v_cndmask_b32_e32 v4, v2, v4, vcc
; %bb.2375:                             ;   in Loop: Header=BB4_1703 Depth=2
	s_or_b64 exec, exec, s[18:19]
	v_mov_b32_e32 v52, v17
	v_cmp_ne_u16_sdwa vcc, v17, v53 src0_sel:BYTE_0 src1_sel:DWORD
	v_mov_b32_e32 v3, 0
	v_mov_b32_e32 v2, 0
	s_and_saveexec_b64 s[18:19], vcc
	s_cbranch_execz .LBB4_2381
; %bb.2376:                             ;   in Loop: Header=BB4_1703 Depth=2
	v_cmp_ne_u16_sdwa vcc, v17, s69 src0_sel:BYTE_0 src1_sel:DWORD
	v_bfrev_b32_e32 v2, 1
	s_and_saveexec_b64 s[52:53], vcc
	s_cbranch_execz .LBB4_2380
; %bb.2377:                             ;   in Loop: Header=BB4_1703 Depth=2
	v_and_b32_e32 v5, 0x7f, v17
	v_cmp_ne_u32_e32 vcc, s71, v5
	v_mov_b32_e32 v2, 0x7f800001
	s_and_saveexec_b64 s[54:55], vcc
	s_cbranch_execz .LBB4_2379
; %bb.2378:                             ;   in Loop: Header=BB4_1703 Depth=2
	v_and_b32_e32 v2, 7, v17
	v_ffbh_u32_e32 v2, v2
	v_min_u32_e32 v2, 32, v2
	v_subrev_u32_e32 v7, 28, v2
	v_cmp_gt_u32_e32 vcc, 8, v5
	v_lshrrev_b32_e32 v6, 3, v5
	v_sub_u32_e32 v2, 29, v2
	v_cndmask_b32_e32 v5, 0, v7, vcc
	v_cndmask_b32_e32 v2, v6, v2, vcc
	v_lshlrev_b64 v[6:7], v5, v[52:53]
	v_lshlrev_b32_e32 v5, 20, v6
	v_lshlrev_b32_e32 v6, 24, v52
	v_and_b32_e32 v5, 0x700000, v5
	v_and_b32_e32 v6, 0x80000000, v6
	v_lshl_add_u32 v2, v2, 23, v27
	v_or3_b32 v2, v6, v2, v5
.LBB4_2379:                             ;   in Loop: Header=BB4_1703 Depth=2
	s_or_b64 exec, exec, s[54:55]
.LBB4_2380:                             ;   in Loop: Header=BB4_1703 Depth=2
	s_or_b64 exec, exec, s[52:53]
.LBB4_2381:                             ;   in Loop: Header=BB4_1703 Depth=2
	s_or_b64 exec, exec, s[18:19]
	v_cmp_ne_u16_sdwa vcc, v13, v53 src0_sel:BYTE_0 src1_sel:DWORD
	s_and_saveexec_b64 s[18:19], vcc
	s_cbranch_execz .LBB4_2387
; %bb.2382:                             ;   in Loop: Header=BB4_1703 Depth=2
	v_cmp_ne_u16_sdwa vcc, v13, s69 src0_sel:BYTE_0 src1_sel:DWORD
	v_bfrev_b32_e32 v3, 1
	s_and_saveexec_b64 s[52:53], vcc
	s_cbranch_execz .LBB4_2386
; %bb.2383:                             ;   in Loop: Header=BB4_1703 Depth=2
	v_and_b32_e32 v5, 0x7f, v13
	v_cmp_ne_u32_e32 vcc, s71, v5
	v_mov_b32_e32 v3, 0x7f800001
	s_and_saveexec_b64 s[54:55], vcc
	s_cbranch_execz .LBB4_2385
; %bb.2384:                             ;   in Loop: Header=BB4_1703 Depth=2
	v_and_b32_e32 v3, 7, v13
	v_ffbh_u32_e32 v3, v3
	v_min_u32_e32 v3, 32, v3
	v_subrev_u32_e32 v9, 28, v3
	v_cmp_gt_u32_e32 vcc, 8, v5
	v_mov_b32_e32 v6, v13
	v_mov_b32_e32 v7, v53
	v_lshrrev_b32_e32 v8, 3, v5
	v_sub_u32_e32 v3, 29, v3
	v_cndmask_b32_e32 v5, 0, v9, vcc
	v_cndmask_b32_e32 v3, v8, v3, vcc
	v_lshlrev_b64 v[8:9], v5, v[6:7]
	v_lshlrev_b32_e32 v5, 20, v8
	v_lshlrev_b32_e32 v6, 24, v6
	v_and_b32_e32 v5, 0x700000, v5
	v_and_b32_e32 v6, 0x80000000, v6
	v_lshl_add_u32 v3, v3, 23, v27
	v_or3_b32 v3, v6, v3, v5
.LBB4_2385:                             ;   in Loop: Header=BB4_1703 Depth=2
	s_or_b64 exec, exec, s[54:55]
.LBB4_2386:                             ;   in Loop: Header=BB4_1703 Depth=2
	s_or_b64 exec, exec, s[52:53]
.LBB4_2387:                             ;   in Loop: Header=BB4_1703 Depth=2
	s_or_b64 exec, exec, s[18:19]
	v_add_f32_e32 v48, v2, v3
	v_and_b32_sdwa v10, v48, s69 dst_sel:DWORD dst_unused:UNUSED_PAD src0_sel:BYTE_3 src1_sel:DWORD
	v_and_b32_e32 v6, 0x7f800000, v48
	v_mov_b32_e32 v7, v53
	v_and_b32_e32 v2, 0x7fffff, v48
	v_mov_b32_e32 v3, v53
	v_or_b32_e32 v5, 0x7e, v10
	v_cmp_ne_u64_e32 vcc, s[38:39], v[6:7]
	s_and_saveexec_b64 s[18:19], vcc
	s_xor_b64 s[52:53], exec, s[18:19]
	s_cbranch_execz .LBB4_2397
; %bb.2388:                             ;   in Loop: Header=BB4_1703 Depth=2
	v_and_b32_e32 v6, 0x7fffffff, v48
	v_mov_b32_e32 v7, v53
	v_cmp_gt_u64_e32 vcc, s[40:41], v[6:7]
	s_and_saveexec_b64 s[54:55], vcc
	s_cbranch_execz .LBB4_2396
; %bb.2389:                             ;   in Loop: Header=BB4_1703 Depth=2
	v_cmp_ne_u32_e32 vcc, 0, v48
	v_mov_b32_e32 v5, 0
	s_and_saveexec_b64 s[56:57], vcc
	s_cbranch_execz .LBB4_2395
; %bb.2390:                             ;   in Loop: Header=BB4_1703 Depth=2
	v_bfe_u32 v5, v48, 23, 8
	v_sub_u32_e32 v7, 0x79, v5
	v_cmp_gt_u32_e32 vcc, s72, v5
	v_add_u32_e32 v6, 0xffffff81, v5
	v_cndmask_b32_e32 v7, 0, v7, vcc
	v_cmp_eq_u32_e32 vcc, 0, v5
	v_mov_b32_e32 v5, 0xffffff82
	v_cndmask_b32_e32 v5, v6, v5, vcc
	v_mov_b32_e32 v6, 0x78
	v_cndmask_b32_e32 v48, v7, v6, vcc
	v_add_u32_e32 v6, 20, v48
	v_or_b32_e32 v8, 0x800000, v2
	v_lshlrev_b64 v[6:7], v6, -1
	v_cndmask_b32_e32 v2, v8, v2, vcc
	v_not_b32_e32 v6, v6
	v_and_b32_e32 v6, v2, v6
	v_lshrrev_b64 v[2:3], v48, v[2:3]
	v_not_b32_e32 v7, v7
	v_add_u32_e32 v8, 19, v48
	v_lshrrev_b32_e32 v49, 23, v2
	v_and_b32_e32 v7, 0, v7
	v_lshlrev_b64 v[8:9], v8, 1
	v_add3_u32 v49, v48, v5, v49
	v_bfe_u32 v5, v2, 20, 1
	v_add_u32_e32 v5, -1, v5
	v_cmp_eq_u64_e32 vcc, v[6:7], v[8:9]
	v_cndmask_b32_e32 v5, 0, v5, vcc
	v_add_u32_e32 v5, v5, v2
	v_and_b32_e32 v5, 0xfffff, v5
	v_add_co_u32_e32 v2, vcc, v5, v2
	v_add_u32_e32 v48, 6, v49
	v_addc_co_u32_e32 v3, vcc, 0, v3, vcc
	v_cmp_ne_u32_e32 vcc, 0, v48
                                        ; implicit-def: $vgpr5
	s_and_saveexec_b64 s[18:19], vcc
	s_xor_b64 s[18:19], exec, s[18:19]
; %bb.2391:                             ;   in Loop: Header=BB4_1703 Depth=2
	v_cmp_lt_u64_e32 vcc, s[44:45], v[2:3]
	v_add_u32_e32 v5, 7, v49
	v_cndmask_b32_e64 v6, 0, 1, vcc
	v_cndmask_b32_e32 v5, v48, v5, vcc
	v_lshrrev_b64 v[2:3], v6, v[2:3]
; %bb.2392:                             ;   in Loop: Header=BB4_1703 Depth=2
	s_andn2_saveexec_b64 s[18:19], s[18:19]
; %bb.2393:                             ;   in Loop: Header=BB4_1703 Depth=2
	v_bfe_u32 v5, v2, 23, 1
; %bb.2394:                             ;   in Loop: Header=BB4_1703 Depth=2
	s_or_b64 exec, exec, s[18:19]
	v_lshrrev_b64 v[2:3], 20, v[2:3]
	v_cmp_gt_i32_e32 vcc, 16, v5
	v_cndmask_b32_e32 v3, 0, v3, vcc
	v_cndmask_b32_e32 v2, 7, v2, vcc
	v_cmp_eq_u64_e64 s[18:19], 0, v[2:3]
	v_min_i32_e32 v3, 15, v5
	v_cmp_eq_u32_e32 vcc, 0, v5
	v_lshlrev_b32_e32 v3, 3, v3
	v_and_or_b32 v2, v2, 7, v3
	s_and_b64 s[18:19], vcc, s[18:19]
	v_cndmask_b32_e64 v2, v2, 0, s[18:19]
	v_or_b32_e32 v5, v2, v10
.LBB4_2395:                             ;   in Loop: Header=BB4_1703 Depth=2
	s_or_b64 exec, exec, s[56:57]
.LBB4_2396:                             ;   in Loop: Header=BB4_1703 Depth=2
	s_or_b64 exec, exec, s[54:55]
                                        ; implicit-def: $vgpr48
                                        ; implicit-def: $vgpr2_vgpr3
.LBB4_2397:                             ;   in Loop: Header=BB4_1703 Depth=2
	s_andn2_saveexec_b64 s[18:19], s[52:53]
; %bb.2398:                             ;   in Loop: Header=BB4_1703 Depth=2
	v_or_b32_sdwa v6, v48, s71 dst_sel:DWORD dst_unused:UNUSED_PAD src0_sel:BYTE_3 src1_sel:DWORD
	v_cmp_eq_u64_e32 vcc, 0, v[2:3]
	v_cndmask_b32_e32 v5, v6, v5, vcc
; %bb.2399:                             ;   in Loop: Header=BB4_1703 Depth=2
	s_or_b64 exec, exec, s[18:19]
	v_lshrrev_b16_e32 v2, 8, v52
	v_cmp_ne_u16_e32 vcc, 0, v2
	v_mov_b32_e32 v3, 0
	v_mov_b32_e32 v48, 0
	s_and_saveexec_b64 s[18:19], vcc
	s_cbranch_execz .LBB4_2405
; %bb.2400:                             ;   in Loop: Header=BB4_1703 Depth=2
	v_cmp_ne_u16_e32 vcc, s69, v2
	v_bfrev_b32_e32 v48, 1
	s_and_saveexec_b64 s[52:53], vcc
	s_cbranch_execz .LBB4_2404
; %bb.2401:                             ;   in Loop: Header=BB4_1703 Depth=2
	v_and_b32_e32 v10, 0x7f, v2
	v_cmp_ne_u32_e32 vcc, s71, v10
	v_mov_b32_e32 v48, 0x7f800001
	s_and_saveexec_b64 s[54:55], vcc
	s_cbranch_execz .LBB4_2403
; %bb.2402:                             ;   in Loop: Header=BB4_1703 Depth=2
	v_and_b32_e32 v8, 7, v2
	v_ffbh_u32_e32 v6, v8
	v_min_u32_e32 v48, 32, v6
	v_subrev_u32_e32 v6, 28, v48
	v_lshlrev_b64 v[6:7], v6, v[2:3]
	v_lshrrev_b32_e32 v9, 3, v10
	v_sub_u32_e32 v2, 29, v48
	v_and_b32_e32 v6, 7, v6
	v_cmp_gt_u32_e32 vcc, 8, v10
	v_cndmask_b32_e32 v2, v9, v2, vcc
	v_cndmask_b32_e32 v6, v8, v6, vcc
	v_lshlrev_b32_e32 v7, 16, v52
	v_lshlrev_b32_e32 v6, 20, v6
	v_and_b32_e32 v7, 0x80000000, v7
	v_lshl_add_u32 v2, v2, 23, v27
	v_or3_b32 v48, v7, v2, v6
.LBB4_2403:                             ;   in Loop: Header=BB4_1703 Depth=2
	s_or_b64 exec, exec, s[54:55]
.LBB4_2404:                             ;   in Loop: Header=BB4_1703 Depth=2
	s_or_b64 exec, exec, s[52:53]
.LBB4_2405:                             ;   in Loop: Header=BB4_1703 Depth=2
	s_or_b64 exec, exec, s[18:19]
	v_mov_b32_e32 v2, v13
	v_lshrrev_b16_e32 v10, 8, v2
	v_cmp_ne_u16_e32 vcc, 0, v10
	s_and_saveexec_b64 s[18:19], vcc
	s_cbranch_execz .LBB4_2411
; %bb.2406:                             ;   in Loop: Header=BB4_1703 Depth=2
	v_cmp_ne_u16_e32 vcc, s69, v10
	v_bfrev_b32_e32 v3, 1
	s_and_saveexec_b64 s[52:53], vcc
	s_cbranch_execz .LBB4_2410
; %bb.2407:                             ;   in Loop: Header=BB4_1703 Depth=2
	v_and_b32_e32 v49, 0x7f, v10
	v_cmp_ne_u32_e32 vcc, s71, v49
	v_mov_b32_e32 v3, 0x7f800001
	s_and_saveexec_b64 s[54:55], vcc
	s_cbranch_execz .LBB4_2409
; %bb.2408:                             ;   in Loop: Header=BB4_1703 Depth=2
	v_and_b32_e32 v3, 7, v10
	v_ffbh_u32_e32 v6, v3
	v_min_u32_e32 v9, 32, v6
	v_subrev_u32_e32 v6, 28, v9
	v_lshlrev_b64 v[6:7], v6, v[10:11]
	v_lshrrev_b32_e32 v8, 3, v49
	v_sub_u32_e32 v7, 29, v9
	v_and_b32_e32 v6, 7, v6
	v_cmp_gt_u32_e32 vcc, 8, v49
	v_cndmask_b32_e32 v7, v8, v7, vcc
	v_cndmask_b32_e32 v3, v3, v6, vcc
	v_lshlrev_b32_e32 v2, 16, v2
	v_lshlrev_b32_e32 v3, 20, v3
	v_and_b32_e32 v2, 0x80000000, v2
	v_lshl_add_u32 v6, v7, 23, v27
	v_or3_b32 v3, v2, v6, v3
.LBB4_2409:                             ;   in Loop: Header=BB4_1703 Depth=2
	s_or_b64 exec, exec, s[54:55]
.LBB4_2410:                             ;   in Loop: Header=BB4_1703 Depth=2
	s_or_b64 exec, exec, s[52:53]
.LBB4_2411:                             ;   in Loop: Header=BB4_1703 Depth=2
	s_or_b64 exec, exec, s[18:19]
	v_add_f32_e32 v2, v48, v3
	v_and_b32_sdwa v48, v2, s69 dst_sel:DWORD dst_unused:UNUSED_PAD src0_sel:BYTE_3 src1_sel:DWORD
	v_and_b32_e32 v6, 0x7f800000, v2
	v_mov_b32_e32 v7, v53
	v_and_b32_e32 v52, 0x7fffff, v2
	v_or_b32_e32 v10, 0x7e, v48
	v_cmp_ne_u64_e32 vcc, s[38:39], v[6:7]
	s_and_saveexec_b64 s[18:19], vcc
	s_xor_b64 s[52:53], exec, s[18:19]
	s_cbranch_execz .LBB4_2421
; %bb.2412:                             ;   in Loop: Header=BB4_1703 Depth=2
	v_and_b32_e32 v6, 0x7fffffff, v2
	v_mov_b32_e32 v7, v53
	v_cmp_gt_u64_e32 vcc, s[40:41], v[6:7]
	s_and_saveexec_b64 s[54:55], vcc
	s_cbranch_execz .LBB4_2420
; %bb.2413:                             ;   in Loop: Header=BB4_1703 Depth=2
	v_cmp_ne_u32_e32 vcc, 0, v2
	v_mov_b32_e32 v10, 0
	s_and_saveexec_b64 s[56:57], vcc
	s_cbranch_execz .LBB4_2419
; %bb.2414:                             ;   in Loop: Header=BB4_1703 Depth=2
	v_bfe_u32 v2, v2, 23, 8
	v_sub_u32_e32 v6, 0x79, v2
	v_cmp_gt_u32_e32 vcc, s72, v2
	v_add_u32_e32 v3, 0xffffff81, v2
	v_cndmask_b32_e32 v6, 0, v6, vcc
	v_cmp_eq_u32_e32 vcc, 0, v2
	v_mov_b32_e32 v2, 0xffffff82
	v_cndmask_b32_e32 v10, v3, v2, vcc
	v_mov_b32_e32 v2, 0x78
	v_cndmask_b32_e32 v49, v6, v2, vcc
	v_or_b32_e32 v7, 0x800000, v52
	v_add_u32_e32 v2, 20, v49
	v_cndmask_b32_e32 v52, v7, v52, vcc
	v_lshlrev_b64 v[2:3], v2, -1
	v_not_b32_e32 v2, v2
	v_lshrrev_b64 v[8:9], v49, v[52:53]
	v_not_b32_e32 v3, v3
	v_and_b32_e32 v2, v52, v2
	v_add_u32_e32 v6, 19, v49
	v_lshrrev_b32_e32 v52, 23, v8
	v_and_b32_e32 v3, 0, v3
	v_lshlrev_b64 v[6:7], v6, 1
	v_add3_u32 v52, v49, v10, v52
	v_bfe_u32 v10, v8, 20, 1
	v_add_u32_e32 v10, -1, v10
	v_cmp_eq_u64_e32 vcc, v[2:3], v[6:7]
	v_cndmask_b32_e32 v2, 0, v10, vcc
	v_add_u32_e32 v2, v2, v8
	v_and_b32_e32 v2, 0xfffff, v2
	v_add_co_u32_e32 v2, vcc, v2, v8
	v_add_u32_e32 v49, 6, v52
	v_addc_co_u32_e32 v3, vcc, 0, v9, vcc
	v_cmp_ne_u32_e32 vcc, 0, v49
                                        ; implicit-def: $vgpr10
	s_and_saveexec_b64 s[18:19], vcc
	s_xor_b64 s[18:19], exec, s[18:19]
; %bb.2415:                             ;   in Loop: Header=BB4_1703 Depth=2
	v_add_u32_e32 v6, 7, v52
	v_cmp_lt_u64_e32 vcc, s[44:45], v[2:3]
	v_cndmask_b32_e32 v10, v49, v6, vcc
	v_cndmask_b32_e64 v6, 0, 1, vcc
	v_lshrrev_b64 v[2:3], v6, v[2:3]
; %bb.2416:                             ;   in Loop: Header=BB4_1703 Depth=2
	s_andn2_saveexec_b64 s[18:19], s[18:19]
; %bb.2417:                             ;   in Loop: Header=BB4_1703 Depth=2
	v_bfe_u32 v10, v2, 23, 1
; %bb.2418:                             ;   in Loop: Header=BB4_1703 Depth=2
	s_or_b64 exec, exec, s[18:19]
	v_lshrrev_b64 v[2:3], 20, v[2:3]
	v_cmp_gt_i32_e32 vcc, 16, v10
	v_cndmask_b32_e32 v3, 0, v3, vcc
	v_cndmask_b32_e32 v2, 7, v2, vcc
	v_cmp_eq_u64_e64 s[18:19], 0, v[2:3]
	v_min_i32_e32 v3, 15, v10
	v_cmp_eq_u32_e32 vcc, 0, v10
	v_lshlrev_b32_e32 v3, 3, v3
	v_and_or_b32 v2, v2, 7, v3
	s_and_b64 s[18:19], vcc, s[18:19]
	v_cndmask_b32_e64 v2, v2, 0, s[18:19]
	v_or_b32_e32 v10, v2, v48
.LBB4_2419:                             ;   in Loop: Header=BB4_1703 Depth=2
	s_or_b64 exec, exec, s[56:57]
.LBB4_2420:                             ;   in Loop: Header=BB4_1703 Depth=2
	s_or_b64 exec, exec, s[54:55]
                                        ; implicit-def: $vgpr2
.LBB4_2421:                             ;   in Loop: Header=BB4_1703 Depth=2
	s_andn2_saveexec_b64 s[18:19], s[52:53]
; %bb.2422:                             ;   in Loop: Header=BB4_1703 Depth=2
	v_or_b32_sdwa v2, v2, s71 dst_sel:DWORD dst_unused:UNUSED_PAD src0_sel:BYTE_3 src1_sel:DWORD
	v_cmp_eq_u64_e32 vcc, 0, v[52:53]
	v_cndmask_b32_e32 v10, v2, v10, vcc
; %bb.2423:                             ;   in Loop: Header=BB4_1703 Depth=2
	s_or_b64 exec, exec, s[18:19]
	v_lshrrev_b32_e32 v2, 16, v17
	v_cmp_ne_u16_sdwa vcc, v2, v53 src0_sel:BYTE_0 src1_sel:DWORD
	v_mov_b32_e32 v3, 0
	v_mov_b32_e32 v48, 0
	s_and_saveexec_b64 s[18:19], vcc
	s_cbranch_execz .LBB4_2429
; %bb.2424:                             ;   in Loop: Header=BB4_1703 Depth=2
	v_cmp_ne_u16_sdwa vcc, v2, s69 src0_sel:BYTE_0 src1_sel:DWORD
	v_bfrev_b32_e32 v48, 1
	s_and_saveexec_b64 s[52:53], vcc
	s_cbranch_execz .LBB4_2428
; %bb.2425:                             ;   in Loop: Header=BB4_1703 Depth=2
	v_bfe_u32 v49, v17, 16, 7
	v_cmp_ne_u32_e32 vcc, s71, v49
	v_mov_b32_e32 v48, 0x7f800001
	s_and_saveexec_b64 s[54:55], vcc
	s_cbranch_execz .LBB4_2427
; %bb.2426:                             ;   in Loop: Header=BB4_1703 Depth=2
	v_and_b32_e32 v8, 7, v2
	v_ffbh_u32_e32 v6, v8
	v_min_u32_e32 v48, 32, v6
	v_subrev_u32_e32 v6, 28, v48
	v_lshlrev_b64 v[6:7], v6, v[2:3]
	v_lshrrev_b32_e32 v9, 3, v49
	v_sub_u32_e32 v7, 29, v48
	v_and_b32_e32 v6, 7, v6
	v_cmp_gt_u32_e32 vcc, 8, v49
	v_cndmask_b32_e32 v7, v9, v7, vcc
	v_cndmask_b32_e32 v6, v8, v6, vcc
	v_lshlrev_b32_e32 v2, 24, v2
	v_lshlrev_b32_e32 v6, 20, v6
	v_and_b32_e32 v2, 0x80000000, v2
	v_lshl_add_u32 v7, v7, 23, v27
	v_or3_b32 v48, v2, v7, v6
.LBB4_2427:                             ;   in Loop: Header=BB4_1703 Depth=2
	s_or_b64 exec, exec, s[54:55]
.LBB4_2428:                             ;   in Loop: Header=BB4_1703 Depth=2
	s_or_b64 exec, exec, s[52:53]
.LBB4_2429:                             ;   in Loop: Header=BB4_1703 Depth=2
	s_or_b64 exec, exec, s[18:19]
	v_lshrrev_b32_e32 v2, 16, v13
	v_cmp_ne_u16_sdwa vcc, v2, v53 src0_sel:BYTE_0 src1_sel:DWORD
	s_and_saveexec_b64 s[18:19], vcc
	s_cbranch_execz .LBB4_2435
; %bb.2430:                             ;   in Loop: Header=BB4_1703 Depth=2
	v_cmp_ne_u16_sdwa vcc, v2, s69 src0_sel:BYTE_0 src1_sel:DWORD
	v_bfrev_b32_e32 v3, 1
	s_and_saveexec_b64 s[52:53], vcc
	s_cbranch_execz .LBB4_2434
; %bb.2431:                             ;   in Loop: Header=BB4_1703 Depth=2
	v_bfe_u32 v49, v13, 16, 7
	v_cmp_ne_u32_e32 vcc, s71, v49
	v_mov_b32_e32 v3, 0x7f800001
	s_and_saveexec_b64 s[54:55], vcc
	s_cbranch_execz .LBB4_2433
; %bb.2432:                             ;   in Loop: Header=BB4_1703 Depth=2
	v_and_b32_e32 v6, 7, v2
	v_ffbh_u32_e32 v3, v6
	v_min_u32_e32 v8, 32, v3
	v_subrev_u32_e32 v3, 28, v8
	v_lshlrev_b64 v[2:3], v3, v[2:3]
	v_lshrrev_b32_e32 v7, 3, v49
	v_sub_u32_e32 v3, 29, v8
	v_and_b32_e32 v2, 7, v2
	v_cmp_gt_u32_e32 vcc, 8, v49
	v_cndmask_b32_e32 v3, v7, v3, vcc
	v_cndmask_b32_e32 v2, v6, v2, vcc
	v_lshlrev_b32_e32 v6, 8, v13
	v_lshlrev_b32_e32 v2, 20, v2
	v_and_b32_e32 v6, 0x80000000, v6
	v_lshl_add_u32 v3, v3, 23, v27
	v_or3_b32 v3, v6, v3, v2
.LBB4_2433:                             ;   in Loop: Header=BB4_1703 Depth=2
	s_or_b64 exec, exec, s[54:55]
.LBB4_2434:                             ;   in Loop: Header=BB4_1703 Depth=2
	s_or_b64 exec, exec, s[52:53]
.LBB4_2435:                             ;   in Loop: Header=BB4_1703 Depth=2
	s_or_b64 exec, exec, s[18:19]
	v_add_f32_e32 v2, v48, v3
	v_and_b32_sdwa v49, v2, s69 dst_sel:DWORD dst_unused:UNUSED_PAD src0_sel:BYTE_3 src1_sel:DWORD
	v_and_b32_e32 v6, 0x7f800000, v2
	v_mov_b32_e32 v7, v53
	v_and_b32_e32 v52, 0x7fffff, v2
	v_or_b32_e32 v48, 0x7e, v49
	v_cmp_ne_u64_e32 vcc, s[38:39], v[6:7]
	s_and_saveexec_b64 s[18:19], vcc
	s_xor_b64 s[52:53], exec, s[18:19]
	s_cbranch_execz .LBB4_2445
; %bb.2436:                             ;   in Loop: Header=BB4_1703 Depth=2
	v_and_b32_e32 v6, 0x7fffffff, v2
	v_mov_b32_e32 v7, v53
	v_cmp_gt_u64_e32 vcc, s[40:41], v[6:7]
	s_and_saveexec_b64 s[54:55], vcc
	s_cbranch_execz .LBB4_2444
; %bb.2437:                             ;   in Loop: Header=BB4_1703 Depth=2
	v_cmp_ne_u32_e32 vcc, 0, v2
	v_mov_b32_e32 v48, 0
	s_and_saveexec_b64 s[56:57], vcc
	s_cbranch_execz .LBB4_2443
; %bb.2438:                             ;   in Loop: Header=BB4_1703 Depth=2
	v_bfe_u32 v2, v2, 23, 8
	v_sub_u32_e32 v6, 0x79, v2
	v_cmp_gt_u32_e32 vcc, s72, v2
	v_add_u32_e32 v3, 0xffffff81, v2
	v_cndmask_b32_e32 v6, 0, v6, vcc
	v_cmp_eq_u32_e32 vcc, 0, v2
	v_mov_b32_e32 v2, 0xffffff82
	v_cndmask_b32_e32 v48, v3, v2, vcc
	v_mov_b32_e32 v2, 0x78
	v_accvgpr_write_b32 a26, v60
	v_cndmask_b32_e32 v60, v6, v2, vcc
	v_or_b32_e32 v7, 0x800000, v52
	v_add_u32_e32 v2, 20, v60
	v_cndmask_b32_e32 v52, v7, v52, vcc
	v_lshlrev_b64 v[2:3], v2, -1
	v_not_b32_e32 v2, v2
	v_lshrrev_b64 v[8:9], v60, v[52:53]
	v_not_b32_e32 v3, v3
	v_and_b32_e32 v2, v52, v2
	v_add_u32_e32 v6, 19, v60
	v_lshrrev_b32_e32 v52, 23, v8
	v_and_b32_e32 v3, 0, v3
	v_lshlrev_b64 v[6:7], v6, 1
	v_add3_u32 v60, v60, v48, v52
	v_bfe_u32 v48, v8, 20, 1
	v_add_u32_e32 v48, -1, v48
	v_cmp_eq_u64_e32 vcc, v[2:3], v[6:7]
	v_cndmask_b32_e32 v2, 0, v48, vcc
	v_add_u32_e32 v2, v2, v8
	v_and_b32_e32 v2, 0xfffff, v2
	v_add_co_u32_e32 v2, vcc, v2, v8
	v_add_u32_e32 v52, 6, v60
	v_addc_co_u32_e32 v3, vcc, 0, v9, vcc
	v_cmp_ne_u32_e32 vcc, 0, v52
                                        ; implicit-def: $vgpr48
	s_and_saveexec_b64 s[18:19], vcc
	s_xor_b64 s[18:19], exec, s[18:19]
; %bb.2439:                             ;   in Loop: Header=BB4_1703 Depth=2
	v_add_u32_e32 v6, 7, v60
	v_cmp_lt_u64_e32 vcc, s[44:45], v[2:3]
	v_cndmask_b32_e32 v48, v52, v6, vcc
	v_cndmask_b32_e64 v6, 0, 1, vcc
	v_lshrrev_b64 v[2:3], v6, v[2:3]
; %bb.2440:                             ;   in Loop: Header=BB4_1703 Depth=2
	s_andn2_saveexec_b64 s[18:19], s[18:19]
; %bb.2441:                             ;   in Loop: Header=BB4_1703 Depth=2
	v_bfe_u32 v48, v2, 23, 1
; %bb.2442:                             ;   in Loop: Header=BB4_1703 Depth=2
	s_or_b64 exec, exec, s[18:19]
	v_lshrrev_b64 v[2:3], 20, v[2:3]
	v_cmp_gt_i32_e32 vcc, 16, v48
	v_cndmask_b32_e32 v3, 0, v3, vcc
	v_cndmask_b32_e32 v2, 7, v2, vcc
	v_cmp_eq_u64_e64 s[18:19], 0, v[2:3]
	v_min_i32_e32 v3, 15, v48
	v_lshlrev_b32_e32 v3, 3, v3
	v_cmp_eq_u32_e32 vcc, 0, v48
	v_and_b32_e32 v3, 0xf8, v3
	v_and_or_b32 v2, v2, 7, v3
	s_and_b64 s[18:19], vcc, s[18:19]
	v_cndmask_b32_e64 v2, v2, 0, s[18:19]
	v_or_b32_e32 v48, v2, v49
	v_accvgpr_read_b32 v60, a26
.LBB4_2443:                             ;   in Loop: Header=BB4_1703 Depth=2
	s_or_b64 exec, exec, s[56:57]
.LBB4_2444:                             ;   in Loop: Header=BB4_1703 Depth=2
	s_or_b64 exec, exec, s[54:55]
                                        ; implicit-def: $vgpr2
.LBB4_2445:                             ;   in Loop: Header=BB4_1703 Depth=2
	s_andn2_saveexec_b64 s[18:19], s[52:53]
; %bb.2446:                             ;   in Loop: Header=BB4_1703 Depth=2
	v_or_b32_sdwa v2, v2, s71 dst_sel:DWORD dst_unused:UNUSED_PAD src0_sel:BYTE_3 src1_sel:DWORD
	v_cmp_eq_u64_e32 vcc, 0, v[52:53]
	v_cndmask_b32_e32 v48, v2, v48, vcc
; %bb.2447:                             ;   in Loop: Header=BB4_1703 Depth=2
	s_or_b64 exec, exec, s[18:19]
	v_cmp_lt_u64_e32 vcc, s[42:43], v[16:17]
	v_mov_b32_e32 v3, 0
	v_mov_b32_e32 v16, 0
	s_and_saveexec_b64 s[18:19], vcc
	s_cbranch_execz .LBB4_2453
; %bb.2448:                             ;   in Loop: Header=BB4_1703 Depth=2
	v_lshrrev_b32_e32 v2, 24, v17
	v_cmp_ne_u32_e32 vcc, s69, v2
	v_bfrev_b32_e32 v16, 1
	s_and_saveexec_b64 s[52:53], vcc
	s_cbranch_execz .LBB4_2452
; %bb.2449:                             ;   in Loop: Header=BB4_1703 Depth=2
	v_bfe_u32 v17, v17, 24, 7
	v_cmp_ne_u32_e32 vcc, s71, v17
	v_mov_b32_e32 v16, 0x7f800001
	s_and_saveexec_b64 s[54:55], vcc
	s_cbranch_execz .LBB4_2451
; %bb.2450:                             ;   in Loop: Header=BB4_1703 Depth=2
	v_and_b32_e32 v8, 7, v2
	v_ffbh_u32_e32 v6, v8
	v_min_u32_e32 v16, 32, v6
	v_subrev_u32_e32 v6, 28, v16
	v_lshlrev_b64 v[6:7], v6, v[2:3]
	v_lshrrev_b32_e32 v9, 3, v17
	v_sub_u32_e32 v7, 29, v16
	v_and_b32_e32 v6, 7, v6
	v_cmp_gt_u32_e32 vcc, 8, v17
	v_cndmask_b32_e32 v7, v9, v7, vcc
	v_cndmask_b32_e32 v6, v8, v6, vcc
	v_lshlrev_b32_e32 v2, 24, v2
	v_lshlrev_b32_e32 v6, 20, v6
	v_and_b32_e32 v2, 0x80000000, v2
	v_lshl_add_u32 v7, v7, 23, v27
	v_or3_b32 v16, v2, v7, v6
.LBB4_2451:                             ;   in Loop: Header=BB4_1703 Depth=2
	s_or_b64 exec, exec, s[54:55]
.LBB4_2452:                             ;   in Loop: Header=BB4_1703 Depth=2
	s_or_b64 exec, exec, s[52:53]
.LBB4_2453:                             ;   in Loop: Header=BB4_1703 Depth=2
	s_or_b64 exec, exec, s[18:19]
	v_cmp_lt_u64_e32 vcc, s[42:43], v[12:13]
	s_and_saveexec_b64 s[18:19], vcc
	s_cbranch_execz .LBB4_2459
; %bb.2454:                             ;   in Loop: Header=BB4_1703 Depth=2
	v_lshrrev_b32_e32 v2, 24, v13
	v_cmp_ne_u32_e32 vcc, s69, v2
	v_bfrev_b32_e32 v3, 1
	s_and_saveexec_b64 s[52:53], vcc
	s_cbranch_execz .LBB4_2458
; %bb.2455:                             ;   in Loop: Header=BB4_1703 Depth=2
	v_bfe_u32 v12, v13, 24, 7
	v_cmp_ne_u32_e32 vcc, s71, v12
	v_mov_b32_e32 v3, 0x7f800001
	s_and_saveexec_b64 s[54:55], vcc
	s_cbranch_execz .LBB4_2457
; %bb.2456:                             ;   in Loop: Header=BB4_1703 Depth=2
	v_and_b32_e32 v3, 7, v2
	v_ffbh_u32_e32 v6, v3
	v_min_u32_e32 v9, 32, v6
	v_subrev_u32_e32 v6, 28, v9
	v_lshlrev_b64 v[6:7], v6, v[2:3]
	v_lshrrev_b32_e32 v8, 3, v12
	v_sub_u32_e32 v7, 29, v9
	v_and_b32_e32 v6, 7, v6
	v_cmp_gt_u32_e32 vcc, 8, v12
	v_cndmask_b32_e32 v7, v8, v7, vcc
	v_cndmask_b32_e32 v3, v3, v6, vcc
	v_lshlrev_b32_e32 v2, 24, v2
	v_lshlrev_b32_e32 v3, 20, v3
	v_and_b32_e32 v2, 0x80000000, v2
	v_lshl_add_u32 v6, v7, 23, v27
	v_or3_b32 v3, v2, v6, v3
.LBB4_2457:                             ;   in Loop: Header=BB4_1703 Depth=2
	s_or_b64 exec, exec, s[54:55]
.LBB4_2458:                             ;   in Loop: Header=BB4_1703 Depth=2
	s_or_b64 exec, exec, s[52:53]
.LBB4_2459:                             ;   in Loop: Header=BB4_1703 Depth=2
	s_or_b64 exec, exec, s[18:19]
	v_add_f32_e32 v3, v16, v3
	v_and_b32_sdwa v12, v3, s69 dst_sel:DWORD dst_unused:UNUSED_PAD src0_sel:BYTE_3 src1_sel:DWORD
	v_and_b32_e32 v6, 0x7f800000, v3
	v_mov_b32_e32 v7, v53
	v_and_b32_e32 v52, 0x7fffff, v3
	v_or_b32_e32 v2, 0x7e, v12
	v_cmp_ne_u64_e32 vcc, s[38:39], v[6:7]
	s_and_saveexec_b64 s[18:19], vcc
	s_xor_b64 s[52:53], exec, s[18:19]
	s_cbranch_execz .LBB4_2469
; %bb.2460:                             ;   in Loop: Header=BB4_1703 Depth=2
	v_and_b32_e32 v6, 0x7fffffff, v3
	v_mov_b32_e32 v7, v53
	v_cmp_gt_u64_e32 vcc, s[40:41], v[6:7]
	s_and_saveexec_b64 s[54:55], vcc
	s_cbranch_execz .LBB4_2468
; %bb.2461:                             ;   in Loop: Header=BB4_1703 Depth=2
	v_cmp_ne_u32_e32 vcc, 0, v3
	v_mov_b32_e32 v2, 0
	s_and_saveexec_b64 s[56:57], vcc
	s_cbranch_execz .LBB4_2467
; %bb.2462:                             ;   in Loop: Header=BB4_1703 Depth=2
	v_bfe_u32 v2, v3, 23, 8
	v_sub_u32_e32 v6, 0x79, v2
	v_cmp_gt_u32_e32 vcc, s72, v2
	v_add_u32_e32 v3, 0xffffff81, v2
	v_cndmask_b32_e32 v6, 0, v6, vcc
	v_cmp_eq_u32_e32 vcc, 0, v2
	v_mov_b32_e32 v2, 0xffffff82
	v_cndmask_b32_e32 v13, v3, v2, vcc
	v_mov_b32_e32 v2, 0x78
	v_or_b32_e32 v7, 0x800000, v52
	v_cndmask_b32_e32 v16, v6, v2, vcc
	v_cndmask_b32_e32 v52, v7, v52, vcc
	v_add_u32_e32 v2, 20, v16
	v_lshlrev_b64 v[2:3], v2, -1
	v_lshrrev_b64 v[8:9], v16, v[52:53]
	v_not_b32_e32 v3, v3
	v_not_b32_e32 v2, v2
	v_add_u32_e32 v6, 19, v16
	v_lshrrev_b32_e32 v17, 23, v8
	v_and_b32_e32 v3, 0, v3
	v_and_b32_e32 v2, v52, v2
	v_lshlrev_b64 v[6:7], v6, 1
	v_add3_u32 v17, v16, v13, v17
	v_bfe_u32 v13, v8, 20, 1
	v_add_u32_e32 v13, -1, v13
	v_cmp_eq_u64_e32 vcc, v[2:3], v[6:7]
	v_cndmask_b32_e32 v2, 0, v13, vcc
	v_add_u32_e32 v2, v2, v8
	v_and_b32_e32 v2, 0xfffff, v2
	v_add_co_u32_e32 v2, vcc, v2, v8
	v_add_u32_e32 v16, 6, v17
	v_addc_co_u32_e32 v3, vcc, 0, v9, vcc
	v_cmp_ne_u32_e32 vcc, 0, v16
                                        ; implicit-def: $vgpr13
	s_and_saveexec_b64 s[18:19], vcc
	s_xor_b64 s[18:19], exec, s[18:19]
; %bb.2463:                             ;   in Loop: Header=BB4_1703 Depth=2
	v_add_u32_e32 v6, 7, v17
	v_cmp_lt_u64_e32 vcc, s[44:45], v[2:3]
	v_cndmask_b32_e32 v13, v16, v6, vcc
	v_cndmask_b32_e64 v6, 0, 1, vcc
	v_lshrrev_b64 v[2:3], v6, v[2:3]
; %bb.2464:                             ;   in Loop: Header=BB4_1703 Depth=2
	s_andn2_saveexec_b64 s[18:19], s[18:19]
; %bb.2465:                             ;   in Loop: Header=BB4_1703 Depth=2
	v_bfe_u32 v13, v2, 23, 1
; %bb.2466:                             ;   in Loop: Header=BB4_1703 Depth=2
	s_or_b64 exec, exec, s[18:19]
	v_lshrrev_b64 v[2:3], 20, v[2:3]
	v_cmp_gt_i32_e32 vcc, 16, v13
	v_cndmask_b32_e32 v3, 0, v3, vcc
	v_cndmask_b32_e32 v2, 7, v2, vcc
	v_cmp_eq_u64_e64 s[18:19], 0, v[2:3]
	v_min_i32_e32 v3, 15, v13
	v_lshlrev_b32_e32 v3, 3, v3
	v_cmp_eq_u32_e32 vcc, 0, v13
	v_and_b32_e32 v3, 0xf8, v3
	v_and_or_b32 v2, v2, 7, v3
	s_and_b64 s[18:19], vcc, s[18:19]
	v_cndmask_b32_e64 v2, v2, 0, s[18:19]
	v_or_b32_e32 v2, v2, v12
.LBB4_2467:                             ;   in Loop: Header=BB4_1703 Depth=2
	s_or_b64 exec, exec, s[56:57]
.LBB4_2468:                             ;   in Loop: Header=BB4_1703 Depth=2
	s_or_b64 exec, exec, s[54:55]
                                        ; implicit-def: $vgpr3
.LBB4_2469:                             ;   in Loop: Header=BB4_1703 Depth=2
	s_andn2_saveexec_b64 s[18:19], s[52:53]
	s_cbranch_execz .LBB4_1702
; %bb.2470:                             ;   in Loop: Header=BB4_1703 Depth=2
	v_or_b32_sdwa v3, v3, s71 dst_sel:DWORD dst_unused:UNUSED_PAD src0_sel:BYTE_3 src1_sel:DWORD
	v_cmp_eq_u64_e32 vcc, 0, v[52:53]
	v_cndmask_b32_e32 v2, v3, v2, vcc
	s_branch .LBB4_1702
.LBB4_2471:                             ;   in Loop: Header=BB4_1630 Depth=1
	s_or_b64 exec, exec, s[50:51]
	v_accvgpr_read_b32 v47, a0
	v_accvgpr_read_b32 v56, a1
	;; [unrolled: 1-line block ×12, first 2 shown]
.LBB4_2472:                             ;   in Loop: Header=BB4_1630 Depth=1
	s_or_b64 exec, exec, s[20:21]
	v_and_b32_e32 v3, 0x3ffff800, v41
	v_cmp_ne_u32_e32 vcc, v3, v41
	s_mov_b64 s[18:19], 0
	v_mov_b32_e32 v16, 0
                                        ; implicit-def: $vgpr17
                                        ; implicit-def: $vgpr18
                                        ; implicit-def: $vgpr2
	s_and_saveexec_b64 s[50:51], vcc
	s_cbranch_execz .LBB4_2864
; %bb.2473:                             ;   in Loop: Header=BB4_1630 Depth=1
	v_lshlrev_b32_e32 v0, 6, v30
	v_accvgpr_read_b32 v2, a23
	v_sub_u32_e32 v0, v2, v0
	v_ashrrev_i32_e32 v2, 31, v0
	v_lshrrev_b32_e32 v2, 26, v2
	v_add_u32_e32 v2, v0, v2
	v_ashrrev_i32_e32 v4, 6, v2
	v_and_b32_e32 v2, 0xffffffc0, v2
	v_and_b32_e32 v1, 0x7ff, v41
	v_sub_u32_e32 v0, v0, v2
	v_and_b32_e32 v6, 0x400, v41
	v_lshlrev_b32_e32 v2, 4, v0
	v_sub_u32_e32 v25, v1, v6
	v_lshl_add_u32 v2, v4, 10, v2
	v_bfe_u32 v5, v41, 10, 1
	v_cmp_lt_i32_e32 vcc, 15, v25
	v_sub_u32_e32 v26, v1, v2
	v_addc_co_u32_e64 v1, s[18:19], 0, v5, vcc
	v_sub_u32_e32 v1, v1, v4
	v_cmp_lt_i32_e64 s[18:19], 15, v26
	s_and_saveexec_b64 s[52:53], s[18:19]
	s_cbranch_execz .LBB4_2861
; %bb.2474:                             ;   in Loop: Header=BB4_1630 Depth=1
	s_trap 2
	ds_read_b128 v[4:7], v0
	v_add_u32_e32 v8, v2, v3
	ds_read_b64 v[2:3], v0
	v_ashrrev_i32_e32 v9, 31, v8
	s_mov_b64 s[54:55], 0
	s_waitcnt lgkmcnt(0)
	v_add_co_u32_e64 v18, s[18:19], v4, v8
	v_addc_co_u32_e64 v19, s[18:19], v5, v9, s[18:19]
	v_add_co_u32_e64 v20, s[18:19], v6, v8
	v_addc_co_u32_e64 v21, s[18:19], v7, v9, s[18:19]
	s_waitcnt lgkmcnt(0)
	v_add_co_u32_e64 v22, s[18:19], v2, v8
	v_addc_co_u32_e64 v23, s[18:19], v3, v9, s[18:19]
	s_branch .LBB4_2476
.LBB4_2475:                             ;   in Loop: Header=BB4_2476 Depth=2
	s_or_b64 exec, exec, s[20:21]
	v_lshlrev_b32_e32 v3, 8, v24
	v_perm_b32 v3, v3, v29, s73
	v_lshl_or_b32 v3, v35, 16, v3
	v_lshl_or_b32 v7, v11, 24, v3
	v_and_b32_e32 v3, 0xff, v34
	v_lshlrev_b32_e32 v8, 8, v31
	v_lshlrev_b32_e32 v6, 24, v28
	;; [unrolled: 1-line block ×3, first 2 shown]
	v_perm_b32 v8, v8, v30, s73
	v_or3_b32 v6, v6, v3, v8
	v_and_b32_e32 v3, 0xff, v50
	v_lshlrev_b32_e32 v8, 8, v15
	v_lshlrev_b32_e32 v4, 24, v4
	;; [unrolled: 1-line block ×3, first 2 shown]
	v_perm_b32 v8, v8, v14, s73
	v_or3_b32 v8, v4, v3, v8
	v_lshlrev_b32_e32 v3, 8, v10
	v_add_co_u32_e64 v18, s[18:19], v18, v44
	v_perm_b32 v3, v3, v5, s73
	v_addc_co_u32_e64 v19, s[18:19], v19, v45, s[18:19]
	v_lshl_or_b32 v3, v48, 16, v3
	v_add_co_u32_e64 v20, s[18:19], v20, v44
	v_lshl_or_b32 v9, v2, 24, v3
	v_addc_co_u32_e64 v21, s[18:19], v21, v45, s[18:19]
	global_store_dwordx4 v[22:23], v[6:9], off glc slc
	v_add_co_u32_e64 v22, s[18:19], v22, v44
	v_addc_co_u32_e64 v23, s[18:19], v23, v45, s[18:19]
	v_sub_u32_e32 v26, v26, v55
	v_cmp_gt_i32_e64 s[18:19], 16, v26
	v_accvgpr_read_b32 v2, a22
	s_or_b64 s[54:55], s[18:19], s[54:55]
	v_sub_u32_e32 v1, v1, v2
	s_andn2_b64 exec, exec, s[54:55]
	s_cbranch_execz .LBB4_2860
.LBB4_2476:                             ;   Parent Loop BB4_1630 Depth=1
                                        ; =>  This Inner Loop Header: Depth=2
	global_load_dwordx4 v[14:17], v[18:19], off glc slc
	global_load_dwordx4 v[10:13], v[20:21], off glc slc
	v_mov_b32_e32 v2, 0
	v_mov_b32_e32 v3, 0
	s_waitcnt vmcnt(0)
	v_cmp_ne_u16_sdwa s[18:19], v14, v53 src0_sel:BYTE_0 src1_sel:DWORD
	s_and_saveexec_b64 s[20:21], s[18:19]
	s_cbranch_execz .LBB4_2482
; %bb.2477:                             ;   in Loop: Header=BB4_2476 Depth=2
	v_cmp_ne_u16_sdwa s[18:19], v14, s69 src0_sel:BYTE_0 src1_sel:DWORD
	v_bfrev_b32_e32 v3, 1
	s_and_saveexec_b64 s[56:57], s[18:19]
	s_cbranch_execz .LBB4_2481
; %bb.2478:                             ;   in Loop: Header=BB4_2476 Depth=2
	v_and_b32_e32 v4, 0x7f, v14
	v_cmp_ne_u32_e64 s[18:19], s71, v4
	v_mov_b32_e32 v3, 0x7f800001
	s_and_saveexec_b64 s[58:59], s[18:19]
	s_cbranch_execz .LBB4_2480
; %bb.2479:                             ;   in Loop: Header=BB4_2476 Depth=2
	v_and_b32_e32 v3, 7, v14
	v_ffbh_u32_e32 v3, v3
	v_min_u32_e32 v3, 32, v3
	v_subrev_u32_e32 v6, 28, v3
	v_cmp_gt_u32_e64 s[18:19], 8, v4
	v_lshrrev_b32_e32 v5, 3, v4
	v_sub_u32_e32 v3, 29, v3
	v_cndmask_b32_e64 v4, 0, v6, s[18:19]
	v_cndmask_b32_e64 v3, v5, v3, s[18:19]
	v_lshlrev_b64 v[4:5], v4, v[14:15]
	v_lshlrev_b32_e32 v4, 20, v4
	v_lshlrev_b32_e32 v5, 24, v14
	v_and_b32_e32 v4, 0x700000, v4
	v_and_b32_e32 v5, 0x80000000, v5
	v_lshl_add_u32 v3, v3, 23, v27
	v_or3_b32 v3, v5, v3, v4
.LBB4_2480:                             ;   in Loop: Header=BB4_2476 Depth=2
	s_or_b64 exec, exec, s[58:59]
.LBB4_2481:                             ;   in Loop: Header=BB4_2476 Depth=2
	s_or_b64 exec, exec, s[56:57]
.LBB4_2482:                             ;   in Loop: Header=BB4_2476 Depth=2
	s_or_b64 exec, exec, s[20:21]
	s_waitcnt vmcnt(0)
	v_cmp_ne_u16_sdwa s[18:19], v10, v53 src0_sel:BYTE_0 src1_sel:DWORD
	s_and_saveexec_b64 s[20:21], s[18:19]
	s_cbranch_execz .LBB4_2488
; %bb.2483:                             ;   in Loop: Header=BB4_2476 Depth=2
	v_cmp_ne_u16_sdwa s[18:19], v10, s69 src0_sel:BYTE_0 src1_sel:DWORD
	v_bfrev_b32_e32 v2, 1
	s_and_saveexec_b64 s[56:57], s[18:19]
	s_cbranch_execz .LBB4_2487
; %bb.2484:                             ;   in Loop: Header=BB4_2476 Depth=2
	v_and_b32_e32 v4, 0x7f, v10
	v_cmp_ne_u32_e64 s[18:19], s71, v4
	v_mov_b32_e32 v2, 0x7f800001
	s_and_saveexec_b64 s[58:59], s[18:19]
	s_cbranch_execz .LBB4_2486
; %bb.2485:                             ;   in Loop: Header=BB4_2476 Depth=2
	v_and_b32_e32 v2, 7, v10
	v_ffbh_u32_e32 v2, v2
	v_min_u32_e32 v2, 32, v2
	v_subrev_u32_e32 v6, 28, v2
	v_cmp_gt_u32_e64 s[18:19], 8, v4
	v_lshrrev_b32_e32 v5, 3, v4
	v_sub_u32_e32 v2, 29, v2
	v_cndmask_b32_e64 v4, 0, v6, s[18:19]
	v_cndmask_b32_e64 v2, v5, v2, s[18:19]
	v_lshlrev_b64 v[4:5], v4, v[10:11]
	v_lshlrev_b32_e32 v4, 20, v4
	v_lshlrev_b32_e32 v5, 24, v10
	v_and_b32_e32 v4, 0x700000, v4
	v_and_b32_e32 v5, 0x80000000, v5
	v_lshl_add_u32 v2, v2, 23, v27
	v_or3_b32 v2, v5, v2, v4
.LBB4_2486:                             ;   in Loop: Header=BB4_2476 Depth=2
	s_or_b64 exec, exec, s[58:59]
.LBB4_2487:                             ;   in Loop: Header=BB4_2476 Depth=2
	s_or_b64 exec, exec, s[56:57]
.LBB4_2488:                             ;   in Loop: Header=BB4_2476 Depth=2
	s_or_b64 exec, exec, s[20:21]
	v_add_f32_e32 v2, v3, v2
	v_and_b32_sdwa v4, v2, s69 dst_sel:DWORD dst_unused:UNUSED_PAD src0_sel:BYTE_3 src1_sel:DWORD
	v_and_b32_e32 v6, 0x7f800000, v2
	v_mov_b32_e32 v7, v53
	v_and_b32_e32 v52, 0x7fffff, v2
	v_or_b32_e32 v30, 0x7e, v4
	v_cmp_ne_u64_e64 s[18:19], s[38:39], v[6:7]
	s_and_saveexec_b64 s[20:21], s[18:19]
	s_xor_b64 s[56:57], exec, s[20:21]
	s_cbranch_execz .LBB4_2498
; %bb.2489:                             ;   in Loop: Header=BB4_2476 Depth=2
	v_and_b32_e32 v6, 0x7fffffff, v2
	v_mov_b32_e32 v7, v53
	v_cmp_gt_u64_e64 s[18:19], s[40:41], v[6:7]
	s_and_saveexec_b64 s[58:59], s[18:19]
	s_cbranch_execz .LBB4_2497
; %bb.2490:                             ;   in Loop: Header=BB4_2476 Depth=2
	v_cmp_ne_u32_e64 s[18:19], 0, v2
	v_mov_b32_e32 v30, 0
	s_and_saveexec_b64 s[60:61], s[18:19]
	s_cbranch_execz .LBB4_2496
; %bb.2491:                             ;   in Loop: Header=BB4_2476 Depth=2
	v_bfe_u32 v2, v2, 23, 8
	v_sub_u32_e32 v5, 0x79, v2
	v_cmp_gt_u32_e64 s[18:19], s72, v2
	v_add_u32_e32 v3, 0xffffff81, v2
	v_cndmask_b32_e64 v5, 0, v5, s[18:19]
	v_cmp_eq_u32_e64 s[18:19], 0, v2
	v_mov_b32_e32 v2, 0xffffff82
	v_cndmask_b32_e64 v24, v3, v2, s[18:19]
	v_mov_b32_e32 v2, 0x78
	v_or_b32_e32 v6, 0x800000, v52
	v_cndmask_b32_e64 v5, v5, v2, s[18:19]
	v_cndmask_b32_e64 v52, v6, v52, s[18:19]
	v_add_u32_e32 v2, 20, v5
	v_lshlrev_b64 v[2:3], v2, -1
	v_lshrrev_b64 v[8:9], v5, v[52:53]
	v_not_b32_e32 v3, v3
	v_not_b32_e32 v2, v2
	v_add_u32_e32 v6, 19, v5
	v_lshrrev_b32_e32 v28, 23, v8
	v_and_b32_e32 v3, 0, v3
	v_and_b32_e32 v2, v52, v2
	v_lshlrev_b64 v[6:7], v6, 1
	v_add3_u32 v28, v5, v24, v28
	v_bfe_u32 v5, v8, 20, 1
	v_add_u32_e32 v5, -1, v5
	v_cmp_eq_u64_e64 s[18:19], v[2:3], v[6:7]
	v_cndmask_b32_e64 v2, 0, v5, s[18:19]
	v_add_u32_e32 v2, v2, v8
	v_and_b32_e32 v2, 0xfffff, v2
	v_add_co_u32_e64 v2, s[18:19], v2, v8
	v_add_u32_e32 v24, 6, v28
	v_addc_co_u32_e64 v3, s[18:19], 0, v9, s[18:19]
	v_cmp_ne_u32_e64 s[18:19], 0, v24
                                        ; implicit-def: $vgpr5
	s_and_saveexec_b64 s[20:21], s[18:19]
	s_xor_b64 s[20:21], exec, s[20:21]
; %bb.2492:                             ;   in Loop: Header=BB4_2476 Depth=2
	v_cmp_lt_u64_e64 s[18:19], s[44:45], v[2:3]
	v_add_u32_e32 v5, 7, v28
	v_cndmask_b32_e64 v6, 0, 1, s[18:19]
	v_cndmask_b32_e64 v5, v24, v5, s[18:19]
	v_lshrrev_b64 v[2:3], v6, v[2:3]
; %bb.2493:                             ;   in Loop: Header=BB4_2476 Depth=2
	s_andn2_saveexec_b64 s[18:19], s[20:21]
; %bb.2494:                             ;   in Loop: Header=BB4_2476 Depth=2
	v_bfe_u32 v5, v2, 23, 1
; %bb.2495:                             ;   in Loop: Header=BB4_2476 Depth=2
	s_or_b64 exec, exec, s[18:19]
	v_lshrrev_b64 v[2:3], 20, v[2:3]
	v_cmp_gt_i32_e64 s[18:19], 16, v5
	v_cndmask_b32_e64 v3, 0, v3, s[18:19]
	v_cndmask_b32_e64 v2, 7, v2, s[18:19]
	v_cmp_eq_u64_e64 s[20:21], 0, v[2:3]
	v_min_i32_e32 v3, 15, v5
	v_cmp_eq_u32_e64 s[18:19], 0, v5
	v_lshlrev_b32_e32 v3, 3, v3
	v_and_or_b32 v2, v2, 7, v3
	s_and_b64 s[18:19], s[18:19], s[20:21]
	v_cndmask_b32_e64 v2, v2, 0, s[18:19]
	v_or_b32_e32 v30, v2, v4
.LBB4_2496:                             ;   in Loop: Header=BB4_2476 Depth=2
	s_or_b64 exec, exec, s[60:61]
.LBB4_2497:                             ;   in Loop: Header=BB4_2476 Depth=2
	s_or_b64 exec, exec, s[58:59]
                                        ; implicit-def: $vgpr2
.LBB4_2498:                             ;   in Loop: Header=BB4_2476 Depth=2
	s_andn2_saveexec_b64 s[20:21], s[56:57]
; %bb.2499:                             ;   in Loop: Header=BB4_2476 Depth=2
	v_or_b32_sdwa v2, v2, s71 dst_sel:DWORD dst_unused:UNUSED_PAD src0_sel:BYTE_3 src1_sel:DWORD
	v_cmp_eq_u64_e64 s[18:19], 0, v[52:53]
	v_cndmask_b32_e64 v30, v2, v30, s[18:19]
; %bb.2500:                             ;   in Loop: Header=BB4_2476 Depth=2
	s_or_b64 exec, exec, s[20:21]
	v_lshrrev_b16_e32 v2, 8, v14
	v_cmp_ne_u16_e64 s[18:19], 0, v2
	v_mov_b32_e32 v3, 0
	v_mov_b32_e32 v4, 0
	s_and_saveexec_b64 s[20:21], s[18:19]
	s_cbranch_execz .LBB4_2506
; %bb.2501:                             ;   in Loop: Header=BB4_2476 Depth=2
	v_cmp_ne_u16_e64 s[18:19], s69, v2
	v_bfrev_b32_e32 v4, 1
	s_and_saveexec_b64 s[56:57], s[18:19]
	s_cbranch_execz .LBB4_2505
; %bb.2502:                             ;   in Loop: Header=BB4_2476 Depth=2
	v_and_b32_e32 v5, 0x7f, v2
	v_cmp_ne_u32_e64 s[18:19], s71, v5
	v_mov_b32_e32 v4, 0x7f800001
	s_and_saveexec_b64 s[58:59], s[18:19]
	s_cbranch_execz .LBB4_2504
; %bb.2503:                             ;   in Loop: Header=BB4_2476 Depth=2
	v_and_b32_e32 v4, 7, v2
	v_ffbh_u32_e32 v6, v4
	v_min_u32_e32 v9, 32, v6
	v_subrev_u32_e32 v6, 28, v9
	v_lshlrev_b64 v[6:7], v6, v[2:3]
	v_lshrrev_b32_e32 v8, 3, v5
	v_sub_u32_e32 v2, 29, v9
	v_and_b32_e32 v6, 7, v6
	v_cmp_gt_u32_e64 s[18:19], 8, v5
	v_cndmask_b32_e64 v2, v8, v2, s[18:19]
	v_cndmask_b32_e64 v4, v4, v6, s[18:19]
	v_lshlrev_b32_e32 v5, 16, v14
	v_lshlrev_b32_e32 v4, 20, v4
	v_and_b32_e32 v5, 0x80000000, v5
	v_lshl_add_u32 v2, v2, 23, v27
	v_or3_b32 v4, v5, v2, v4
.LBB4_2504:                             ;   in Loop: Header=BB4_2476 Depth=2
	s_or_b64 exec, exec, s[58:59]
.LBB4_2505:                             ;   in Loop: Header=BB4_2476 Depth=2
	s_or_b64 exec, exec, s[56:57]
.LBB4_2506:                             ;   in Loop: Header=BB4_2476 Depth=2
	s_or_b64 exec, exec, s[20:21]
	v_lshrrev_b16_e32 v2, 8, v10
	v_cmp_ne_u16_e64 s[18:19], 0, v2
	s_and_saveexec_b64 s[20:21], s[18:19]
	s_cbranch_execz .LBB4_2512
; %bb.2507:                             ;   in Loop: Header=BB4_2476 Depth=2
	v_cmp_ne_u16_e64 s[18:19], s69, v2
	v_bfrev_b32_e32 v3, 1
	s_and_saveexec_b64 s[56:57], s[18:19]
	s_cbranch_execz .LBB4_2511
; %bb.2508:                             ;   in Loop: Header=BB4_2476 Depth=2
	v_and_b32_e32 v5, 0x7f, v2
	v_cmp_ne_u32_e64 s[18:19], s71, v5
	v_mov_b32_e32 v3, 0x7f800001
	s_and_saveexec_b64 s[58:59], s[18:19]
	s_cbranch_execz .LBB4_2510
; %bb.2509:                             ;   in Loop: Header=BB4_2476 Depth=2
	v_and_b32_e32 v6, 7, v2
	v_ffbh_u32_e32 v3, v6
	v_min_u32_e32 v8, 32, v3
	v_subrev_u32_e32 v3, 28, v8
	v_lshlrev_b64 v[2:3], v3, v[2:3]
	v_lshrrev_b32_e32 v7, 3, v5
	v_sub_u32_e32 v3, 29, v8
	v_and_b32_e32 v2, 7, v2
	v_cmp_gt_u32_e64 s[18:19], 8, v5
	v_cndmask_b32_e64 v3, v7, v3, s[18:19]
	v_cndmask_b32_e64 v2, v6, v2, s[18:19]
	v_lshlrev_b32_e32 v5, 16, v10
	v_lshlrev_b32_e32 v2, 20, v2
	v_and_b32_e32 v5, 0x80000000, v5
	v_lshl_add_u32 v3, v3, 23, v27
	v_or3_b32 v3, v5, v3, v2
.LBB4_2510:                             ;   in Loop: Header=BB4_2476 Depth=2
	s_or_b64 exec, exec, s[58:59]
.LBB4_2511:                             ;   in Loop: Header=BB4_2476 Depth=2
	s_or_b64 exec, exec, s[56:57]
.LBB4_2512:                             ;   in Loop: Header=BB4_2476 Depth=2
	s_or_b64 exec, exec, s[20:21]
	v_add_f32_e32 v2, v4, v3
	v_and_b32_sdwa v4, v2, s69 dst_sel:DWORD dst_unused:UNUSED_PAD src0_sel:BYTE_3 src1_sel:DWORD
	v_and_b32_e32 v6, 0x7f800000, v2
	v_mov_b32_e32 v7, v53
	v_and_b32_e32 v52, 0x7fffff, v2
	v_or_b32_e32 v31, 0x7e, v4
	v_cmp_ne_u64_e64 s[18:19], s[38:39], v[6:7]
	s_and_saveexec_b64 s[20:21], s[18:19]
	s_xor_b64 s[56:57], exec, s[20:21]
	s_cbranch_execz .LBB4_2522
; %bb.2513:                             ;   in Loop: Header=BB4_2476 Depth=2
	v_and_b32_e32 v6, 0x7fffffff, v2
	v_mov_b32_e32 v7, v53
	v_cmp_gt_u64_e64 s[18:19], s[40:41], v[6:7]
	s_and_saveexec_b64 s[58:59], s[18:19]
	s_cbranch_execz .LBB4_2521
; %bb.2514:                             ;   in Loop: Header=BB4_2476 Depth=2
	v_cmp_ne_u32_e64 s[18:19], 0, v2
	v_mov_b32_e32 v31, 0
	s_and_saveexec_b64 s[60:61], s[18:19]
	s_cbranch_execz .LBB4_2520
; %bb.2515:                             ;   in Loop: Header=BB4_2476 Depth=2
	v_bfe_u32 v2, v2, 23, 8
	v_sub_u32_e32 v5, 0x79, v2
	v_cmp_gt_u32_e64 s[18:19], s72, v2
	v_add_u32_e32 v3, 0xffffff81, v2
	v_cndmask_b32_e64 v5, 0, v5, s[18:19]
	v_cmp_eq_u32_e64 s[18:19], 0, v2
	v_mov_b32_e32 v2, 0xffffff82
	v_cndmask_b32_e64 v24, v3, v2, s[18:19]
	v_mov_b32_e32 v2, 0x78
	v_or_b32_e32 v6, 0x800000, v52
	v_cndmask_b32_e64 v5, v5, v2, s[18:19]
	v_cndmask_b32_e64 v52, v6, v52, s[18:19]
	v_add_u32_e32 v2, 20, v5
	v_lshlrev_b64 v[2:3], v2, -1
	v_lshrrev_b64 v[8:9], v5, v[52:53]
	v_not_b32_e32 v3, v3
	v_not_b32_e32 v2, v2
	v_add_u32_e32 v6, 19, v5
	v_lshrrev_b32_e32 v28, 23, v8
	v_and_b32_e32 v3, 0, v3
	v_and_b32_e32 v2, v52, v2
	v_lshlrev_b64 v[6:7], v6, 1
	v_add3_u32 v28, v5, v24, v28
	v_bfe_u32 v5, v8, 20, 1
	v_add_u32_e32 v5, -1, v5
	v_cmp_eq_u64_e64 s[18:19], v[2:3], v[6:7]
	v_cndmask_b32_e64 v2, 0, v5, s[18:19]
	v_add_u32_e32 v2, v2, v8
	v_and_b32_e32 v2, 0xfffff, v2
	v_add_co_u32_e64 v2, s[18:19], v2, v8
	v_add_u32_e32 v24, 6, v28
	v_addc_co_u32_e64 v3, s[18:19], 0, v9, s[18:19]
	v_cmp_ne_u32_e64 s[18:19], 0, v24
                                        ; implicit-def: $vgpr5
	s_and_saveexec_b64 s[20:21], s[18:19]
	s_xor_b64 s[20:21], exec, s[20:21]
; %bb.2516:                             ;   in Loop: Header=BB4_2476 Depth=2
	v_cmp_lt_u64_e64 s[18:19], s[44:45], v[2:3]
	v_add_u32_e32 v5, 7, v28
	v_cndmask_b32_e64 v6, 0, 1, s[18:19]
	v_cndmask_b32_e64 v5, v24, v5, s[18:19]
	v_lshrrev_b64 v[2:3], v6, v[2:3]
; %bb.2517:                             ;   in Loop: Header=BB4_2476 Depth=2
	s_andn2_saveexec_b64 s[18:19], s[20:21]
; %bb.2518:                             ;   in Loop: Header=BB4_2476 Depth=2
	v_bfe_u32 v5, v2, 23, 1
; %bb.2519:                             ;   in Loop: Header=BB4_2476 Depth=2
	s_or_b64 exec, exec, s[18:19]
	v_lshrrev_b64 v[2:3], 20, v[2:3]
	v_cmp_gt_i32_e64 s[18:19], 16, v5
	v_cndmask_b32_e64 v3, 0, v3, s[18:19]
	v_cndmask_b32_e64 v2, 7, v2, s[18:19]
	v_cmp_eq_u64_e64 s[20:21], 0, v[2:3]
	v_min_i32_e32 v3, 15, v5
	v_cmp_eq_u32_e64 s[18:19], 0, v5
	v_lshlrev_b32_e32 v3, 3, v3
	v_and_or_b32 v2, v2, 7, v3
	s_and_b64 s[18:19], s[18:19], s[20:21]
	v_cndmask_b32_e64 v2, v2, 0, s[18:19]
	v_or_b32_e32 v31, v2, v4
.LBB4_2520:                             ;   in Loop: Header=BB4_2476 Depth=2
	s_or_b64 exec, exec, s[60:61]
.LBB4_2521:                             ;   in Loop: Header=BB4_2476 Depth=2
	s_or_b64 exec, exec, s[58:59]
                                        ; implicit-def: $vgpr2
.LBB4_2522:                             ;   in Loop: Header=BB4_2476 Depth=2
	s_andn2_saveexec_b64 s[20:21], s[56:57]
; %bb.2523:                             ;   in Loop: Header=BB4_2476 Depth=2
	v_or_b32_sdwa v2, v2, s71 dst_sel:DWORD dst_unused:UNUSED_PAD src0_sel:BYTE_3 src1_sel:DWORD
	v_cmp_eq_u64_e64 s[18:19], 0, v[52:53]
	v_cndmask_b32_e64 v31, v2, v31, s[18:19]
; %bb.2524:                             ;   in Loop: Header=BB4_2476 Depth=2
	s_or_b64 exec, exec, s[20:21]
	v_lshrrev_b32_e32 v2, 16, v14
	v_cmp_ne_u16_sdwa s[18:19], v2, v53 src0_sel:BYTE_0 src1_sel:DWORD
	v_mov_b32_e32 v3, 0
	v_mov_b32_e32 v4, 0
	s_and_saveexec_b64 s[20:21], s[18:19]
	s_cbranch_execz .LBB4_2530
; %bb.2525:                             ;   in Loop: Header=BB4_2476 Depth=2
	v_cmp_ne_u16_sdwa s[18:19], v2, s69 src0_sel:BYTE_0 src1_sel:DWORD
	v_bfrev_b32_e32 v4, 1
	s_and_saveexec_b64 s[56:57], s[18:19]
	s_cbranch_execz .LBB4_2529
; %bb.2526:                             ;   in Loop: Header=BB4_2476 Depth=2
	v_bfe_u32 v5, v14, 16, 7
	v_cmp_ne_u32_e64 s[18:19], s71, v5
	v_mov_b32_e32 v4, 0x7f800001
	s_and_saveexec_b64 s[58:59], s[18:19]
	s_cbranch_execz .LBB4_2528
; %bb.2527:                             ;   in Loop: Header=BB4_2476 Depth=2
	v_and_b32_e32 v4, 7, v2
	v_ffbh_u32_e32 v6, v4
	v_min_u32_e32 v9, 32, v6
	v_subrev_u32_e32 v6, 28, v9
	v_lshlrev_b64 v[6:7], v6, v[2:3]
	v_lshrrev_b32_e32 v8, 3, v5
	v_sub_u32_e32 v7, 29, v9
	v_and_b32_e32 v6, 7, v6
	v_cmp_gt_u32_e64 s[18:19], 8, v5
	v_cndmask_b32_e64 v5, v8, v7, s[18:19]
	v_cndmask_b32_e64 v4, v4, v6, s[18:19]
	v_lshlrev_b32_e32 v2, 24, v2
	v_lshlrev_b32_e32 v4, 20, v4
	v_and_b32_e32 v2, 0x80000000, v2
	v_lshl_add_u32 v5, v5, 23, v27
	v_or3_b32 v4, v2, v5, v4
.LBB4_2528:                             ;   in Loop: Header=BB4_2476 Depth=2
	s_or_b64 exec, exec, s[58:59]
.LBB4_2529:                             ;   in Loop: Header=BB4_2476 Depth=2
	s_or_b64 exec, exec, s[56:57]
.LBB4_2530:                             ;   in Loop: Header=BB4_2476 Depth=2
	s_or_b64 exec, exec, s[20:21]
	v_lshrrev_b32_e32 v2, 16, v10
	v_cmp_ne_u16_sdwa s[18:19], v2, v53 src0_sel:BYTE_0 src1_sel:DWORD
	s_and_saveexec_b64 s[20:21], s[18:19]
	s_cbranch_execz .LBB4_2536
; %bb.2531:                             ;   in Loop: Header=BB4_2476 Depth=2
	v_cmp_ne_u16_sdwa s[18:19], v2, s69 src0_sel:BYTE_0 src1_sel:DWORD
	v_bfrev_b32_e32 v3, 1
	s_and_saveexec_b64 s[56:57], s[18:19]
	s_cbranch_execz .LBB4_2535
; %bb.2532:                             ;   in Loop: Header=BB4_2476 Depth=2
	v_bfe_u32 v5, v10, 16, 7
	v_cmp_ne_u32_e64 s[18:19], s71, v5
	v_mov_b32_e32 v3, 0x7f800001
	s_and_saveexec_b64 s[58:59], s[18:19]
	s_cbranch_execz .LBB4_2534
; %bb.2533:                             ;   in Loop: Header=BB4_2476 Depth=2
	v_and_b32_e32 v6, 7, v2
	v_ffbh_u32_e32 v3, v6
	v_min_u32_e32 v8, 32, v3
	v_subrev_u32_e32 v3, 28, v8
	v_lshlrev_b64 v[2:3], v3, v[2:3]
	v_lshrrev_b32_e32 v7, 3, v5
	v_sub_u32_e32 v3, 29, v8
	v_and_b32_e32 v2, 7, v2
	v_cmp_gt_u32_e64 s[18:19], 8, v5
	v_cndmask_b32_e64 v3, v7, v3, s[18:19]
	v_cndmask_b32_e64 v2, v6, v2, s[18:19]
	v_lshlrev_b32_e32 v5, 8, v10
	v_lshlrev_b32_e32 v2, 20, v2
	v_and_b32_e32 v5, 0x80000000, v5
	v_lshl_add_u32 v3, v3, 23, v27
	v_or3_b32 v3, v5, v3, v2
.LBB4_2534:                             ;   in Loop: Header=BB4_2476 Depth=2
	s_or_b64 exec, exec, s[58:59]
.LBB4_2535:                             ;   in Loop: Header=BB4_2476 Depth=2
	s_or_b64 exec, exec, s[56:57]
.LBB4_2536:                             ;   in Loop: Header=BB4_2476 Depth=2
	s_or_b64 exec, exec, s[20:21]
	v_add_f32_e32 v2, v4, v3
	v_and_b32_sdwa v4, v2, s69 dst_sel:DWORD dst_unused:UNUSED_PAD src0_sel:BYTE_3 src1_sel:DWORD
	v_and_b32_e32 v6, 0x7f800000, v2
	v_mov_b32_e32 v7, v53
	v_and_b32_e32 v52, 0x7fffff, v2
	v_or_b32_e32 v34, 0x7e, v4
	v_cmp_ne_u64_e64 s[18:19], s[38:39], v[6:7]
	s_and_saveexec_b64 s[20:21], s[18:19]
	s_xor_b64 s[56:57], exec, s[20:21]
	s_cbranch_execz .LBB4_2546
; %bb.2537:                             ;   in Loop: Header=BB4_2476 Depth=2
	v_and_b32_e32 v6, 0x7fffffff, v2
	v_mov_b32_e32 v7, v53
	v_cmp_gt_u64_e64 s[18:19], s[40:41], v[6:7]
	s_and_saveexec_b64 s[58:59], s[18:19]
	s_cbranch_execz .LBB4_2545
; %bb.2538:                             ;   in Loop: Header=BB4_2476 Depth=2
	v_cmp_ne_u32_e64 s[18:19], 0, v2
	v_mov_b32_e32 v34, 0
	s_and_saveexec_b64 s[60:61], s[18:19]
	s_cbranch_execz .LBB4_2544
; %bb.2539:                             ;   in Loop: Header=BB4_2476 Depth=2
	v_bfe_u32 v2, v2, 23, 8
	v_sub_u32_e32 v5, 0x79, v2
	v_cmp_gt_u32_e64 s[18:19], s72, v2
	v_add_u32_e32 v3, 0xffffff81, v2
	v_cndmask_b32_e64 v5, 0, v5, s[18:19]
	v_cmp_eq_u32_e64 s[18:19], 0, v2
	v_mov_b32_e32 v2, 0xffffff82
	v_cndmask_b32_e64 v24, v3, v2, s[18:19]
	v_mov_b32_e32 v2, 0x78
	v_or_b32_e32 v6, 0x800000, v52
	v_cndmask_b32_e64 v5, v5, v2, s[18:19]
	v_cndmask_b32_e64 v52, v6, v52, s[18:19]
	v_add_u32_e32 v2, 20, v5
	v_lshlrev_b64 v[2:3], v2, -1
	v_lshrrev_b64 v[8:9], v5, v[52:53]
	v_not_b32_e32 v3, v3
	v_not_b32_e32 v2, v2
	v_add_u32_e32 v6, 19, v5
	v_lshrrev_b32_e32 v28, 23, v8
	v_and_b32_e32 v3, 0, v3
	v_and_b32_e32 v2, v52, v2
	v_lshlrev_b64 v[6:7], v6, 1
	v_add3_u32 v28, v5, v24, v28
	v_bfe_u32 v5, v8, 20, 1
	v_add_u32_e32 v5, -1, v5
	v_cmp_eq_u64_e64 s[18:19], v[2:3], v[6:7]
	v_cndmask_b32_e64 v2, 0, v5, s[18:19]
	v_add_u32_e32 v2, v2, v8
	v_and_b32_e32 v2, 0xfffff, v2
	v_add_co_u32_e64 v2, s[18:19], v2, v8
	v_add_u32_e32 v24, 6, v28
	v_addc_co_u32_e64 v3, s[18:19], 0, v9, s[18:19]
	v_cmp_ne_u32_e64 s[18:19], 0, v24
                                        ; implicit-def: $vgpr5
	s_and_saveexec_b64 s[20:21], s[18:19]
	s_xor_b64 s[20:21], exec, s[20:21]
; %bb.2540:                             ;   in Loop: Header=BB4_2476 Depth=2
	v_cmp_lt_u64_e64 s[18:19], s[44:45], v[2:3]
	v_add_u32_e32 v5, 7, v28
	v_cndmask_b32_e64 v6, 0, 1, s[18:19]
	v_cndmask_b32_e64 v5, v24, v5, s[18:19]
	v_lshrrev_b64 v[2:3], v6, v[2:3]
; %bb.2541:                             ;   in Loop: Header=BB4_2476 Depth=2
	s_andn2_saveexec_b64 s[18:19], s[20:21]
; %bb.2542:                             ;   in Loop: Header=BB4_2476 Depth=2
	v_bfe_u32 v5, v2, 23, 1
; %bb.2543:                             ;   in Loop: Header=BB4_2476 Depth=2
	s_or_b64 exec, exec, s[18:19]
	v_lshrrev_b64 v[2:3], 20, v[2:3]
	v_cmp_gt_i32_e64 s[18:19], 16, v5
	v_cndmask_b32_e64 v3, 0, v3, s[18:19]
	v_cndmask_b32_e64 v2, 7, v2, s[18:19]
	v_cmp_eq_u64_e64 s[20:21], 0, v[2:3]
	v_min_i32_e32 v3, 15, v5
	v_cmp_eq_u32_e64 s[18:19], 0, v5
	v_lshlrev_b32_e32 v3, 3, v3
	v_and_or_b32 v2, v2, 7, v3
	s_and_b64 s[18:19], s[18:19], s[20:21]
	v_cndmask_b32_e64 v2, v2, 0, s[18:19]
	v_or_b32_e32 v34, v2, v4
.LBB4_2544:                             ;   in Loop: Header=BB4_2476 Depth=2
	s_or_b64 exec, exec, s[60:61]
.LBB4_2545:                             ;   in Loop: Header=BB4_2476 Depth=2
	s_or_b64 exec, exec, s[58:59]
                                        ; implicit-def: $vgpr2
.LBB4_2546:                             ;   in Loop: Header=BB4_2476 Depth=2
	s_andn2_saveexec_b64 s[20:21], s[56:57]
; %bb.2547:                             ;   in Loop: Header=BB4_2476 Depth=2
	v_or_b32_sdwa v2, v2, s71 dst_sel:DWORD dst_unused:UNUSED_PAD src0_sel:BYTE_3 src1_sel:DWORD
	v_cmp_eq_u64_e64 s[18:19], 0, v[52:53]
	v_cndmask_b32_e64 v34, v2, v34, s[18:19]
; %bb.2548:                             ;   in Loop: Header=BB4_2476 Depth=2
	s_or_b64 exec, exec, s[20:21]
	v_cmp_lt_u32_e64 s[18:19], s43, v14
	v_mov_b32_e32 v3, 0
	v_mov_b32_e32 v4, 0
	s_and_saveexec_b64 s[20:21], s[18:19]
	s_cbranch_execz .LBB4_2554
; %bb.2549:                             ;   in Loop: Header=BB4_2476 Depth=2
	v_lshrrev_b32_e32 v2, 24, v14
	v_cmp_ne_u32_e64 s[18:19], s69, v2
	v_bfrev_b32_e32 v4, 1
	s_and_saveexec_b64 s[56:57], s[18:19]
	s_cbranch_execz .LBB4_2553
; %bb.2550:                             ;   in Loop: Header=BB4_2476 Depth=2
	v_bfe_u32 v5, v14, 24, 7
	v_cmp_ne_u32_e64 s[18:19], s71, v5
	v_mov_b32_e32 v4, 0x7f800001
	s_and_saveexec_b64 s[58:59], s[18:19]
	s_cbranch_execz .LBB4_2552
; %bb.2551:                             ;   in Loop: Header=BB4_2476 Depth=2
	v_and_b32_e32 v4, 7, v2
	v_ffbh_u32_e32 v6, v4
	v_min_u32_e32 v9, 32, v6
	v_subrev_u32_e32 v6, 28, v9
	v_lshlrev_b64 v[6:7], v6, v[2:3]
	v_lshrrev_b32_e32 v8, 3, v5
	v_sub_u32_e32 v7, 29, v9
	v_and_b32_e32 v6, 7, v6
	v_cmp_gt_u32_e64 s[18:19], 8, v5
	v_cndmask_b32_e64 v5, v8, v7, s[18:19]
	v_cndmask_b32_e64 v4, v4, v6, s[18:19]
	v_lshlrev_b32_e32 v2, 24, v2
	v_lshlrev_b32_e32 v4, 20, v4
	v_and_b32_e32 v2, 0x80000000, v2
	v_lshl_add_u32 v5, v5, 23, v27
	v_or3_b32 v4, v2, v5, v4
.LBB4_2552:                             ;   in Loop: Header=BB4_2476 Depth=2
	s_or_b64 exec, exec, s[58:59]
.LBB4_2553:                             ;   in Loop: Header=BB4_2476 Depth=2
	s_or_b64 exec, exec, s[56:57]
.LBB4_2554:                             ;   in Loop: Header=BB4_2476 Depth=2
	s_or_b64 exec, exec, s[20:21]
	v_cmp_lt_u32_e64 s[18:19], s43, v10
	s_and_saveexec_b64 s[20:21], s[18:19]
	s_cbranch_execz .LBB4_2560
; %bb.2555:                             ;   in Loop: Header=BB4_2476 Depth=2
	v_lshrrev_b32_e32 v2, 24, v10
	v_cmp_ne_u32_e64 s[18:19], s69, v2
	v_bfrev_b32_e32 v3, 1
	s_and_saveexec_b64 s[56:57], s[18:19]
	s_cbranch_execz .LBB4_2559
; %bb.2556:                             ;   in Loop: Header=BB4_2476 Depth=2
	v_bfe_u32 v5, v10, 24, 7
	v_cmp_ne_u32_e64 s[18:19], s71, v5
	v_mov_b32_e32 v3, 0x7f800001
	s_and_saveexec_b64 s[58:59], s[18:19]
	s_cbranch_execz .LBB4_2558
; %bb.2557:                             ;   in Loop: Header=BB4_2476 Depth=2
	v_and_b32_e32 v3, 7, v2
	v_ffbh_u32_e32 v6, v3
	v_min_u32_e32 v9, 32, v6
	v_subrev_u32_e32 v6, 28, v9
	v_lshlrev_b64 v[6:7], v6, v[2:3]
	v_lshrrev_b32_e32 v8, 3, v5
	v_sub_u32_e32 v7, 29, v9
	v_and_b32_e32 v6, 7, v6
	v_cmp_gt_u32_e64 s[18:19], 8, v5
	v_cndmask_b32_e64 v5, v8, v7, s[18:19]
	v_cndmask_b32_e64 v3, v3, v6, s[18:19]
	v_lshlrev_b32_e32 v2, 24, v2
	v_lshlrev_b32_e32 v3, 20, v3
	v_and_b32_e32 v2, 0x80000000, v2
	v_lshl_add_u32 v5, v5, 23, v27
	v_or3_b32 v3, v2, v5, v3
.LBB4_2558:                             ;   in Loop: Header=BB4_2476 Depth=2
	s_or_b64 exec, exec, s[58:59]
.LBB4_2559:                             ;   in Loop: Header=BB4_2476 Depth=2
	s_or_b64 exec, exec, s[56:57]
.LBB4_2560:                             ;   in Loop: Header=BB4_2476 Depth=2
	s_or_b64 exec, exec, s[20:21]
	v_add_f32_e32 v2, v4, v3
	v_and_b32_sdwa v4, v2, s69 dst_sel:DWORD dst_unused:UNUSED_PAD src0_sel:BYTE_3 src1_sel:DWORD
	v_and_b32_e32 v6, 0x7f800000, v2
	v_mov_b32_e32 v7, v53
	v_and_b32_e32 v52, 0x7fffff, v2
	v_or_b32_e32 v28, 0x7e, v4
	v_cmp_ne_u64_e64 s[18:19], s[38:39], v[6:7]
	s_and_saveexec_b64 s[20:21], s[18:19]
	s_xor_b64 s[56:57], exec, s[20:21]
	s_cbranch_execz .LBB4_2570
; %bb.2561:                             ;   in Loop: Header=BB4_2476 Depth=2
	v_and_b32_e32 v6, 0x7fffffff, v2
	v_mov_b32_e32 v7, v53
	v_cmp_gt_u64_e64 s[18:19], s[40:41], v[6:7]
	s_and_saveexec_b64 s[58:59], s[18:19]
	s_cbranch_execz .LBB4_2569
; %bb.2562:                             ;   in Loop: Header=BB4_2476 Depth=2
	v_cmp_ne_u32_e64 s[18:19], 0, v2
	v_mov_b32_e32 v28, 0
	s_and_saveexec_b64 s[60:61], s[18:19]
	s_cbranch_execz .LBB4_2568
; %bb.2563:                             ;   in Loop: Header=BB4_2476 Depth=2
	v_bfe_u32 v2, v2, 23, 8
	v_sub_u32_e32 v5, 0x79, v2
	v_cmp_gt_u32_e64 s[18:19], s72, v2
	v_add_u32_e32 v3, 0xffffff81, v2
	v_cndmask_b32_e64 v5, 0, v5, s[18:19]
	v_cmp_eq_u32_e64 s[18:19], 0, v2
	v_mov_b32_e32 v2, 0xffffff82
	v_cndmask_b32_e64 v24, v3, v2, s[18:19]
	v_mov_b32_e32 v2, 0x78
	v_or_b32_e32 v6, 0x800000, v52
	v_cndmask_b32_e64 v5, v5, v2, s[18:19]
	v_cndmask_b32_e64 v52, v6, v52, s[18:19]
	v_add_u32_e32 v2, 20, v5
	v_lshlrev_b64 v[2:3], v2, -1
	v_lshrrev_b64 v[8:9], v5, v[52:53]
	v_not_b32_e32 v3, v3
	v_not_b32_e32 v2, v2
	v_add_u32_e32 v6, 19, v5
	v_lshrrev_b32_e32 v28, 23, v8
	v_and_b32_e32 v3, 0, v3
	v_and_b32_e32 v2, v52, v2
	v_lshlrev_b64 v[6:7], v6, 1
	v_add3_u32 v28, v5, v24, v28
	v_bfe_u32 v5, v8, 20, 1
	v_add_u32_e32 v5, -1, v5
	v_cmp_eq_u64_e64 s[18:19], v[2:3], v[6:7]
	v_cndmask_b32_e64 v2, 0, v5, s[18:19]
	v_add_u32_e32 v2, v2, v8
	v_and_b32_e32 v2, 0xfffff, v2
	v_add_co_u32_e64 v2, s[18:19], v2, v8
	v_add_u32_e32 v24, 6, v28
	v_addc_co_u32_e64 v3, s[18:19], 0, v9, s[18:19]
	v_cmp_ne_u32_e64 s[18:19], 0, v24
                                        ; implicit-def: $vgpr5
	s_and_saveexec_b64 s[20:21], s[18:19]
	s_xor_b64 s[20:21], exec, s[20:21]
; %bb.2564:                             ;   in Loop: Header=BB4_2476 Depth=2
	v_cmp_lt_u64_e64 s[18:19], s[44:45], v[2:3]
	v_add_u32_e32 v5, 7, v28
	v_cndmask_b32_e64 v6, 0, 1, s[18:19]
	v_cndmask_b32_e64 v5, v24, v5, s[18:19]
	v_lshrrev_b64 v[2:3], v6, v[2:3]
; %bb.2565:                             ;   in Loop: Header=BB4_2476 Depth=2
	s_andn2_saveexec_b64 s[18:19], s[20:21]
; %bb.2566:                             ;   in Loop: Header=BB4_2476 Depth=2
	v_bfe_u32 v5, v2, 23, 1
; %bb.2567:                             ;   in Loop: Header=BB4_2476 Depth=2
	s_or_b64 exec, exec, s[18:19]
	v_lshrrev_b64 v[2:3], 20, v[2:3]
	v_cmp_gt_i32_e64 s[18:19], 16, v5
	v_cndmask_b32_e64 v3, 0, v3, s[18:19]
	v_cndmask_b32_e64 v2, 7, v2, s[18:19]
	v_cmp_eq_u64_e64 s[20:21], 0, v[2:3]
	v_min_i32_e32 v3, 15, v5
	v_cmp_eq_u32_e64 s[18:19], 0, v5
	v_lshlrev_b32_e32 v3, 3, v3
	v_and_or_b32 v2, v2, 7, v3
	s_and_b64 s[18:19], s[18:19], s[20:21]
	v_cndmask_b32_e64 v2, v2, 0, s[18:19]
	v_or_b32_e32 v28, v2, v4
.LBB4_2568:                             ;   in Loop: Header=BB4_2476 Depth=2
	s_or_b64 exec, exec, s[60:61]
.LBB4_2569:                             ;   in Loop: Header=BB4_2476 Depth=2
	s_or_b64 exec, exec, s[58:59]
                                        ; implicit-def: $vgpr2
.LBB4_2570:                             ;   in Loop: Header=BB4_2476 Depth=2
	s_andn2_saveexec_b64 s[20:21], s[56:57]
; %bb.2571:                             ;   in Loop: Header=BB4_2476 Depth=2
	v_or_b32_sdwa v2, v2, s71 dst_sel:DWORD dst_unused:UNUSED_PAD src0_sel:BYTE_3 src1_sel:DWORD
	v_cmp_eq_u64_e64 s[18:19], 0, v[52:53]
	v_cndmask_b32_e64 v28, v2, v28, s[18:19]
; %bb.2572:                             ;   in Loop: Header=BB4_2476 Depth=2
	s_or_b64 exec, exec, s[20:21]
	v_mov_b32_e32 v52, v15
	v_cmp_ne_u16_sdwa s[18:19], v15, v53 src0_sel:BYTE_0 src1_sel:DWORD
	v_mov_b32_e32 v3, 0
	v_mov_b32_e32 v2, 0
	s_and_saveexec_b64 s[20:21], s[18:19]
	s_cbranch_execz .LBB4_2578
; %bb.2573:                             ;   in Loop: Header=BB4_2476 Depth=2
	v_cmp_ne_u16_sdwa s[18:19], v15, s69 src0_sel:BYTE_0 src1_sel:DWORD
	v_bfrev_b32_e32 v2, 1
	s_and_saveexec_b64 s[56:57], s[18:19]
	s_cbranch_execz .LBB4_2577
; %bb.2574:                             ;   in Loop: Header=BB4_2476 Depth=2
	v_and_b32_e32 v4, 0x7f, v15
	v_cmp_ne_u32_e64 s[18:19], s71, v4
	v_mov_b32_e32 v2, 0x7f800001
	s_and_saveexec_b64 s[58:59], s[18:19]
	s_cbranch_execz .LBB4_2576
; %bb.2575:                             ;   in Loop: Header=BB4_2476 Depth=2
	v_and_b32_e32 v2, 7, v15
	v_ffbh_u32_e32 v2, v2
	v_min_u32_e32 v2, 32, v2
	v_subrev_u32_e32 v6, 28, v2
	v_cmp_gt_u32_e64 s[18:19], 8, v4
	v_lshrrev_b32_e32 v5, 3, v4
	v_sub_u32_e32 v2, 29, v2
	v_cndmask_b32_e64 v4, 0, v6, s[18:19]
	v_cndmask_b32_e64 v2, v5, v2, s[18:19]
	v_lshlrev_b64 v[4:5], v4, v[52:53]
	v_lshlrev_b32_e32 v4, 20, v4
	v_lshlrev_b32_e32 v5, 24, v52
	v_and_b32_e32 v4, 0x700000, v4
	v_and_b32_e32 v5, 0x80000000, v5
	v_lshl_add_u32 v2, v2, 23, v27
	v_or3_b32 v2, v5, v2, v4
.LBB4_2576:                             ;   in Loop: Header=BB4_2476 Depth=2
	s_or_b64 exec, exec, s[58:59]
.LBB4_2577:                             ;   in Loop: Header=BB4_2476 Depth=2
	s_or_b64 exec, exec, s[56:57]
.LBB4_2578:                             ;   in Loop: Header=BB4_2476 Depth=2
	s_or_b64 exec, exec, s[20:21]
	v_cmp_ne_u16_sdwa s[18:19], v11, v53 src0_sel:BYTE_0 src1_sel:DWORD
	s_and_saveexec_b64 s[20:21], s[18:19]
	s_cbranch_execz .LBB4_2584
; %bb.2579:                             ;   in Loop: Header=BB4_2476 Depth=2
	v_cmp_ne_u16_sdwa s[18:19], v11, s69 src0_sel:BYTE_0 src1_sel:DWORD
	v_bfrev_b32_e32 v3, 1
	s_and_saveexec_b64 s[56:57], s[18:19]
	s_cbranch_execz .LBB4_2583
; %bb.2580:                             ;   in Loop: Header=BB4_2476 Depth=2
	v_and_b32_e32 v4, 0x7f, v11
	v_cmp_ne_u32_e64 s[18:19], s71, v4
	v_mov_b32_e32 v3, 0x7f800001
	s_and_saveexec_b64 s[58:59], s[18:19]
	s_cbranch_execz .LBB4_2582
; %bb.2581:                             ;   in Loop: Header=BB4_2476 Depth=2
	v_and_b32_e32 v3, 7, v11
	v_ffbh_u32_e32 v3, v3
	v_min_u32_e32 v3, 32, v3
	v_subrev_u32_e32 v8, 28, v3
	v_cmp_gt_u32_e64 s[18:19], 8, v4
	v_mov_b32_e32 v6, v11
	v_mov_b32_e32 v7, v53
	v_lshrrev_b32_e32 v5, 3, v4
	v_sub_u32_e32 v3, 29, v3
	v_cndmask_b32_e64 v4, 0, v8, s[18:19]
	v_cndmask_b32_e64 v3, v5, v3, s[18:19]
	v_lshlrev_b64 v[4:5], v4, v[6:7]
	v_lshlrev_b32_e32 v4, 20, v4
	v_lshlrev_b32_e32 v5, 24, v6
	v_and_b32_e32 v4, 0x700000, v4
	v_and_b32_e32 v5, 0x80000000, v5
	v_lshl_add_u32 v3, v3, 23, v27
	v_or3_b32 v3, v5, v3, v4
.LBB4_2582:                             ;   in Loop: Header=BB4_2476 Depth=2
	s_or_b64 exec, exec, s[58:59]
.LBB4_2583:                             ;   in Loop: Header=BB4_2476 Depth=2
	s_or_b64 exec, exec, s[56:57]
.LBB4_2584:                             ;   in Loop: Header=BB4_2476 Depth=2
	s_or_b64 exec, exec, s[20:21]
	v_add_f32_e32 v5, v2, v3
	v_and_b32_sdwa v4, v5, s69 dst_sel:DWORD dst_unused:UNUSED_PAD src0_sel:BYTE_3 src1_sel:DWORD
	v_and_b32_e32 v6, 0x7f800000, v5
	v_mov_b32_e32 v7, v53
	v_and_b32_e32 v2, 0x7fffff, v5
	v_mov_b32_e32 v3, v53
	v_or_b32_e32 v29, 0x7e, v4
	v_cmp_ne_u64_e64 s[18:19], s[38:39], v[6:7]
	s_and_saveexec_b64 s[20:21], s[18:19]
	s_xor_b64 s[56:57], exec, s[20:21]
	s_cbranch_execz .LBB4_2594
; %bb.2585:                             ;   in Loop: Header=BB4_2476 Depth=2
	v_and_b32_e32 v6, 0x7fffffff, v5
	v_mov_b32_e32 v7, v53
	v_cmp_gt_u64_e64 s[18:19], s[40:41], v[6:7]
	s_and_saveexec_b64 s[58:59], s[18:19]
	s_cbranch_execz .LBB4_2593
; %bb.2586:                             ;   in Loop: Header=BB4_2476 Depth=2
	v_cmp_ne_u32_e64 s[18:19], 0, v5
	v_mov_b32_e32 v29, 0
	s_and_saveexec_b64 s[60:61], s[18:19]
	s_cbranch_execz .LBB4_2592
; %bb.2587:                             ;   in Loop: Header=BB4_2476 Depth=2
	v_bfe_u32 v5, v5, 23, 8
	v_sub_u32_e32 v7, 0x79, v5
	v_cmp_gt_u32_e64 s[18:19], s72, v5
	v_add_u32_e32 v6, 0xffffff81, v5
	v_cndmask_b32_e64 v7, 0, v7, s[18:19]
	v_cmp_eq_u32_e64 s[18:19], 0, v5
	v_mov_b32_e32 v5, 0xffffff82
	v_cndmask_b32_e64 v5, v6, v5, s[18:19]
	v_mov_b32_e32 v6, 0x78
	v_cndmask_b32_e64 v24, v7, v6, s[18:19]
	v_add_u32_e32 v6, 20, v24
	v_or_b32_e32 v8, 0x800000, v2
	v_lshlrev_b64 v[6:7], v6, -1
	v_cndmask_b32_e64 v2, v8, v2, s[18:19]
	v_not_b32_e32 v6, v6
	v_and_b32_e32 v6, v2, v6
	v_lshrrev_b64 v[2:3], v24, v[2:3]
	v_not_b32_e32 v7, v7
	v_add_u32_e32 v8, 19, v24
	v_lshrrev_b32_e32 v29, 23, v2
	v_and_b32_e32 v7, 0, v7
	v_lshlrev_b64 v[8:9], v8, 1
	v_add3_u32 v29, v24, v5, v29
	v_bfe_u32 v5, v2, 20, 1
	v_add_u32_e32 v5, -1, v5
	v_cmp_eq_u64_e64 s[18:19], v[6:7], v[8:9]
	v_cndmask_b32_e64 v5, 0, v5, s[18:19]
	v_add_u32_e32 v5, v5, v2
	v_and_b32_e32 v5, 0xfffff, v5
	v_add_co_u32_e64 v2, s[18:19], v5, v2
	v_add_u32_e32 v24, 6, v29
	v_addc_co_u32_e64 v3, s[18:19], 0, v3, s[18:19]
	v_cmp_ne_u32_e64 s[18:19], 0, v24
                                        ; implicit-def: $vgpr5
	s_and_saveexec_b64 s[20:21], s[18:19]
	s_xor_b64 s[20:21], exec, s[20:21]
; %bb.2588:                             ;   in Loop: Header=BB4_2476 Depth=2
	v_cmp_lt_u64_e64 s[18:19], s[44:45], v[2:3]
	v_add_u32_e32 v5, 7, v29
	v_cndmask_b32_e64 v6, 0, 1, s[18:19]
	v_cndmask_b32_e64 v5, v24, v5, s[18:19]
	v_lshrrev_b64 v[2:3], v6, v[2:3]
; %bb.2589:                             ;   in Loop: Header=BB4_2476 Depth=2
	s_andn2_saveexec_b64 s[18:19], s[20:21]
; %bb.2590:                             ;   in Loop: Header=BB4_2476 Depth=2
	v_bfe_u32 v5, v2, 23, 1
; %bb.2591:                             ;   in Loop: Header=BB4_2476 Depth=2
	s_or_b64 exec, exec, s[18:19]
	v_lshrrev_b64 v[2:3], 20, v[2:3]
	v_cmp_gt_i32_e64 s[18:19], 16, v5
	v_cndmask_b32_e64 v3, 0, v3, s[18:19]
	v_cndmask_b32_e64 v2, 7, v2, s[18:19]
	v_cmp_eq_u64_e64 s[20:21], 0, v[2:3]
	v_min_i32_e32 v3, 15, v5
	v_cmp_eq_u32_e64 s[18:19], 0, v5
	v_lshlrev_b32_e32 v3, 3, v3
	v_and_or_b32 v2, v2, 7, v3
	s_and_b64 s[18:19], s[18:19], s[20:21]
	v_cndmask_b32_e64 v2, v2, 0, s[18:19]
	v_or_b32_e32 v29, v2, v4
.LBB4_2592:                             ;   in Loop: Header=BB4_2476 Depth=2
	s_or_b64 exec, exec, s[60:61]
.LBB4_2593:                             ;   in Loop: Header=BB4_2476 Depth=2
	s_or_b64 exec, exec, s[58:59]
                                        ; implicit-def: $vgpr5
                                        ; implicit-def: $vgpr2_vgpr3
.LBB4_2594:                             ;   in Loop: Header=BB4_2476 Depth=2
	s_andn2_saveexec_b64 s[20:21], s[56:57]
; %bb.2595:                             ;   in Loop: Header=BB4_2476 Depth=2
	v_or_b32_sdwa v4, v5, s71 dst_sel:DWORD dst_unused:UNUSED_PAD src0_sel:BYTE_3 src1_sel:DWORD
	v_cmp_eq_u64_e64 s[18:19], 0, v[2:3]
	v_cndmask_b32_e64 v29, v4, v29, s[18:19]
; %bb.2596:                             ;   in Loop: Header=BB4_2476 Depth=2
	s_or_b64 exec, exec, s[20:21]
	v_lshrrev_b16_e32 v2, 8, v52
	v_cmp_ne_u16_e64 s[18:19], 0, v2
	v_mov_b32_e32 v3, 0
	v_mov_b32_e32 v4, 0
	s_and_saveexec_b64 s[20:21], s[18:19]
	s_cbranch_execz .LBB4_2602
; %bb.2597:                             ;   in Loop: Header=BB4_2476 Depth=2
	v_cmp_ne_u16_e64 s[18:19], s69, v2
	v_bfrev_b32_e32 v4, 1
	s_and_saveexec_b64 s[56:57], s[18:19]
	s_cbranch_execz .LBB4_2601
; %bb.2598:                             ;   in Loop: Header=BB4_2476 Depth=2
	v_and_b32_e32 v5, 0x7f, v2
	v_cmp_ne_u32_e64 s[18:19], s71, v5
	v_mov_b32_e32 v4, 0x7f800001
	s_and_saveexec_b64 s[58:59], s[18:19]
	s_cbranch_execz .LBB4_2600
; %bb.2599:                             ;   in Loop: Header=BB4_2476 Depth=2
	v_and_b32_e32 v4, 7, v2
	v_ffbh_u32_e32 v6, v4
	v_min_u32_e32 v9, 32, v6
	v_subrev_u32_e32 v6, 28, v9
	v_lshlrev_b64 v[6:7], v6, v[2:3]
	v_lshrrev_b32_e32 v8, 3, v5
	v_sub_u32_e32 v2, 29, v9
	v_and_b32_e32 v6, 7, v6
	v_cmp_gt_u32_e64 s[18:19], 8, v5
	v_cndmask_b32_e64 v2, v8, v2, s[18:19]
	v_cndmask_b32_e64 v4, v4, v6, s[18:19]
	v_lshlrev_b32_e32 v5, 16, v52
	v_lshlrev_b32_e32 v4, 20, v4
	v_and_b32_e32 v5, 0x80000000, v5
	v_lshl_add_u32 v2, v2, 23, v27
	v_or3_b32 v4, v5, v2, v4
.LBB4_2600:                             ;   in Loop: Header=BB4_2476 Depth=2
	s_or_b64 exec, exec, s[58:59]
.LBB4_2601:                             ;   in Loop: Header=BB4_2476 Depth=2
	s_or_b64 exec, exec, s[56:57]
.LBB4_2602:                             ;   in Loop: Header=BB4_2476 Depth=2
	s_or_b64 exec, exec, s[20:21]
	v_mov_b32_e32 v2, v11
	v_lshrrev_b16_e32 v24, 8, v2
	v_cmp_ne_u16_e64 s[18:19], 0, v24
	s_and_saveexec_b64 s[20:21], s[18:19]
	s_cbranch_execz .LBB4_2608
; %bb.2603:                             ;   in Loop: Header=BB4_2476 Depth=2
	v_cmp_ne_u16_e64 s[18:19], s69, v24
	v_bfrev_b32_e32 v3, 1
	s_and_saveexec_b64 s[56:57], s[18:19]
	s_cbranch_execz .LBB4_2607
; %bb.2604:                             ;   in Loop: Header=BB4_2476 Depth=2
	v_and_b32_e32 v5, 0x7f, v24
	v_cmp_ne_u32_e64 s[18:19], s71, v5
	v_mov_b32_e32 v3, 0x7f800001
	s_and_saveexec_b64 s[58:59], s[18:19]
	s_cbranch_execz .LBB4_2606
; %bb.2605:                             ;   in Loop: Header=BB4_2476 Depth=2
	v_and_b32_e32 v3, 7, v24
	v_ffbh_u32_e32 v6, v3
	v_min_u32_e32 v9, 32, v6
	v_subrev_u32_e32 v6, 28, v9
	v_lshlrev_b64 v[6:7], v6, v[24:25]
	v_lshrrev_b32_e32 v8, 3, v5
	v_sub_u32_e32 v7, 29, v9
	v_and_b32_e32 v6, 7, v6
	v_cmp_gt_u32_e64 s[18:19], 8, v5
	v_cndmask_b32_e64 v5, v8, v7, s[18:19]
	v_cndmask_b32_e64 v3, v3, v6, s[18:19]
	v_lshlrev_b32_e32 v2, 16, v2
	v_lshlrev_b32_e32 v3, 20, v3
	v_and_b32_e32 v2, 0x80000000, v2
	v_lshl_add_u32 v5, v5, 23, v27
	v_or3_b32 v3, v2, v5, v3
.LBB4_2606:                             ;   in Loop: Header=BB4_2476 Depth=2
	s_or_b64 exec, exec, s[58:59]
.LBB4_2607:                             ;   in Loop: Header=BB4_2476 Depth=2
	s_or_b64 exec, exec, s[56:57]
.LBB4_2608:                             ;   in Loop: Header=BB4_2476 Depth=2
	s_or_b64 exec, exec, s[20:21]
	v_add_f32_e32 v2, v4, v3
	v_and_b32_sdwa v4, v2, s69 dst_sel:DWORD dst_unused:UNUSED_PAD src0_sel:BYTE_3 src1_sel:DWORD
	v_and_b32_e32 v6, 0x7f800000, v2
	v_mov_b32_e32 v7, v53
	v_and_b32_e32 v52, 0x7fffff, v2
	v_or_b32_e32 v24, 0x7e, v4
	v_cmp_ne_u64_e64 s[18:19], s[38:39], v[6:7]
	s_and_saveexec_b64 s[20:21], s[18:19]
	s_xor_b64 s[56:57], exec, s[20:21]
	s_cbranch_execz .LBB4_2618
; %bb.2609:                             ;   in Loop: Header=BB4_2476 Depth=2
	v_and_b32_e32 v6, 0x7fffffff, v2
	v_mov_b32_e32 v7, v53
	v_cmp_gt_u64_e64 s[18:19], s[40:41], v[6:7]
	s_and_saveexec_b64 s[58:59], s[18:19]
	s_cbranch_execz .LBB4_2617
; %bb.2610:                             ;   in Loop: Header=BB4_2476 Depth=2
	v_cmp_ne_u32_e64 s[18:19], 0, v2
	v_mov_b32_e32 v24, 0
	s_and_saveexec_b64 s[60:61], s[18:19]
	s_cbranch_execz .LBB4_2616
; %bb.2611:                             ;   in Loop: Header=BB4_2476 Depth=2
	v_bfe_u32 v2, v2, 23, 8
	v_sub_u32_e32 v5, 0x79, v2
	v_cmp_gt_u32_e64 s[18:19], s72, v2
	v_add_u32_e32 v3, 0xffffff81, v2
	v_cndmask_b32_e64 v5, 0, v5, s[18:19]
	v_cmp_eq_u32_e64 s[18:19], 0, v2
	v_mov_b32_e32 v2, 0xffffff82
	v_cndmask_b32_e64 v24, v3, v2, s[18:19]
	v_mov_b32_e32 v2, 0x78
	v_or_b32_e32 v6, 0x800000, v52
	v_cndmask_b32_e64 v5, v5, v2, s[18:19]
	v_cndmask_b32_e64 v52, v6, v52, s[18:19]
	v_add_u32_e32 v2, 20, v5
	v_lshlrev_b64 v[2:3], v2, -1
	v_lshrrev_b64 v[8:9], v5, v[52:53]
	v_not_b32_e32 v3, v3
	v_not_b32_e32 v2, v2
	v_add_u32_e32 v6, 19, v5
	v_lshrrev_b32_e32 v35, 23, v8
	v_and_b32_e32 v3, 0, v3
	v_and_b32_e32 v2, v52, v2
	v_lshlrev_b64 v[6:7], v6, 1
	v_add3_u32 v35, v5, v24, v35
	v_bfe_u32 v5, v8, 20, 1
	v_add_u32_e32 v5, -1, v5
	v_cmp_eq_u64_e64 s[18:19], v[2:3], v[6:7]
	v_cndmask_b32_e64 v2, 0, v5, s[18:19]
	v_add_u32_e32 v2, v2, v8
	v_and_b32_e32 v2, 0xfffff, v2
	v_add_co_u32_e64 v2, s[18:19], v2, v8
	v_add_u32_e32 v24, 6, v35
	v_addc_co_u32_e64 v3, s[18:19], 0, v9, s[18:19]
	v_cmp_ne_u32_e64 s[18:19], 0, v24
                                        ; implicit-def: $vgpr5
	s_and_saveexec_b64 s[20:21], s[18:19]
	s_xor_b64 s[20:21], exec, s[20:21]
; %bb.2612:                             ;   in Loop: Header=BB4_2476 Depth=2
	v_cmp_lt_u64_e64 s[18:19], s[44:45], v[2:3]
	v_add_u32_e32 v5, 7, v35
	v_cndmask_b32_e64 v6, 0, 1, s[18:19]
	v_cndmask_b32_e64 v5, v24, v5, s[18:19]
	v_lshrrev_b64 v[2:3], v6, v[2:3]
; %bb.2613:                             ;   in Loop: Header=BB4_2476 Depth=2
	s_andn2_saveexec_b64 s[18:19], s[20:21]
; %bb.2614:                             ;   in Loop: Header=BB4_2476 Depth=2
	v_bfe_u32 v5, v2, 23, 1
; %bb.2615:                             ;   in Loop: Header=BB4_2476 Depth=2
	s_or_b64 exec, exec, s[18:19]
	v_lshrrev_b64 v[2:3], 20, v[2:3]
	v_cmp_gt_i32_e64 s[18:19], 16, v5
	v_cndmask_b32_e64 v3, 0, v3, s[18:19]
	v_cndmask_b32_e64 v2, 7, v2, s[18:19]
	v_cmp_eq_u64_e64 s[20:21], 0, v[2:3]
	v_min_i32_e32 v3, 15, v5
	v_cmp_eq_u32_e64 s[18:19], 0, v5
	v_lshlrev_b32_e32 v3, 3, v3
	v_and_or_b32 v2, v2, 7, v3
	s_and_b64 s[18:19], s[18:19], s[20:21]
	v_cndmask_b32_e64 v2, v2, 0, s[18:19]
	v_or_b32_e32 v24, v2, v4
.LBB4_2616:                             ;   in Loop: Header=BB4_2476 Depth=2
	s_or_b64 exec, exec, s[60:61]
.LBB4_2617:                             ;   in Loop: Header=BB4_2476 Depth=2
	s_or_b64 exec, exec, s[58:59]
                                        ; implicit-def: $vgpr2
.LBB4_2618:                             ;   in Loop: Header=BB4_2476 Depth=2
	s_andn2_saveexec_b64 s[20:21], s[56:57]
; %bb.2619:                             ;   in Loop: Header=BB4_2476 Depth=2
	v_or_b32_sdwa v2, v2, s71 dst_sel:DWORD dst_unused:UNUSED_PAD src0_sel:BYTE_3 src1_sel:DWORD
	v_cmp_eq_u64_e64 s[18:19], 0, v[52:53]
	v_cndmask_b32_e64 v24, v2, v24, s[18:19]
; %bb.2620:                             ;   in Loop: Header=BB4_2476 Depth=2
	s_or_b64 exec, exec, s[20:21]
	v_lshrrev_b32_e32 v2, 16, v15
	v_cmp_ne_u16_sdwa s[18:19], v2, v53 src0_sel:BYTE_0 src1_sel:DWORD
	v_mov_b32_e32 v3, 0
	v_mov_b32_e32 v4, 0
	s_and_saveexec_b64 s[20:21], s[18:19]
	s_cbranch_execz .LBB4_2626
; %bb.2621:                             ;   in Loop: Header=BB4_2476 Depth=2
	v_cmp_ne_u16_sdwa s[18:19], v2, s69 src0_sel:BYTE_0 src1_sel:DWORD
	v_bfrev_b32_e32 v4, 1
	s_and_saveexec_b64 s[56:57], s[18:19]
	s_cbranch_execz .LBB4_2625
; %bb.2622:                             ;   in Loop: Header=BB4_2476 Depth=2
	v_bfe_u32 v5, v15, 16, 7
	v_cmp_ne_u32_e64 s[18:19], s71, v5
	v_mov_b32_e32 v4, 0x7f800001
	s_and_saveexec_b64 s[58:59], s[18:19]
	s_cbranch_execz .LBB4_2624
; %bb.2623:                             ;   in Loop: Header=BB4_2476 Depth=2
	v_and_b32_e32 v4, 7, v2
	v_ffbh_u32_e32 v6, v4
	v_min_u32_e32 v9, 32, v6
	v_subrev_u32_e32 v6, 28, v9
	v_lshlrev_b64 v[6:7], v6, v[2:3]
	v_lshrrev_b32_e32 v8, 3, v5
	v_sub_u32_e32 v7, 29, v9
	v_and_b32_e32 v6, 7, v6
	v_cmp_gt_u32_e64 s[18:19], 8, v5
	v_cndmask_b32_e64 v5, v8, v7, s[18:19]
	v_cndmask_b32_e64 v4, v4, v6, s[18:19]
	v_lshlrev_b32_e32 v2, 24, v2
	v_lshlrev_b32_e32 v4, 20, v4
	v_and_b32_e32 v2, 0x80000000, v2
	v_lshl_add_u32 v5, v5, 23, v27
	v_or3_b32 v4, v2, v5, v4
.LBB4_2624:                             ;   in Loop: Header=BB4_2476 Depth=2
	s_or_b64 exec, exec, s[58:59]
.LBB4_2625:                             ;   in Loop: Header=BB4_2476 Depth=2
	s_or_b64 exec, exec, s[56:57]
.LBB4_2626:                             ;   in Loop: Header=BB4_2476 Depth=2
	s_or_b64 exec, exec, s[20:21]
	v_lshrrev_b32_e32 v2, 16, v11
	v_cmp_ne_u16_sdwa s[18:19], v2, v53 src0_sel:BYTE_0 src1_sel:DWORD
	s_and_saveexec_b64 s[20:21], s[18:19]
	s_cbranch_execz .LBB4_2632
; %bb.2627:                             ;   in Loop: Header=BB4_2476 Depth=2
	v_cmp_ne_u16_sdwa s[18:19], v2, s69 src0_sel:BYTE_0 src1_sel:DWORD
	v_bfrev_b32_e32 v3, 1
	s_and_saveexec_b64 s[56:57], s[18:19]
	s_cbranch_execz .LBB4_2631
; %bb.2628:                             ;   in Loop: Header=BB4_2476 Depth=2
	v_bfe_u32 v5, v11, 16, 7
	v_cmp_ne_u32_e64 s[18:19], s71, v5
	v_mov_b32_e32 v3, 0x7f800001
	s_and_saveexec_b64 s[58:59], s[18:19]
	s_cbranch_execz .LBB4_2630
; %bb.2629:                             ;   in Loop: Header=BB4_2476 Depth=2
	v_and_b32_e32 v6, 7, v2
	v_ffbh_u32_e32 v3, v6
	v_min_u32_e32 v8, 32, v3
	v_subrev_u32_e32 v3, 28, v8
	v_lshlrev_b64 v[2:3], v3, v[2:3]
	v_lshrrev_b32_e32 v7, 3, v5
	v_sub_u32_e32 v3, 29, v8
	v_and_b32_e32 v2, 7, v2
	v_cmp_gt_u32_e64 s[18:19], 8, v5
	v_cndmask_b32_e64 v3, v7, v3, s[18:19]
	v_cndmask_b32_e64 v2, v6, v2, s[18:19]
	v_lshlrev_b32_e32 v5, 8, v11
	v_lshlrev_b32_e32 v2, 20, v2
	v_and_b32_e32 v5, 0x80000000, v5
	v_lshl_add_u32 v3, v3, 23, v27
	v_or3_b32 v3, v5, v3, v2
.LBB4_2630:                             ;   in Loop: Header=BB4_2476 Depth=2
	s_or_b64 exec, exec, s[58:59]
.LBB4_2631:                             ;   in Loop: Header=BB4_2476 Depth=2
	s_or_b64 exec, exec, s[56:57]
.LBB4_2632:                             ;   in Loop: Header=BB4_2476 Depth=2
	s_or_b64 exec, exec, s[20:21]
	v_add_f32_e32 v2, v4, v3
	v_and_b32_sdwa v4, v2, s69 dst_sel:DWORD dst_unused:UNUSED_PAD src0_sel:BYTE_3 src1_sel:DWORD
	v_and_b32_e32 v6, 0x7f800000, v2
	v_mov_b32_e32 v7, v53
	v_and_b32_e32 v52, 0x7fffff, v2
	v_or_b32_e32 v35, 0x7e, v4
	v_cmp_ne_u64_e64 s[18:19], s[38:39], v[6:7]
	s_and_saveexec_b64 s[20:21], s[18:19]
	s_xor_b64 s[56:57], exec, s[20:21]
	s_cbranch_execz .LBB4_2642
; %bb.2633:                             ;   in Loop: Header=BB4_2476 Depth=2
	v_and_b32_e32 v6, 0x7fffffff, v2
	v_mov_b32_e32 v7, v53
	v_cmp_gt_u64_e64 s[18:19], s[40:41], v[6:7]
	s_and_saveexec_b64 s[58:59], s[18:19]
	s_cbranch_execz .LBB4_2641
; %bb.2634:                             ;   in Loop: Header=BB4_2476 Depth=2
	v_cmp_ne_u32_e64 s[18:19], 0, v2
	v_mov_b32_e32 v35, 0
	s_and_saveexec_b64 s[60:61], s[18:19]
	s_cbranch_execz .LBB4_2640
; %bb.2635:                             ;   in Loop: Header=BB4_2476 Depth=2
	v_bfe_u32 v2, v2, 23, 8
	v_sub_u32_e32 v5, 0x79, v2
	v_cmp_gt_u32_e64 s[18:19], s72, v2
	v_add_u32_e32 v3, 0xffffff81, v2
	v_cndmask_b32_e64 v5, 0, v5, s[18:19]
	v_cmp_eq_u32_e64 s[18:19], 0, v2
	v_mov_b32_e32 v2, 0xffffff82
	v_cndmask_b32_e64 v35, v3, v2, s[18:19]
	v_mov_b32_e32 v2, 0x78
	v_or_b32_e32 v6, 0x800000, v52
	v_cndmask_b32_e64 v5, v5, v2, s[18:19]
	v_cndmask_b32_e64 v52, v6, v52, s[18:19]
	v_add_u32_e32 v2, 20, v5
	v_lshlrev_b64 v[2:3], v2, -1
	v_lshrrev_b64 v[8:9], v5, v[52:53]
	v_not_b32_e32 v3, v3
	v_not_b32_e32 v2, v2
	v_add_u32_e32 v6, 19, v5
	v_lshrrev_b32_e32 v48, 23, v8
	v_and_b32_e32 v3, 0, v3
	v_and_b32_e32 v2, v52, v2
	v_lshlrev_b64 v[6:7], v6, 1
	v_add3_u32 v48, v5, v35, v48
	v_bfe_u32 v5, v8, 20, 1
	v_add_u32_e32 v5, -1, v5
	v_cmp_eq_u64_e64 s[18:19], v[2:3], v[6:7]
	v_cndmask_b32_e64 v2, 0, v5, s[18:19]
	v_add_u32_e32 v2, v2, v8
	v_and_b32_e32 v2, 0xfffff, v2
	v_add_co_u32_e64 v2, s[18:19], v2, v8
	v_add_u32_e32 v35, 6, v48
	v_addc_co_u32_e64 v3, s[18:19], 0, v9, s[18:19]
	v_cmp_ne_u32_e64 s[18:19], 0, v35
                                        ; implicit-def: $vgpr5
	s_and_saveexec_b64 s[20:21], s[18:19]
	s_xor_b64 s[20:21], exec, s[20:21]
; %bb.2636:                             ;   in Loop: Header=BB4_2476 Depth=2
	v_cmp_lt_u64_e64 s[18:19], s[44:45], v[2:3]
	v_add_u32_e32 v5, 7, v48
	v_cndmask_b32_e64 v6, 0, 1, s[18:19]
	v_cndmask_b32_e64 v5, v35, v5, s[18:19]
	v_lshrrev_b64 v[2:3], v6, v[2:3]
; %bb.2637:                             ;   in Loop: Header=BB4_2476 Depth=2
	s_andn2_saveexec_b64 s[18:19], s[20:21]
; %bb.2638:                             ;   in Loop: Header=BB4_2476 Depth=2
	v_bfe_u32 v5, v2, 23, 1
; %bb.2639:                             ;   in Loop: Header=BB4_2476 Depth=2
	s_or_b64 exec, exec, s[18:19]
	v_lshrrev_b64 v[2:3], 20, v[2:3]
	v_cmp_gt_i32_e64 s[18:19], 16, v5
	v_cndmask_b32_e64 v3, 0, v3, s[18:19]
	v_cndmask_b32_e64 v2, 7, v2, s[18:19]
	v_cmp_eq_u64_e64 s[20:21], 0, v[2:3]
	v_min_i32_e32 v3, 15, v5
	v_lshlrev_b32_e32 v3, 3, v3
	v_cmp_eq_u32_e64 s[18:19], 0, v5
	v_and_b32_e32 v3, 0xf8, v3
	v_and_or_b32 v2, v2, 7, v3
	s_and_b64 s[18:19], s[18:19], s[20:21]
	v_cndmask_b32_e64 v2, v2, 0, s[18:19]
	v_or_b32_e32 v35, v2, v4
.LBB4_2640:                             ;   in Loop: Header=BB4_2476 Depth=2
	s_or_b64 exec, exec, s[60:61]
.LBB4_2641:                             ;   in Loop: Header=BB4_2476 Depth=2
	s_or_b64 exec, exec, s[58:59]
                                        ; implicit-def: $vgpr2
.LBB4_2642:                             ;   in Loop: Header=BB4_2476 Depth=2
	s_andn2_saveexec_b64 s[20:21], s[56:57]
; %bb.2643:                             ;   in Loop: Header=BB4_2476 Depth=2
	v_or_b32_sdwa v2, v2, s71 dst_sel:DWORD dst_unused:UNUSED_PAD src0_sel:BYTE_3 src1_sel:DWORD
	v_cmp_eq_u64_e64 s[18:19], 0, v[52:53]
	v_cndmask_b32_e64 v35, v2, v35, s[18:19]
; %bb.2644:                             ;   in Loop: Header=BB4_2476 Depth=2
	s_or_b64 exec, exec, s[20:21]
	v_cmp_lt_u64_e64 s[18:19], s[42:43], v[14:15]
	v_mov_b32_e32 v3, 0
	v_mov_b32_e32 v4, 0
	s_and_saveexec_b64 s[20:21], s[18:19]
	s_cbranch_execz .LBB4_2650
; %bb.2645:                             ;   in Loop: Header=BB4_2476 Depth=2
	v_lshrrev_b32_e32 v2, 24, v15
	v_cmp_ne_u32_e64 s[18:19], s69, v2
	v_bfrev_b32_e32 v4, 1
	s_and_saveexec_b64 s[56:57], s[18:19]
	s_cbranch_execz .LBB4_2649
; %bb.2646:                             ;   in Loop: Header=BB4_2476 Depth=2
	v_bfe_u32 v5, v15, 24, 7
	v_cmp_ne_u32_e64 s[18:19], s71, v5
	v_mov_b32_e32 v4, 0x7f800001
	s_and_saveexec_b64 s[58:59], s[18:19]
	s_cbranch_execz .LBB4_2648
; %bb.2647:                             ;   in Loop: Header=BB4_2476 Depth=2
	v_and_b32_e32 v4, 7, v2
	v_ffbh_u32_e32 v6, v4
	v_min_u32_e32 v9, 32, v6
	v_subrev_u32_e32 v6, 28, v9
	v_lshlrev_b64 v[6:7], v6, v[2:3]
	v_lshrrev_b32_e32 v8, 3, v5
	v_sub_u32_e32 v7, 29, v9
	v_and_b32_e32 v6, 7, v6
	v_cmp_gt_u32_e64 s[18:19], 8, v5
	v_cndmask_b32_e64 v5, v8, v7, s[18:19]
	v_cndmask_b32_e64 v4, v4, v6, s[18:19]
	v_lshlrev_b32_e32 v2, 24, v2
	v_lshlrev_b32_e32 v4, 20, v4
	v_and_b32_e32 v2, 0x80000000, v2
	v_lshl_add_u32 v5, v5, 23, v27
	v_or3_b32 v4, v2, v5, v4
.LBB4_2648:                             ;   in Loop: Header=BB4_2476 Depth=2
	s_or_b64 exec, exec, s[58:59]
.LBB4_2649:                             ;   in Loop: Header=BB4_2476 Depth=2
	s_or_b64 exec, exec, s[56:57]
.LBB4_2650:                             ;   in Loop: Header=BB4_2476 Depth=2
	s_or_b64 exec, exec, s[20:21]
	v_cmp_lt_u64_e64 s[18:19], s[42:43], v[10:11]
	s_and_saveexec_b64 s[20:21], s[18:19]
	s_cbranch_execz .LBB4_2656
; %bb.2651:                             ;   in Loop: Header=BB4_2476 Depth=2
	v_lshrrev_b32_e32 v2, 24, v11
	v_cmp_ne_u32_e64 s[18:19], s69, v2
	v_bfrev_b32_e32 v3, 1
	s_and_saveexec_b64 s[56:57], s[18:19]
	s_cbranch_execz .LBB4_2655
; %bb.2652:                             ;   in Loop: Header=BB4_2476 Depth=2
	v_bfe_u32 v5, v11, 24, 7
	v_cmp_ne_u32_e64 s[18:19], s71, v5
	v_mov_b32_e32 v3, 0x7f800001
	s_and_saveexec_b64 s[58:59], s[18:19]
	s_cbranch_execz .LBB4_2654
; %bb.2653:                             ;   in Loop: Header=BB4_2476 Depth=2
	v_and_b32_e32 v3, 7, v2
	v_ffbh_u32_e32 v6, v3
	v_min_u32_e32 v9, 32, v6
	v_subrev_u32_e32 v6, 28, v9
	v_lshlrev_b64 v[6:7], v6, v[2:3]
	v_lshrrev_b32_e32 v8, 3, v5
	v_sub_u32_e32 v7, 29, v9
	v_and_b32_e32 v6, 7, v6
	v_cmp_gt_u32_e64 s[18:19], 8, v5
	v_cndmask_b32_e64 v5, v8, v7, s[18:19]
	v_cndmask_b32_e64 v3, v3, v6, s[18:19]
	v_lshlrev_b32_e32 v2, 24, v2
	v_lshlrev_b32_e32 v3, 20, v3
	v_and_b32_e32 v2, 0x80000000, v2
	v_lshl_add_u32 v5, v5, 23, v27
	v_or3_b32 v3, v2, v5, v3
.LBB4_2654:                             ;   in Loop: Header=BB4_2476 Depth=2
	s_or_b64 exec, exec, s[58:59]
.LBB4_2655:                             ;   in Loop: Header=BB4_2476 Depth=2
	s_or_b64 exec, exec, s[56:57]
.LBB4_2656:                             ;   in Loop: Header=BB4_2476 Depth=2
	s_or_b64 exec, exec, s[20:21]
	v_add_f32_e32 v2, v4, v3
	v_and_b32_sdwa v4, v2, s69 dst_sel:DWORD dst_unused:UNUSED_PAD src0_sel:BYTE_3 src1_sel:DWORD
	v_and_b32_e32 v6, 0x7f800000, v2
	v_mov_b32_e32 v7, v53
	v_and_b32_e32 v52, 0x7fffff, v2
	v_or_b32_e32 v11, 0x7e, v4
	v_cmp_ne_u64_e64 s[18:19], s[38:39], v[6:7]
	s_and_saveexec_b64 s[20:21], s[18:19]
	s_xor_b64 s[56:57], exec, s[20:21]
	s_cbranch_execz .LBB4_2666
; %bb.2657:                             ;   in Loop: Header=BB4_2476 Depth=2
	v_and_b32_e32 v6, 0x7fffffff, v2
	v_mov_b32_e32 v7, v53
	v_cmp_gt_u64_e64 s[18:19], s[40:41], v[6:7]
	s_and_saveexec_b64 s[58:59], s[18:19]
	s_cbranch_execz .LBB4_2665
; %bb.2658:                             ;   in Loop: Header=BB4_2476 Depth=2
	v_cmp_ne_u32_e64 s[18:19], 0, v2
	v_mov_b32_e32 v11, 0
	s_and_saveexec_b64 s[60:61], s[18:19]
	s_cbranch_execz .LBB4_2664
; %bb.2659:                             ;   in Loop: Header=BB4_2476 Depth=2
	v_bfe_u32 v2, v2, 23, 8
	v_sub_u32_e32 v5, 0x79, v2
	v_cmp_gt_u32_e64 s[18:19], s72, v2
	v_add_u32_e32 v3, 0xffffff81, v2
	v_cndmask_b32_e64 v5, 0, v5, s[18:19]
	v_cmp_eq_u32_e64 s[18:19], 0, v2
	v_mov_b32_e32 v2, 0xffffff82
	v_cndmask_b32_e64 v10, v3, v2, s[18:19]
	v_mov_b32_e32 v2, 0x78
	v_or_b32_e32 v6, 0x800000, v52
	v_cndmask_b32_e64 v5, v5, v2, s[18:19]
	v_cndmask_b32_e64 v52, v6, v52, s[18:19]
	v_add_u32_e32 v2, 20, v5
	v_lshlrev_b64 v[2:3], v2, -1
	v_lshrrev_b64 v[8:9], v5, v[52:53]
	v_not_b32_e32 v3, v3
	v_not_b32_e32 v2, v2
	v_add_u32_e32 v6, 19, v5
	v_lshrrev_b32_e32 v11, 23, v8
	v_and_b32_e32 v3, 0, v3
	v_and_b32_e32 v2, v52, v2
	v_lshlrev_b64 v[6:7], v6, 1
	v_add3_u32 v11, v5, v10, v11
	v_bfe_u32 v5, v8, 20, 1
	v_add_u32_e32 v5, -1, v5
	v_cmp_eq_u64_e64 s[18:19], v[2:3], v[6:7]
	v_cndmask_b32_e64 v2, 0, v5, s[18:19]
	v_add_u32_e32 v2, v2, v8
	v_and_b32_e32 v2, 0xfffff, v2
	v_add_co_u32_e64 v2, s[18:19], v2, v8
	v_add_u32_e32 v10, 6, v11
	v_addc_co_u32_e64 v3, s[18:19], 0, v9, s[18:19]
	v_cmp_ne_u32_e64 s[18:19], 0, v10
                                        ; implicit-def: $vgpr5
	s_and_saveexec_b64 s[20:21], s[18:19]
	s_xor_b64 s[20:21], exec, s[20:21]
; %bb.2660:                             ;   in Loop: Header=BB4_2476 Depth=2
	v_cmp_lt_u64_e64 s[18:19], s[44:45], v[2:3]
	v_add_u32_e32 v5, 7, v11
	v_cndmask_b32_e64 v6, 0, 1, s[18:19]
	v_cndmask_b32_e64 v5, v10, v5, s[18:19]
	v_lshrrev_b64 v[2:3], v6, v[2:3]
; %bb.2661:                             ;   in Loop: Header=BB4_2476 Depth=2
	s_andn2_saveexec_b64 s[18:19], s[20:21]
; %bb.2662:                             ;   in Loop: Header=BB4_2476 Depth=2
	v_bfe_u32 v5, v2, 23, 1
; %bb.2663:                             ;   in Loop: Header=BB4_2476 Depth=2
	s_or_b64 exec, exec, s[18:19]
	v_lshrrev_b64 v[2:3], 20, v[2:3]
	v_cmp_gt_i32_e64 s[18:19], 16, v5
	v_cndmask_b32_e64 v3, 0, v3, s[18:19]
	v_cndmask_b32_e64 v2, 7, v2, s[18:19]
	v_cmp_eq_u64_e64 s[20:21], 0, v[2:3]
	v_min_i32_e32 v3, 15, v5
	v_lshlrev_b32_e32 v3, 3, v3
	v_cmp_eq_u32_e64 s[18:19], 0, v5
	v_and_b32_e32 v3, 0xf8, v3
	v_and_or_b32 v2, v2, 7, v3
	s_and_b64 s[18:19], s[18:19], s[20:21]
	v_cndmask_b32_e64 v2, v2, 0, s[18:19]
	v_or_b32_e32 v11, v2, v4
.LBB4_2664:                             ;   in Loop: Header=BB4_2476 Depth=2
	s_or_b64 exec, exec, s[60:61]
.LBB4_2665:                             ;   in Loop: Header=BB4_2476 Depth=2
	s_or_b64 exec, exec, s[58:59]
                                        ; implicit-def: $vgpr2
.LBB4_2666:                             ;   in Loop: Header=BB4_2476 Depth=2
	s_andn2_saveexec_b64 s[20:21], s[56:57]
; %bb.2667:                             ;   in Loop: Header=BB4_2476 Depth=2
	v_or_b32_sdwa v2, v2, s71 dst_sel:DWORD dst_unused:UNUSED_PAD src0_sel:BYTE_3 src1_sel:DWORD
	v_cmp_eq_u64_e64 s[18:19], 0, v[52:53]
	v_cndmask_b32_e64 v11, v2, v11, s[18:19]
; %bb.2668:                             ;   in Loop: Header=BB4_2476 Depth=2
	s_or_b64 exec, exec, s[20:21]
	v_cmp_ne_u16_sdwa s[18:19], v16, v53 src0_sel:BYTE_0 src1_sel:DWORD
	v_mov_b32_e32 v2, 0
	v_mov_b32_e32 v3, 0
	s_and_saveexec_b64 s[20:21], s[18:19]
	s_cbranch_execz .LBB4_2674
; %bb.2669:                             ;   in Loop: Header=BB4_2476 Depth=2
	v_cmp_ne_u16_sdwa s[18:19], v16, s69 src0_sel:BYTE_0 src1_sel:DWORD
	v_bfrev_b32_e32 v3, 1
	s_and_saveexec_b64 s[56:57], s[18:19]
	s_cbranch_execz .LBB4_2673
; %bb.2670:                             ;   in Loop: Header=BB4_2476 Depth=2
	v_and_b32_e32 v4, 0x7f, v16
	v_cmp_ne_u32_e64 s[18:19], s71, v4
	v_mov_b32_e32 v3, 0x7f800001
	s_and_saveexec_b64 s[58:59], s[18:19]
	s_cbranch_execz .LBB4_2672
; %bb.2671:                             ;   in Loop: Header=BB4_2476 Depth=2
	v_and_b32_e32 v3, 7, v16
	v_ffbh_u32_e32 v3, v3
	v_min_u32_e32 v3, 32, v3
	v_subrev_u32_e32 v6, 28, v3
	v_cmp_gt_u32_e64 s[18:19], 8, v4
	v_lshrrev_b32_e32 v5, 3, v4
	v_sub_u32_e32 v3, 29, v3
	v_cndmask_b32_e64 v4, 0, v6, s[18:19]
	v_cndmask_b32_e64 v3, v5, v3, s[18:19]
	v_lshlrev_b64 v[4:5], v4, v[16:17]
	v_lshlrev_b32_e32 v4, 20, v4
	v_lshlrev_b32_e32 v5, 24, v16
	v_and_b32_e32 v4, 0x700000, v4
	v_and_b32_e32 v5, 0x80000000, v5
	v_lshl_add_u32 v3, v3, 23, v27
	v_or3_b32 v3, v5, v3, v4
.LBB4_2672:                             ;   in Loop: Header=BB4_2476 Depth=2
	s_or_b64 exec, exec, s[58:59]
.LBB4_2673:                             ;   in Loop: Header=BB4_2476 Depth=2
	s_or_b64 exec, exec, s[56:57]
.LBB4_2674:                             ;   in Loop: Header=BB4_2476 Depth=2
	s_or_b64 exec, exec, s[20:21]
	v_cmp_ne_u16_sdwa s[18:19], v12, v53 src0_sel:BYTE_0 src1_sel:DWORD
	s_and_saveexec_b64 s[20:21], s[18:19]
	s_cbranch_execz .LBB4_2680
; %bb.2675:                             ;   in Loop: Header=BB4_2476 Depth=2
	v_cmp_ne_u16_sdwa s[18:19], v12, s69 src0_sel:BYTE_0 src1_sel:DWORD
	v_bfrev_b32_e32 v2, 1
	s_and_saveexec_b64 s[56:57], s[18:19]
	s_cbranch_execz .LBB4_2679
; %bb.2676:                             ;   in Loop: Header=BB4_2476 Depth=2
	v_and_b32_e32 v4, 0x7f, v12
	v_cmp_ne_u32_e64 s[18:19], s71, v4
	v_mov_b32_e32 v2, 0x7f800001
	s_and_saveexec_b64 s[58:59], s[18:19]
	s_cbranch_execz .LBB4_2678
; %bb.2677:                             ;   in Loop: Header=BB4_2476 Depth=2
	v_and_b32_e32 v2, 7, v12
	v_ffbh_u32_e32 v2, v2
	v_min_u32_e32 v2, 32, v2
	v_subrev_u32_e32 v6, 28, v2
	v_cmp_gt_u32_e64 s[18:19], 8, v4
	v_lshrrev_b32_e32 v5, 3, v4
	v_sub_u32_e32 v2, 29, v2
	v_cndmask_b32_e64 v4, 0, v6, s[18:19]
	v_cndmask_b32_e64 v2, v5, v2, s[18:19]
	v_lshlrev_b64 v[4:5], v4, v[12:13]
	v_lshlrev_b32_e32 v4, 20, v4
	v_lshlrev_b32_e32 v5, 24, v12
	v_and_b32_e32 v4, 0x700000, v4
	v_and_b32_e32 v5, 0x80000000, v5
	v_lshl_add_u32 v2, v2, 23, v27
	v_or3_b32 v2, v5, v2, v4
.LBB4_2678:                             ;   in Loop: Header=BB4_2476 Depth=2
	s_or_b64 exec, exec, s[58:59]
.LBB4_2679:                             ;   in Loop: Header=BB4_2476 Depth=2
	s_or_b64 exec, exec, s[56:57]
.LBB4_2680:                             ;   in Loop: Header=BB4_2476 Depth=2
	s_or_b64 exec, exec, s[20:21]
	v_add_f32_e32 v2, v3, v2
	v_and_b32_sdwa v4, v2, s69 dst_sel:DWORD dst_unused:UNUSED_PAD src0_sel:BYTE_3 src1_sel:DWORD
	v_and_b32_e32 v6, 0x7f800000, v2
	v_mov_b32_e32 v7, v53
	v_and_b32_e32 v52, 0x7fffff, v2
	v_or_b32_e32 v14, 0x7e, v4
	v_cmp_ne_u64_e64 s[18:19], s[38:39], v[6:7]
	s_and_saveexec_b64 s[20:21], s[18:19]
	s_xor_b64 s[56:57], exec, s[20:21]
	s_cbranch_execz .LBB4_2690
; %bb.2681:                             ;   in Loop: Header=BB4_2476 Depth=2
	v_and_b32_e32 v6, 0x7fffffff, v2
	v_mov_b32_e32 v7, v53
	v_cmp_gt_u64_e64 s[18:19], s[40:41], v[6:7]
	s_and_saveexec_b64 s[58:59], s[18:19]
	s_cbranch_execz .LBB4_2689
; %bb.2682:                             ;   in Loop: Header=BB4_2476 Depth=2
	v_cmp_ne_u32_e64 s[18:19], 0, v2
	v_mov_b32_e32 v14, 0
	s_and_saveexec_b64 s[60:61], s[18:19]
	s_cbranch_execz .LBB4_2688
; %bb.2683:                             ;   in Loop: Header=BB4_2476 Depth=2
	v_bfe_u32 v2, v2, 23, 8
	v_sub_u32_e32 v5, 0x79, v2
	v_cmp_gt_u32_e64 s[18:19], s72, v2
	v_add_u32_e32 v3, 0xffffff81, v2
	v_cndmask_b32_e64 v5, 0, v5, s[18:19]
	v_cmp_eq_u32_e64 s[18:19], 0, v2
	v_mov_b32_e32 v2, 0xffffff82
	v_cndmask_b32_e64 v10, v3, v2, s[18:19]
	v_mov_b32_e32 v2, 0x78
	v_or_b32_e32 v6, 0x800000, v52
	v_cndmask_b32_e64 v5, v5, v2, s[18:19]
	v_cndmask_b32_e64 v52, v6, v52, s[18:19]
	v_add_u32_e32 v2, 20, v5
	v_lshlrev_b64 v[2:3], v2, -1
	v_lshrrev_b64 v[8:9], v5, v[52:53]
	v_not_b32_e32 v3, v3
	v_not_b32_e32 v2, v2
	v_add_u32_e32 v6, 19, v5
	v_lshrrev_b32_e32 v14, 23, v8
	v_and_b32_e32 v3, 0, v3
	v_and_b32_e32 v2, v52, v2
	v_lshlrev_b64 v[6:7], v6, 1
	v_add3_u32 v14, v5, v10, v14
	v_bfe_u32 v5, v8, 20, 1
	v_add_u32_e32 v5, -1, v5
	v_cmp_eq_u64_e64 s[18:19], v[2:3], v[6:7]
	v_cndmask_b32_e64 v2, 0, v5, s[18:19]
	v_add_u32_e32 v2, v2, v8
	v_and_b32_e32 v2, 0xfffff, v2
	v_add_co_u32_e64 v2, s[18:19], v2, v8
	v_add_u32_e32 v10, 6, v14
	v_addc_co_u32_e64 v3, s[18:19], 0, v9, s[18:19]
	v_cmp_ne_u32_e64 s[18:19], 0, v10
                                        ; implicit-def: $vgpr5
	s_and_saveexec_b64 s[20:21], s[18:19]
	s_xor_b64 s[20:21], exec, s[20:21]
; %bb.2684:                             ;   in Loop: Header=BB4_2476 Depth=2
	v_cmp_lt_u64_e64 s[18:19], s[44:45], v[2:3]
	v_add_u32_e32 v5, 7, v14
	v_cndmask_b32_e64 v6, 0, 1, s[18:19]
	v_cndmask_b32_e64 v5, v10, v5, s[18:19]
	v_lshrrev_b64 v[2:3], v6, v[2:3]
; %bb.2685:                             ;   in Loop: Header=BB4_2476 Depth=2
	s_andn2_saveexec_b64 s[18:19], s[20:21]
; %bb.2686:                             ;   in Loop: Header=BB4_2476 Depth=2
	v_bfe_u32 v5, v2, 23, 1
; %bb.2687:                             ;   in Loop: Header=BB4_2476 Depth=2
	s_or_b64 exec, exec, s[18:19]
	v_lshrrev_b64 v[2:3], 20, v[2:3]
	v_cmp_gt_i32_e64 s[18:19], 16, v5
	v_cndmask_b32_e64 v3, 0, v3, s[18:19]
	v_cndmask_b32_e64 v2, 7, v2, s[18:19]
	v_cmp_eq_u64_e64 s[20:21], 0, v[2:3]
	v_min_i32_e32 v3, 15, v5
	v_cmp_eq_u32_e64 s[18:19], 0, v5
	v_lshlrev_b32_e32 v3, 3, v3
	v_and_or_b32 v2, v2, 7, v3
	s_and_b64 s[18:19], s[18:19], s[20:21]
	v_cndmask_b32_e64 v2, v2, 0, s[18:19]
	v_or_b32_e32 v14, v2, v4
.LBB4_2688:                             ;   in Loop: Header=BB4_2476 Depth=2
	s_or_b64 exec, exec, s[60:61]
.LBB4_2689:                             ;   in Loop: Header=BB4_2476 Depth=2
	s_or_b64 exec, exec, s[58:59]
                                        ; implicit-def: $vgpr2
.LBB4_2690:                             ;   in Loop: Header=BB4_2476 Depth=2
	s_andn2_saveexec_b64 s[20:21], s[56:57]
; %bb.2691:                             ;   in Loop: Header=BB4_2476 Depth=2
	v_or_b32_sdwa v2, v2, s71 dst_sel:DWORD dst_unused:UNUSED_PAD src0_sel:BYTE_3 src1_sel:DWORD
	v_cmp_eq_u64_e64 s[18:19], 0, v[52:53]
	v_cndmask_b32_e64 v14, v2, v14, s[18:19]
; %bb.2692:                             ;   in Loop: Header=BB4_2476 Depth=2
	s_or_b64 exec, exec, s[20:21]
	v_lshrrev_b16_e32 v2, 8, v16
	v_cmp_ne_u16_e64 s[18:19], 0, v2
	v_mov_b32_e32 v3, 0
	v_mov_b32_e32 v4, 0
	s_and_saveexec_b64 s[20:21], s[18:19]
	s_cbranch_execz .LBB4_2698
; %bb.2693:                             ;   in Loop: Header=BB4_2476 Depth=2
	v_cmp_ne_u16_e64 s[18:19], s69, v2
	v_bfrev_b32_e32 v4, 1
	s_and_saveexec_b64 s[56:57], s[18:19]
	s_cbranch_execz .LBB4_2697
; %bb.2694:                             ;   in Loop: Header=BB4_2476 Depth=2
	v_and_b32_e32 v5, 0x7f, v2
	v_cmp_ne_u32_e64 s[18:19], s71, v5
	v_mov_b32_e32 v4, 0x7f800001
	s_and_saveexec_b64 s[58:59], s[18:19]
	s_cbranch_execz .LBB4_2696
; %bb.2695:                             ;   in Loop: Header=BB4_2476 Depth=2
	v_and_b32_e32 v4, 7, v2
	v_ffbh_u32_e32 v6, v4
	v_min_u32_e32 v9, 32, v6
	v_subrev_u32_e32 v6, 28, v9
	v_lshlrev_b64 v[6:7], v6, v[2:3]
	v_lshrrev_b32_e32 v8, 3, v5
	v_sub_u32_e32 v2, 29, v9
	v_and_b32_e32 v6, 7, v6
	v_cmp_gt_u32_e64 s[18:19], 8, v5
	v_cndmask_b32_e64 v2, v8, v2, s[18:19]
	v_cndmask_b32_e64 v4, v4, v6, s[18:19]
	v_lshlrev_b32_e32 v5, 16, v16
	v_lshlrev_b32_e32 v4, 20, v4
	v_and_b32_e32 v5, 0x80000000, v5
	v_lshl_add_u32 v2, v2, 23, v27
	v_or3_b32 v4, v5, v2, v4
.LBB4_2696:                             ;   in Loop: Header=BB4_2476 Depth=2
	s_or_b64 exec, exec, s[58:59]
.LBB4_2697:                             ;   in Loop: Header=BB4_2476 Depth=2
	s_or_b64 exec, exec, s[56:57]
.LBB4_2698:                             ;   in Loop: Header=BB4_2476 Depth=2
	s_or_b64 exec, exec, s[20:21]
	v_lshrrev_b16_e32 v2, 8, v12
	v_cmp_ne_u16_e64 s[18:19], 0, v2
	s_and_saveexec_b64 s[20:21], s[18:19]
	s_cbranch_execz .LBB4_2704
; %bb.2699:                             ;   in Loop: Header=BB4_2476 Depth=2
	v_cmp_ne_u16_e64 s[18:19], s69, v2
	v_bfrev_b32_e32 v3, 1
	s_and_saveexec_b64 s[56:57], s[18:19]
	s_cbranch_execz .LBB4_2703
; %bb.2700:                             ;   in Loop: Header=BB4_2476 Depth=2
	v_and_b32_e32 v5, 0x7f, v2
	v_cmp_ne_u32_e64 s[18:19], s71, v5
	v_mov_b32_e32 v3, 0x7f800001
	s_and_saveexec_b64 s[58:59], s[18:19]
	s_cbranch_execz .LBB4_2702
; %bb.2701:                             ;   in Loop: Header=BB4_2476 Depth=2
	v_and_b32_e32 v6, 7, v2
	v_ffbh_u32_e32 v3, v6
	v_min_u32_e32 v8, 32, v3
	v_subrev_u32_e32 v3, 28, v8
	v_lshlrev_b64 v[2:3], v3, v[2:3]
	v_lshrrev_b32_e32 v7, 3, v5
	v_sub_u32_e32 v3, 29, v8
	v_and_b32_e32 v2, 7, v2
	v_cmp_gt_u32_e64 s[18:19], 8, v5
	v_cndmask_b32_e64 v3, v7, v3, s[18:19]
	v_cndmask_b32_e64 v2, v6, v2, s[18:19]
	v_lshlrev_b32_e32 v5, 16, v12
	v_lshlrev_b32_e32 v2, 20, v2
	v_and_b32_e32 v5, 0x80000000, v5
	v_lshl_add_u32 v3, v3, 23, v27
	v_or3_b32 v3, v5, v3, v2
.LBB4_2702:                             ;   in Loop: Header=BB4_2476 Depth=2
	s_or_b64 exec, exec, s[58:59]
.LBB4_2703:                             ;   in Loop: Header=BB4_2476 Depth=2
	s_or_b64 exec, exec, s[56:57]
.LBB4_2704:                             ;   in Loop: Header=BB4_2476 Depth=2
	s_or_b64 exec, exec, s[20:21]
	v_add_f32_e32 v2, v4, v3
	v_and_b32_sdwa v4, v2, s69 dst_sel:DWORD dst_unused:UNUSED_PAD src0_sel:BYTE_3 src1_sel:DWORD
	v_and_b32_e32 v6, 0x7f800000, v2
	v_mov_b32_e32 v7, v53
	v_and_b32_e32 v52, 0x7fffff, v2
	v_or_b32_e32 v15, 0x7e, v4
	v_cmp_ne_u64_e64 s[18:19], s[38:39], v[6:7]
	s_and_saveexec_b64 s[20:21], s[18:19]
	s_xor_b64 s[56:57], exec, s[20:21]
	s_cbranch_execz .LBB4_2714
; %bb.2705:                             ;   in Loop: Header=BB4_2476 Depth=2
	v_and_b32_e32 v6, 0x7fffffff, v2
	v_mov_b32_e32 v7, v53
	v_cmp_gt_u64_e64 s[18:19], s[40:41], v[6:7]
	s_and_saveexec_b64 s[58:59], s[18:19]
	s_cbranch_execz .LBB4_2713
; %bb.2706:                             ;   in Loop: Header=BB4_2476 Depth=2
	v_cmp_ne_u32_e64 s[18:19], 0, v2
	v_mov_b32_e32 v15, 0
	s_and_saveexec_b64 s[60:61], s[18:19]
	s_cbranch_execz .LBB4_2712
; %bb.2707:                             ;   in Loop: Header=BB4_2476 Depth=2
	v_bfe_u32 v2, v2, 23, 8
	v_sub_u32_e32 v5, 0x79, v2
	v_cmp_gt_u32_e64 s[18:19], s72, v2
	v_add_u32_e32 v3, 0xffffff81, v2
	v_cndmask_b32_e64 v5, 0, v5, s[18:19]
	v_cmp_eq_u32_e64 s[18:19], 0, v2
	v_mov_b32_e32 v2, 0xffffff82
	v_cndmask_b32_e64 v10, v3, v2, s[18:19]
	v_mov_b32_e32 v2, 0x78
	v_or_b32_e32 v6, 0x800000, v52
	v_cndmask_b32_e64 v5, v5, v2, s[18:19]
	v_cndmask_b32_e64 v52, v6, v52, s[18:19]
	v_add_u32_e32 v2, 20, v5
	v_lshlrev_b64 v[2:3], v2, -1
	v_lshrrev_b64 v[8:9], v5, v[52:53]
	v_not_b32_e32 v3, v3
	v_not_b32_e32 v2, v2
	v_add_u32_e32 v6, 19, v5
	v_lshrrev_b32_e32 v15, 23, v8
	v_and_b32_e32 v3, 0, v3
	v_and_b32_e32 v2, v52, v2
	v_lshlrev_b64 v[6:7], v6, 1
	v_add3_u32 v15, v5, v10, v15
	v_bfe_u32 v5, v8, 20, 1
	v_add_u32_e32 v5, -1, v5
	v_cmp_eq_u64_e64 s[18:19], v[2:3], v[6:7]
	v_cndmask_b32_e64 v2, 0, v5, s[18:19]
	v_add_u32_e32 v2, v2, v8
	v_and_b32_e32 v2, 0xfffff, v2
	v_add_co_u32_e64 v2, s[18:19], v2, v8
	v_add_u32_e32 v10, 6, v15
	v_addc_co_u32_e64 v3, s[18:19], 0, v9, s[18:19]
	v_cmp_ne_u32_e64 s[18:19], 0, v10
                                        ; implicit-def: $vgpr5
	s_and_saveexec_b64 s[20:21], s[18:19]
	s_xor_b64 s[20:21], exec, s[20:21]
; %bb.2708:                             ;   in Loop: Header=BB4_2476 Depth=2
	v_cmp_lt_u64_e64 s[18:19], s[44:45], v[2:3]
	v_add_u32_e32 v5, 7, v15
	v_cndmask_b32_e64 v6, 0, 1, s[18:19]
	v_cndmask_b32_e64 v5, v10, v5, s[18:19]
	v_lshrrev_b64 v[2:3], v6, v[2:3]
; %bb.2709:                             ;   in Loop: Header=BB4_2476 Depth=2
	s_andn2_saveexec_b64 s[18:19], s[20:21]
; %bb.2710:                             ;   in Loop: Header=BB4_2476 Depth=2
	v_bfe_u32 v5, v2, 23, 1
; %bb.2711:                             ;   in Loop: Header=BB4_2476 Depth=2
	s_or_b64 exec, exec, s[18:19]
	v_lshrrev_b64 v[2:3], 20, v[2:3]
	v_cmp_gt_i32_e64 s[18:19], 16, v5
	v_cndmask_b32_e64 v3, 0, v3, s[18:19]
	v_cndmask_b32_e64 v2, 7, v2, s[18:19]
	v_cmp_eq_u64_e64 s[20:21], 0, v[2:3]
	v_min_i32_e32 v3, 15, v5
	v_cmp_eq_u32_e64 s[18:19], 0, v5
	v_lshlrev_b32_e32 v3, 3, v3
	v_and_or_b32 v2, v2, 7, v3
	s_and_b64 s[18:19], s[18:19], s[20:21]
	v_cndmask_b32_e64 v2, v2, 0, s[18:19]
	v_or_b32_e32 v15, v2, v4
.LBB4_2712:                             ;   in Loop: Header=BB4_2476 Depth=2
	s_or_b64 exec, exec, s[60:61]
.LBB4_2713:                             ;   in Loop: Header=BB4_2476 Depth=2
	s_or_b64 exec, exec, s[58:59]
                                        ; implicit-def: $vgpr2
.LBB4_2714:                             ;   in Loop: Header=BB4_2476 Depth=2
	s_andn2_saveexec_b64 s[20:21], s[56:57]
; %bb.2715:                             ;   in Loop: Header=BB4_2476 Depth=2
	v_or_b32_sdwa v2, v2, s71 dst_sel:DWORD dst_unused:UNUSED_PAD src0_sel:BYTE_3 src1_sel:DWORD
	v_cmp_eq_u64_e64 s[18:19], 0, v[52:53]
	v_cndmask_b32_e64 v15, v2, v15, s[18:19]
; %bb.2716:                             ;   in Loop: Header=BB4_2476 Depth=2
	s_or_b64 exec, exec, s[20:21]
	v_lshrrev_b32_e32 v2, 16, v16
	v_cmp_ne_u16_sdwa s[18:19], v2, v53 src0_sel:BYTE_0 src1_sel:DWORD
	v_mov_b32_e32 v3, 0
	v_mov_b32_e32 v4, 0
	s_and_saveexec_b64 s[20:21], s[18:19]
	s_cbranch_execz .LBB4_2722
; %bb.2717:                             ;   in Loop: Header=BB4_2476 Depth=2
	v_cmp_ne_u16_sdwa s[18:19], v2, s69 src0_sel:BYTE_0 src1_sel:DWORD
	v_bfrev_b32_e32 v4, 1
	s_and_saveexec_b64 s[56:57], s[18:19]
	s_cbranch_execz .LBB4_2721
; %bb.2718:                             ;   in Loop: Header=BB4_2476 Depth=2
	v_bfe_u32 v5, v16, 16, 7
	v_cmp_ne_u32_e64 s[18:19], s71, v5
	v_mov_b32_e32 v4, 0x7f800001
	s_and_saveexec_b64 s[58:59], s[18:19]
	s_cbranch_execz .LBB4_2720
; %bb.2719:                             ;   in Loop: Header=BB4_2476 Depth=2
	v_and_b32_e32 v4, 7, v2
	v_ffbh_u32_e32 v6, v4
	v_min_u32_e32 v9, 32, v6
	v_subrev_u32_e32 v6, 28, v9
	v_lshlrev_b64 v[6:7], v6, v[2:3]
	v_lshrrev_b32_e32 v8, 3, v5
	v_sub_u32_e32 v7, 29, v9
	v_and_b32_e32 v6, 7, v6
	v_cmp_gt_u32_e64 s[18:19], 8, v5
	v_cndmask_b32_e64 v5, v8, v7, s[18:19]
	v_cndmask_b32_e64 v4, v4, v6, s[18:19]
	v_lshlrev_b32_e32 v2, 24, v2
	v_lshlrev_b32_e32 v4, 20, v4
	v_and_b32_e32 v2, 0x80000000, v2
	v_lshl_add_u32 v5, v5, 23, v27
	v_or3_b32 v4, v2, v5, v4
.LBB4_2720:                             ;   in Loop: Header=BB4_2476 Depth=2
	s_or_b64 exec, exec, s[58:59]
.LBB4_2721:                             ;   in Loop: Header=BB4_2476 Depth=2
	s_or_b64 exec, exec, s[56:57]
.LBB4_2722:                             ;   in Loop: Header=BB4_2476 Depth=2
	s_or_b64 exec, exec, s[20:21]
	v_lshrrev_b32_e32 v2, 16, v12
	v_cmp_ne_u16_sdwa s[18:19], v2, v53 src0_sel:BYTE_0 src1_sel:DWORD
	s_and_saveexec_b64 s[20:21], s[18:19]
	s_cbranch_execz .LBB4_2728
; %bb.2723:                             ;   in Loop: Header=BB4_2476 Depth=2
	v_cmp_ne_u16_sdwa s[18:19], v2, s69 src0_sel:BYTE_0 src1_sel:DWORD
	v_bfrev_b32_e32 v3, 1
	s_and_saveexec_b64 s[56:57], s[18:19]
	s_cbranch_execz .LBB4_2727
; %bb.2724:                             ;   in Loop: Header=BB4_2476 Depth=2
	v_bfe_u32 v5, v12, 16, 7
	v_cmp_ne_u32_e64 s[18:19], s71, v5
	v_mov_b32_e32 v3, 0x7f800001
	s_and_saveexec_b64 s[58:59], s[18:19]
	s_cbranch_execz .LBB4_2726
; %bb.2725:                             ;   in Loop: Header=BB4_2476 Depth=2
	v_and_b32_e32 v6, 7, v2
	v_ffbh_u32_e32 v3, v6
	v_min_u32_e32 v8, 32, v3
	v_subrev_u32_e32 v3, 28, v8
	v_lshlrev_b64 v[2:3], v3, v[2:3]
	v_lshrrev_b32_e32 v7, 3, v5
	v_sub_u32_e32 v3, 29, v8
	v_and_b32_e32 v2, 7, v2
	v_cmp_gt_u32_e64 s[18:19], 8, v5
	v_cndmask_b32_e64 v3, v7, v3, s[18:19]
	v_cndmask_b32_e64 v2, v6, v2, s[18:19]
	v_lshlrev_b32_e32 v5, 8, v12
	v_lshlrev_b32_e32 v2, 20, v2
	v_and_b32_e32 v5, 0x80000000, v5
	v_lshl_add_u32 v3, v3, 23, v27
	v_or3_b32 v3, v5, v3, v2
.LBB4_2726:                             ;   in Loop: Header=BB4_2476 Depth=2
	s_or_b64 exec, exec, s[58:59]
.LBB4_2727:                             ;   in Loop: Header=BB4_2476 Depth=2
	s_or_b64 exec, exec, s[56:57]
.LBB4_2728:                             ;   in Loop: Header=BB4_2476 Depth=2
	s_or_b64 exec, exec, s[20:21]
	v_add_f32_e32 v2, v4, v3
	v_and_b32_sdwa v4, v2, s69 dst_sel:DWORD dst_unused:UNUSED_PAD src0_sel:BYTE_3 src1_sel:DWORD
	v_and_b32_e32 v6, 0x7f800000, v2
	v_mov_b32_e32 v7, v53
	v_and_b32_e32 v52, 0x7fffff, v2
	v_or_b32_e32 v50, 0x7e, v4
	v_cmp_ne_u64_e64 s[18:19], s[38:39], v[6:7]
	s_and_saveexec_b64 s[20:21], s[18:19]
	s_xor_b64 s[56:57], exec, s[20:21]
	s_cbranch_execz .LBB4_2738
; %bb.2729:                             ;   in Loop: Header=BB4_2476 Depth=2
	v_and_b32_e32 v6, 0x7fffffff, v2
	v_mov_b32_e32 v7, v53
	v_cmp_gt_u64_e64 s[18:19], s[40:41], v[6:7]
	s_and_saveexec_b64 s[58:59], s[18:19]
	s_cbranch_execz .LBB4_2737
; %bb.2730:                             ;   in Loop: Header=BB4_2476 Depth=2
	v_cmp_ne_u32_e64 s[18:19], 0, v2
	v_mov_b32_e32 v50, 0
	s_and_saveexec_b64 s[60:61], s[18:19]
	s_cbranch_execz .LBB4_2736
; %bb.2731:                             ;   in Loop: Header=BB4_2476 Depth=2
	v_bfe_u32 v2, v2, 23, 8
	v_sub_u32_e32 v5, 0x79, v2
	v_cmp_gt_u32_e64 s[18:19], s72, v2
	v_add_u32_e32 v3, 0xffffff81, v2
	v_cndmask_b32_e64 v5, 0, v5, s[18:19]
	v_cmp_eq_u32_e64 s[18:19], 0, v2
	v_mov_b32_e32 v2, 0xffffff82
	v_cndmask_b32_e64 v10, v3, v2, s[18:19]
	v_mov_b32_e32 v2, 0x78
	v_or_b32_e32 v6, 0x800000, v52
	v_cndmask_b32_e64 v5, v5, v2, s[18:19]
	v_cndmask_b32_e64 v52, v6, v52, s[18:19]
	v_add_u32_e32 v2, 20, v5
	v_lshlrev_b64 v[2:3], v2, -1
	v_lshrrev_b64 v[8:9], v5, v[52:53]
	v_not_b32_e32 v3, v3
	v_not_b32_e32 v2, v2
	v_add_u32_e32 v6, 19, v5
	v_lshrrev_b32_e32 v48, 23, v8
	v_and_b32_e32 v3, 0, v3
	v_and_b32_e32 v2, v52, v2
	v_lshlrev_b64 v[6:7], v6, 1
	v_add3_u32 v48, v5, v10, v48
	v_bfe_u32 v5, v8, 20, 1
	v_add_u32_e32 v5, -1, v5
	v_cmp_eq_u64_e64 s[18:19], v[2:3], v[6:7]
	v_cndmask_b32_e64 v2, 0, v5, s[18:19]
	v_add_u32_e32 v2, v2, v8
	v_and_b32_e32 v2, 0xfffff, v2
	v_add_co_u32_e64 v2, s[18:19], v2, v8
	v_add_u32_e32 v10, 6, v48
	v_addc_co_u32_e64 v3, s[18:19], 0, v9, s[18:19]
	v_cmp_ne_u32_e64 s[18:19], 0, v10
                                        ; implicit-def: $vgpr5
	s_and_saveexec_b64 s[20:21], s[18:19]
	s_xor_b64 s[20:21], exec, s[20:21]
; %bb.2732:                             ;   in Loop: Header=BB4_2476 Depth=2
	v_cmp_lt_u64_e64 s[18:19], s[44:45], v[2:3]
	v_add_u32_e32 v5, 7, v48
	v_cndmask_b32_e64 v6, 0, 1, s[18:19]
	v_cndmask_b32_e64 v5, v10, v5, s[18:19]
	v_lshrrev_b64 v[2:3], v6, v[2:3]
; %bb.2733:                             ;   in Loop: Header=BB4_2476 Depth=2
	s_andn2_saveexec_b64 s[18:19], s[20:21]
; %bb.2734:                             ;   in Loop: Header=BB4_2476 Depth=2
	v_bfe_u32 v5, v2, 23, 1
; %bb.2735:                             ;   in Loop: Header=BB4_2476 Depth=2
	s_or_b64 exec, exec, s[18:19]
	v_lshrrev_b64 v[2:3], 20, v[2:3]
	v_cmp_gt_i32_e64 s[18:19], 16, v5
	v_cndmask_b32_e64 v3, 0, v3, s[18:19]
	v_cndmask_b32_e64 v2, 7, v2, s[18:19]
	v_cmp_eq_u64_e64 s[20:21], 0, v[2:3]
	v_min_i32_e32 v3, 15, v5
	v_cmp_eq_u32_e64 s[18:19], 0, v5
	v_lshlrev_b32_e32 v3, 3, v3
	v_and_or_b32 v2, v2, 7, v3
	s_and_b64 s[18:19], s[18:19], s[20:21]
	v_cndmask_b32_e64 v2, v2, 0, s[18:19]
	v_or_b32_e32 v50, v2, v4
.LBB4_2736:                             ;   in Loop: Header=BB4_2476 Depth=2
	s_or_b64 exec, exec, s[60:61]
.LBB4_2737:                             ;   in Loop: Header=BB4_2476 Depth=2
	s_or_b64 exec, exec, s[58:59]
                                        ; implicit-def: $vgpr2
.LBB4_2738:                             ;   in Loop: Header=BB4_2476 Depth=2
	s_andn2_saveexec_b64 s[20:21], s[56:57]
; %bb.2739:                             ;   in Loop: Header=BB4_2476 Depth=2
	v_or_b32_sdwa v2, v2, s71 dst_sel:DWORD dst_unused:UNUSED_PAD src0_sel:BYTE_3 src1_sel:DWORD
	v_cmp_eq_u64_e64 s[18:19], 0, v[52:53]
	v_cndmask_b32_e64 v50, v2, v50, s[18:19]
; %bb.2740:                             ;   in Loop: Header=BB4_2476 Depth=2
	s_or_b64 exec, exec, s[20:21]
	v_cmp_lt_u32_e64 s[18:19], s43, v16
	v_mov_b32_e32 v3, 0
	v_mov_b32_e32 v4, 0
	s_and_saveexec_b64 s[20:21], s[18:19]
	s_cbranch_execz .LBB4_2746
; %bb.2741:                             ;   in Loop: Header=BB4_2476 Depth=2
	v_lshrrev_b32_e32 v2, 24, v16
	v_cmp_ne_u32_e64 s[18:19], s69, v2
	v_bfrev_b32_e32 v4, 1
	s_and_saveexec_b64 s[56:57], s[18:19]
	s_cbranch_execz .LBB4_2745
; %bb.2742:                             ;   in Loop: Header=BB4_2476 Depth=2
	v_bfe_u32 v5, v16, 24, 7
	v_cmp_ne_u32_e64 s[18:19], s71, v5
	v_mov_b32_e32 v4, 0x7f800001
	s_and_saveexec_b64 s[58:59], s[18:19]
	s_cbranch_execz .LBB4_2744
; %bb.2743:                             ;   in Loop: Header=BB4_2476 Depth=2
	v_and_b32_e32 v4, 7, v2
	v_ffbh_u32_e32 v6, v4
	v_min_u32_e32 v9, 32, v6
	v_subrev_u32_e32 v6, 28, v9
	v_lshlrev_b64 v[6:7], v6, v[2:3]
	v_lshrrev_b32_e32 v8, 3, v5
	v_sub_u32_e32 v7, 29, v9
	v_and_b32_e32 v6, 7, v6
	v_cmp_gt_u32_e64 s[18:19], 8, v5
	v_cndmask_b32_e64 v5, v8, v7, s[18:19]
	v_cndmask_b32_e64 v4, v4, v6, s[18:19]
	v_lshlrev_b32_e32 v2, 24, v2
	v_lshlrev_b32_e32 v4, 20, v4
	v_and_b32_e32 v2, 0x80000000, v2
	v_lshl_add_u32 v5, v5, 23, v27
	v_or3_b32 v4, v2, v5, v4
.LBB4_2744:                             ;   in Loop: Header=BB4_2476 Depth=2
	s_or_b64 exec, exec, s[58:59]
.LBB4_2745:                             ;   in Loop: Header=BB4_2476 Depth=2
	s_or_b64 exec, exec, s[56:57]
.LBB4_2746:                             ;   in Loop: Header=BB4_2476 Depth=2
	s_or_b64 exec, exec, s[20:21]
	v_cmp_lt_u32_e64 s[18:19], s43, v12
	s_and_saveexec_b64 s[20:21], s[18:19]
	s_cbranch_execz .LBB4_2752
; %bb.2747:                             ;   in Loop: Header=BB4_2476 Depth=2
	v_lshrrev_b32_e32 v2, 24, v12
	v_cmp_ne_u32_e64 s[18:19], s69, v2
	v_bfrev_b32_e32 v3, 1
	s_and_saveexec_b64 s[56:57], s[18:19]
	s_cbranch_execz .LBB4_2751
; %bb.2748:                             ;   in Loop: Header=BB4_2476 Depth=2
	v_bfe_u32 v5, v12, 24, 7
	v_cmp_ne_u32_e64 s[18:19], s71, v5
	v_mov_b32_e32 v3, 0x7f800001
	s_and_saveexec_b64 s[58:59], s[18:19]
	s_cbranch_execz .LBB4_2750
; %bb.2749:                             ;   in Loop: Header=BB4_2476 Depth=2
	v_and_b32_e32 v3, 7, v2
	v_ffbh_u32_e32 v6, v3
	v_min_u32_e32 v9, 32, v6
	v_subrev_u32_e32 v6, 28, v9
	v_lshlrev_b64 v[6:7], v6, v[2:3]
	v_lshrrev_b32_e32 v8, 3, v5
	v_sub_u32_e32 v7, 29, v9
	v_and_b32_e32 v6, 7, v6
	v_cmp_gt_u32_e64 s[18:19], 8, v5
	v_cndmask_b32_e64 v5, v8, v7, s[18:19]
	v_cndmask_b32_e64 v3, v3, v6, s[18:19]
	v_lshlrev_b32_e32 v2, 24, v2
	v_lshlrev_b32_e32 v3, 20, v3
	v_and_b32_e32 v2, 0x80000000, v2
	v_lshl_add_u32 v5, v5, 23, v27
	v_or3_b32 v3, v2, v5, v3
.LBB4_2750:                             ;   in Loop: Header=BB4_2476 Depth=2
	s_or_b64 exec, exec, s[58:59]
.LBB4_2751:                             ;   in Loop: Header=BB4_2476 Depth=2
	s_or_b64 exec, exec, s[56:57]
.LBB4_2752:                             ;   in Loop: Header=BB4_2476 Depth=2
	s_or_b64 exec, exec, s[20:21]
	v_add_f32_e32 v2, v4, v3
	v_and_b32_sdwa v5, v2, s69 dst_sel:DWORD dst_unused:UNUSED_PAD src0_sel:BYTE_3 src1_sel:DWORD
	v_and_b32_e32 v6, 0x7f800000, v2
	v_mov_b32_e32 v7, v53
	v_and_b32_e32 v52, 0x7fffff, v2
	v_or_b32_e32 v4, 0x7e, v5
	v_cmp_ne_u64_e64 s[18:19], s[38:39], v[6:7]
	s_and_saveexec_b64 s[20:21], s[18:19]
	s_xor_b64 s[56:57], exec, s[20:21]
	s_cbranch_execz .LBB4_2762
; %bb.2753:                             ;   in Loop: Header=BB4_2476 Depth=2
	v_and_b32_e32 v6, 0x7fffffff, v2
	v_mov_b32_e32 v7, v53
	v_cmp_gt_u64_e64 s[18:19], s[40:41], v[6:7]
	s_and_saveexec_b64 s[58:59], s[18:19]
	s_cbranch_execz .LBB4_2761
; %bb.2754:                             ;   in Loop: Header=BB4_2476 Depth=2
	v_cmp_ne_u32_e64 s[18:19], 0, v2
	v_mov_b32_e32 v4, 0
	s_and_saveexec_b64 s[60:61], s[18:19]
	s_cbranch_execz .LBB4_2760
; %bb.2755:                             ;   in Loop: Header=BB4_2476 Depth=2
	v_bfe_u32 v2, v2, 23, 8
	v_sub_u32_e32 v4, 0x79, v2
	v_cmp_gt_u32_e64 s[18:19], s72, v2
	v_add_u32_e32 v3, 0xffffff81, v2
	v_cndmask_b32_e64 v4, 0, v4, s[18:19]
	v_cmp_eq_u32_e64 s[18:19], 0, v2
	v_mov_b32_e32 v2, 0xffffff82
	v_cndmask_b32_e64 v10, v3, v2, s[18:19]
	v_mov_b32_e32 v2, 0x78
	v_or_b32_e32 v6, 0x800000, v52
	v_cndmask_b32_e64 v4, v4, v2, s[18:19]
	v_cndmask_b32_e64 v52, v6, v52, s[18:19]
	v_add_u32_e32 v2, 20, v4
	v_lshlrev_b64 v[2:3], v2, -1
	v_lshrrev_b64 v[8:9], v4, v[52:53]
	v_not_b32_e32 v3, v3
	v_not_b32_e32 v2, v2
	v_add_u32_e32 v6, 19, v4
	v_lshrrev_b32_e32 v48, 23, v8
	v_and_b32_e32 v3, 0, v3
	v_and_b32_e32 v2, v52, v2
	v_lshlrev_b64 v[6:7], v6, 1
	v_add3_u32 v48, v4, v10, v48
	v_bfe_u32 v4, v8, 20, 1
	v_add_u32_e32 v4, -1, v4
	v_cmp_eq_u64_e64 s[18:19], v[2:3], v[6:7]
	v_cndmask_b32_e64 v2, 0, v4, s[18:19]
	v_add_u32_e32 v2, v2, v8
	v_and_b32_e32 v2, 0xfffff, v2
	v_add_co_u32_e64 v2, s[18:19], v2, v8
	v_add_u32_e32 v10, 6, v48
	v_addc_co_u32_e64 v3, s[18:19], 0, v9, s[18:19]
	v_cmp_ne_u32_e64 s[18:19], 0, v10
                                        ; implicit-def: $vgpr4
	s_and_saveexec_b64 s[20:21], s[18:19]
	s_xor_b64 s[20:21], exec, s[20:21]
; %bb.2756:                             ;   in Loop: Header=BB4_2476 Depth=2
	v_cmp_lt_u64_e64 s[18:19], s[44:45], v[2:3]
	v_add_u32_e32 v4, 7, v48
	v_cndmask_b32_e64 v6, 0, 1, s[18:19]
	v_cndmask_b32_e64 v4, v10, v4, s[18:19]
	v_lshrrev_b64 v[2:3], v6, v[2:3]
; %bb.2757:                             ;   in Loop: Header=BB4_2476 Depth=2
	s_andn2_saveexec_b64 s[18:19], s[20:21]
; %bb.2758:                             ;   in Loop: Header=BB4_2476 Depth=2
	v_bfe_u32 v4, v2, 23, 1
; %bb.2759:                             ;   in Loop: Header=BB4_2476 Depth=2
	s_or_b64 exec, exec, s[18:19]
	v_lshrrev_b64 v[2:3], 20, v[2:3]
	v_cmp_gt_i32_e64 s[18:19], 16, v4
	v_cndmask_b32_e64 v3, 0, v3, s[18:19]
	v_cndmask_b32_e64 v2, 7, v2, s[18:19]
	v_cmp_eq_u64_e64 s[20:21], 0, v[2:3]
	v_min_i32_e32 v3, 15, v4
	v_cmp_eq_u32_e64 s[18:19], 0, v4
	v_lshlrev_b32_e32 v3, 3, v3
	v_and_or_b32 v2, v2, 7, v3
	s_and_b64 s[18:19], s[18:19], s[20:21]
	v_cndmask_b32_e64 v2, v2, 0, s[18:19]
	v_or_b32_e32 v4, v2, v5
.LBB4_2760:                             ;   in Loop: Header=BB4_2476 Depth=2
	s_or_b64 exec, exec, s[60:61]
.LBB4_2761:                             ;   in Loop: Header=BB4_2476 Depth=2
	s_or_b64 exec, exec, s[58:59]
                                        ; implicit-def: $vgpr2
.LBB4_2762:                             ;   in Loop: Header=BB4_2476 Depth=2
	s_andn2_saveexec_b64 s[20:21], s[56:57]
; %bb.2763:                             ;   in Loop: Header=BB4_2476 Depth=2
	v_or_b32_sdwa v2, v2, s71 dst_sel:DWORD dst_unused:UNUSED_PAD src0_sel:BYTE_3 src1_sel:DWORD
	v_cmp_eq_u64_e64 s[18:19], 0, v[52:53]
	v_cndmask_b32_e64 v4, v2, v4, s[18:19]
; %bb.2764:                             ;   in Loop: Header=BB4_2476 Depth=2
	s_or_b64 exec, exec, s[20:21]
	v_mov_b32_e32 v52, v17
	v_cmp_ne_u16_sdwa s[18:19], v17, v53 src0_sel:BYTE_0 src1_sel:DWORD
	v_mov_b32_e32 v3, 0
	v_mov_b32_e32 v2, 0
	s_and_saveexec_b64 s[20:21], s[18:19]
	s_cbranch_execz .LBB4_2770
; %bb.2765:                             ;   in Loop: Header=BB4_2476 Depth=2
	v_cmp_ne_u16_sdwa s[18:19], v17, s69 src0_sel:BYTE_0 src1_sel:DWORD
	v_bfrev_b32_e32 v2, 1
	s_and_saveexec_b64 s[56:57], s[18:19]
	s_cbranch_execz .LBB4_2769
; %bb.2766:                             ;   in Loop: Header=BB4_2476 Depth=2
	v_and_b32_e32 v5, 0x7f, v17
	v_cmp_ne_u32_e64 s[18:19], s71, v5
	v_mov_b32_e32 v2, 0x7f800001
	s_and_saveexec_b64 s[58:59], s[18:19]
	s_cbranch_execz .LBB4_2768
; %bb.2767:                             ;   in Loop: Header=BB4_2476 Depth=2
	v_and_b32_e32 v2, 7, v17
	v_ffbh_u32_e32 v2, v2
	v_min_u32_e32 v2, 32, v2
	v_subrev_u32_e32 v7, 28, v2
	v_cmp_gt_u32_e64 s[18:19], 8, v5
	v_lshrrev_b32_e32 v6, 3, v5
	v_sub_u32_e32 v2, 29, v2
	v_cndmask_b32_e64 v5, 0, v7, s[18:19]
	v_cndmask_b32_e64 v2, v6, v2, s[18:19]
	v_lshlrev_b64 v[6:7], v5, v[52:53]
	v_lshlrev_b32_e32 v5, 20, v6
	v_lshlrev_b32_e32 v6, 24, v52
	v_and_b32_e32 v5, 0x700000, v5
	v_and_b32_e32 v6, 0x80000000, v6
	v_lshl_add_u32 v2, v2, 23, v27
	v_or3_b32 v2, v6, v2, v5
.LBB4_2768:                             ;   in Loop: Header=BB4_2476 Depth=2
	s_or_b64 exec, exec, s[58:59]
.LBB4_2769:                             ;   in Loop: Header=BB4_2476 Depth=2
	s_or_b64 exec, exec, s[56:57]
.LBB4_2770:                             ;   in Loop: Header=BB4_2476 Depth=2
	s_or_b64 exec, exec, s[20:21]
	v_cmp_ne_u16_sdwa s[18:19], v13, v53 src0_sel:BYTE_0 src1_sel:DWORD
	s_and_saveexec_b64 s[20:21], s[18:19]
	s_cbranch_execz .LBB4_2776
; %bb.2771:                             ;   in Loop: Header=BB4_2476 Depth=2
	v_cmp_ne_u16_sdwa s[18:19], v13, s69 src0_sel:BYTE_0 src1_sel:DWORD
	v_bfrev_b32_e32 v3, 1
	s_and_saveexec_b64 s[56:57], s[18:19]
	s_cbranch_execz .LBB4_2775
; %bb.2772:                             ;   in Loop: Header=BB4_2476 Depth=2
	v_and_b32_e32 v5, 0x7f, v13
	v_cmp_ne_u32_e64 s[18:19], s71, v5
	v_mov_b32_e32 v3, 0x7f800001
	s_and_saveexec_b64 s[58:59], s[18:19]
	s_cbranch_execz .LBB4_2774
; %bb.2773:                             ;   in Loop: Header=BB4_2476 Depth=2
	v_and_b32_e32 v3, 7, v13
	v_ffbh_u32_e32 v3, v3
	v_min_u32_e32 v3, 32, v3
	v_subrev_u32_e32 v9, 28, v3
	v_cmp_gt_u32_e64 s[18:19], 8, v5
	v_mov_b32_e32 v6, v13
	v_mov_b32_e32 v7, v53
	v_lshrrev_b32_e32 v8, 3, v5
	v_sub_u32_e32 v3, 29, v3
	v_cndmask_b32_e64 v5, 0, v9, s[18:19]
	v_cndmask_b32_e64 v3, v8, v3, s[18:19]
	v_lshlrev_b64 v[8:9], v5, v[6:7]
	v_lshlrev_b32_e32 v5, 20, v8
	v_lshlrev_b32_e32 v6, 24, v6
	v_and_b32_e32 v5, 0x700000, v5
	v_and_b32_e32 v6, 0x80000000, v6
	v_lshl_add_u32 v3, v3, 23, v27
	v_or3_b32 v3, v6, v3, v5
.LBB4_2774:                             ;   in Loop: Header=BB4_2476 Depth=2
	s_or_b64 exec, exec, s[58:59]
.LBB4_2775:                             ;   in Loop: Header=BB4_2476 Depth=2
	s_or_b64 exec, exec, s[56:57]
.LBB4_2776:                             ;   in Loop: Header=BB4_2476 Depth=2
	s_or_b64 exec, exec, s[20:21]
	v_add_f32_e32 v48, v2, v3
	v_and_b32_sdwa v10, v48, s69 dst_sel:DWORD dst_unused:UNUSED_PAD src0_sel:BYTE_3 src1_sel:DWORD
	v_and_b32_e32 v6, 0x7f800000, v48
	v_mov_b32_e32 v7, v53
	v_and_b32_e32 v2, 0x7fffff, v48
	v_mov_b32_e32 v3, v53
	v_or_b32_e32 v5, 0x7e, v10
	v_cmp_ne_u64_e64 s[18:19], s[38:39], v[6:7]
	s_and_saveexec_b64 s[20:21], s[18:19]
	s_xor_b64 s[56:57], exec, s[20:21]
	s_cbranch_execz .LBB4_2786
; %bb.2777:                             ;   in Loop: Header=BB4_2476 Depth=2
	v_and_b32_e32 v6, 0x7fffffff, v48
	v_mov_b32_e32 v7, v53
	v_cmp_gt_u64_e64 s[18:19], s[40:41], v[6:7]
	s_and_saveexec_b64 s[58:59], s[18:19]
	s_cbranch_execz .LBB4_2785
; %bb.2778:                             ;   in Loop: Header=BB4_2476 Depth=2
	v_cmp_ne_u32_e64 s[18:19], 0, v48
	v_mov_b32_e32 v5, 0
	s_and_saveexec_b64 s[60:61], s[18:19]
	s_cbranch_execz .LBB4_2784
; %bb.2779:                             ;   in Loop: Header=BB4_2476 Depth=2
	v_bfe_u32 v5, v48, 23, 8
	v_sub_u32_e32 v7, 0x79, v5
	v_cmp_gt_u32_e64 s[18:19], s72, v5
	v_add_u32_e32 v6, 0xffffff81, v5
	v_cndmask_b32_e64 v7, 0, v7, s[18:19]
	v_cmp_eq_u32_e64 s[18:19], 0, v5
	v_mov_b32_e32 v5, 0xffffff82
	v_cndmask_b32_e64 v5, v6, v5, s[18:19]
	v_mov_b32_e32 v6, 0x78
	v_cndmask_b32_e64 v48, v7, v6, s[18:19]
	v_add_u32_e32 v6, 20, v48
	v_or_b32_e32 v8, 0x800000, v2
	v_lshlrev_b64 v[6:7], v6, -1
	v_cndmask_b32_e64 v2, v8, v2, s[18:19]
	v_not_b32_e32 v6, v6
	v_and_b32_e32 v6, v2, v6
	v_lshrrev_b64 v[2:3], v48, v[2:3]
	v_not_b32_e32 v7, v7
	v_add_u32_e32 v8, 19, v48
	v_lshrrev_b32_e32 v49, 23, v2
	v_and_b32_e32 v7, 0, v7
	v_lshlrev_b64 v[8:9], v8, 1
	v_add3_u32 v49, v48, v5, v49
	v_bfe_u32 v5, v2, 20, 1
	v_add_u32_e32 v5, -1, v5
	v_cmp_eq_u64_e64 s[18:19], v[6:7], v[8:9]
	v_cndmask_b32_e64 v5, 0, v5, s[18:19]
	v_add_u32_e32 v5, v5, v2
	v_and_b32_e32 v5, 0xfffff, v5
	v_add_co_u32_e64 v2, s[18:19], v5, v2
	v_add_u32_e32 v48, 6, v49
	v_addc_co_u32_e64 v3, s[18:19], 0, v3, s[18:19]
	v_cmp_ne_u32_e64 s[18:19], 0, v48
                                        ; implicit-def: $vgpr5
	s_and_saveexec_b64 s[20:21], s[18:19]
	s_xor_b64 s[20:21], exec, s[20:21]
; %bb.2780:                             ;   in Loop: Header=BB4_2476 Depth=2
	v_cmp_lt_u64_e64 s[18:19], s[44:45], v[2:3]
	v_add_u32_e32 v5, 7, v49
	v_cndmask_b32_e64 v6, 0, 1, s[18:19]
	v_cndmask_b32_e64 v5, v48, v5, s[18:19]
	v_lshrrev_b64 v[2:3], v6, v[2:3]
; %bb.2781:                             ;   in Loop: Header=BB4_2476 Depth=2
	s_andn2_saveexec_b64 s[18:19], s[20:21]
; %bb.2782:                             ;   in Loop: Header=BB4_2476 Depth=2
	v_bfe_u32 v5, v2, 23, 1
; %bb.2783:                             ;   in Loop: Header=BB4_2476 Depth=2
	s_or_b64 exec, exec, s[18:19]
	v_lshrrev_b64 v[2:3], 20, v[2:3]
	v_cmp_gt_i32_e64 s[18:19], 16, v5
	v_cndmask_b32_e64 v3, 0, v3, s[18:19]
	v_cndmask_b32_e64 v2, 7, v2, s[18:19]
	v_cmp_eq_u64_e64 s[20:21], 0, v[2:3]
	v_min_i32_e32 v3, 15, v5
	v_cmp_eq_u32_e64 s[18:19], 0, v5
	v_lshlrev_b32_e32 v3, 3, v3
	v_and_or_b32 v2, v2, 7, v3
	s_and_b64 s[18:19], s[18:19], s[20:21]
	v_cndmask_b32_e64 v2, v2, 0, s[18:19]
	v_or_b32_e32 v5, v2, v10
.LBB4_2784:                             ;   in Loop: Header=BB4_2476 Depth=2
	s_or_b64 exec, exec, s[60:61]
.LBB4_2785:                             ;   in Loop: Header=BB4_2476 Depth=2
	s_or_b64 exec, exec, s[58:59]
                                        ; implicit-def: $vgpr48
                                        ; implicit-def: $vgpr2_vgpr3
.LBB4_2786:                             ;   in Loop: Header=BB4_2476 Depth=2
	s_andn2_saveexec_b64 s[20:21], s[56:57]
; %bb.2787:                             ;   in Loop: Header=BB4_2476 Depth=2
	v_or_b32_sdwa v6, v48, s71 dst_sel:DWORD dst_unused:UNUSED_PAD src0_sel:BYTE_3 src1_sel:DWORD
	v_cmp_eq_u64_e64 s[18:19], 0, v[2:3]
	v_cndmask_b32_e64 v5, v6, v5, s[18:19]
; %bb.2788:                             ;   in Loop: Header=BB4_2476 Depth=2
	s_or_b64 exec, exec, s[20:21]
	v_lshrrev_b16_e32 v2, 8, v52
	v_cmp_ne_u16_e64 s[18:19], 0, v2
	v_mov_b32_e32 v3, 0
	v_mov_b32_e32 v48, 0
	s_and_saveexec_b64 s[20:21], s[18:19]
	s_cbranch_execz .LBB4_2794
; %bb.2789:                             ;   in Loop: Header=BB4_2476 Depth=2
	v_cmp_ne_u16_e64 s[18:19], s69, v2
	v_bfrev_b32_e32 v48, 1
	s_and_saveexec_b64 s[56:57], s[18:19]
	s_cbranch_execz .LBB4_2793
; %bb.2790:                             ;   in Loop: Header=BB4_2476 Depth=2
	v_and_b32_e32 v10, 0x7f, v2
	v_cmp_ne_u32_e64 s[18:19], s71, v10
	v_mov_b32_e32 v48, 0x7f800001
	s_and_saveexec_b64 s[58:59], s[18:19]
	s_cbranch_execz .LBB4_2792
; %bb.2791:                             ;   in Loop: Header=BB4_2476 Depth=2
	v_and_b32_e32 v8, 7, v2
	v_ffbh_u32_e32 v6, v8
	v_min_u32_e32 v48, 32, v6
	v_subrev_u32_e32 v6, 28, v48
	v_lshlrev_b64 v[6:7], v6, v[2:3]
	v_lshrrev_b32_e32 v9, 3, v10
	v_sub_u32_e32 v2, 29, v48
	v_and_b32_e32 v6, 7, v6
	v_cmp_gt_u32_e64 s[18:19], 8, v10
	v_cndmask_b32_e64 v2, v9, v2, s[18:19]
	v_cndmask_b32_e64 v6, v8, v6, s[18:19]
	v_lshlrev_b32_e32 v7, 16, v52
	v_lshlrev_b32_e32 v6, 20, v6
	v_and_b32_e32 v7, 0x80000000, v7
	v_lshl_add_u32 v2, v2, 23, v27
	v_or3_b32 v48, v7, v2, v6
.LBB4_2792:                             ;   in Loop: Header=BB4_2476 Depth=2
	s_or_b64 exec, exec, s[58:59]
.LBB4_2793:                             ;   in Loop: Header=BB4_2476 Depth=2
	s_or_b64 exec, exec, s[56:57]
.LBB4_2794:                             ;   in Loop: Header=BB4_2476 Depth=2
	s_or_b64 exec, exec, s[20:21]
	v_mov_b32_e32 v2, v13
	v_lshrrev_b16_e32 v10, 8, v2
	v_cmp_ne_u16_e64 s[18:19], 0, v10
	s_and_saveexec_b64 s[20:21], s[18:19]
	s_cbranch_execz .LBB4_2800
; %bb.2795:                             ;   in Loop: Header=BB4_2476 Depth=2
	v_cmp_ne_u16_e64 s[18:19], s69, v10
	v_bfrev_b32_e32 v3, 1
	s_and_saveexec_b64 s[56:57], s[18:19]
	s_cbranch_execz .LBB4_2799
; %bb.2796:                             ;   in Loop: Header=BB4_2476 Depth=2
	v_and_b32_e32 v49, 0x7f, v10
	v_cmp_ne_u32_e64 s[18:19], s71, v49
	v_mov_b32_e32 v3, 0x7f800001
	s_and_saveexec_b64 s[58:59], s[18:19]
	s_cbranch_execz .LBB4_2798
; %bb.2797:                             ;   in Loop: Header=BB4_2476 Depth=2
	v_and_b32_e32 v3, 7, v10
	v_ffbh_u32_e32 v6, v3
	v_min_u32_e32 v9, 32, v6
	v_subrev_u32_e32 v6, 28, v9
	v_lshlrev_b64 v[6:7], v6, v[10:11]
	v_lshrrev_b32_e32 v8, 3, v49
	v_sub_u32_e32 v7, 29, v9
	v_and_b32_e32 v6, 7, v6
	v_cmp_gt_u32_e64 s[18:19], 8, v49
	v_cndmask_b32_e64 v7, v8, v7, s[18:19]
	v_cndmask_b32_e64 v3, v3, v6, s[18:19]
	v_lshlrev_b32_e32 v2, 16, v2
	v_lshlrev_b32_e32 v3, 20, v3
	v_and_b32_e32 v2, 0x80000000, v2
	v_lshl_add_u32 v6, v7, 23, v27
	v_or3_b32 v3, v2, v6, v3
.LBB4_2798:                             ;   in Loop: Header=BB4_2476 Depth=2
	s_or_b64 exec, exec, s[58:59]
.LBB4_2799:                             ;   in Loop: Header=BB4_2476 Depth=2
	s_or_b64 exec, exec, s[56:57]
.LBB4_2800:                             ;   in Loop: Header=BB4_2476 Depth=2
	s_or_b64 exec, exec, s[20:21]
	v_add_f32_e32 v2, v48, v3
	v_and_b32_sdwa v48, v2, s69 dst_sel:DWORD dst_unused:UNUSED_PAD src0_sel:BYTE_3 src1_sel:DWORD
	v_and_b32_e32 v6, 0x7f800000, v2
	v_mov_b32_e32 v7, v53
	v_and_b32_e32 v52, 0x7fffff, v2
	v_or_b32_e32 v10, 0x7e, v48
	v_cmp_ne_u64_e64 s[18:19], s[38:39], v[6:7]
	s_and_saveexec_b64 s[20:21], s[18:19]
	s_xor_b64 s[56:57], exec, s[20:21]
	s_cbranch_execz .LBB4_2810
; %bb.2801:                             ;   in Loop: Header=BB4_2476 Depth=2
	v_and_b32_e32 v6, 0x7fffffff, v2
	v_mov_b32_e32 v7, v53
	v_cmp_gt_u64_e64 s[18:19], s[40:41], v[6:7]
	s_and_saveexec_b64 s[58:59], s[18:19]
	s_cbranch_execz .LBB4_2809
; %bb.2802:                             ;   in Loop: Header=BB4_2476 Depth=2
	v_cmp_ne_u32_e64 s[18:19], 0, v2
	v_mov_b32_e32 v10, 0
	s_and_saveexec_b64 s[60:61], s[18:19]
	s_cbranch_execz .LBB4_2808
; %bb.2803:                             ;   in Loop: Header=BB4_2476 Depth=2
	v_bfe_u32 v2, v2, 23, 8
	v_sub_u32_e32 v6, 0x79, v2
	v_cmp_gt_u32_e64 s[18:19], s72, v2
	v_add_u32_e32 v3, 0xffffff81, v2
	v_cndmask_b32_e64 v6, 0, v6, s[18:19]
	v_cmp_eq_u32_e64 s[18:19], 0, v2
	v_mov_b32_e32 v2, 0xffffff82
	v_cndmask_b32_e64 v10, v3, v2, s[18:19]
	v_mov_b32_e32 v2, 0x78
	v_or_b32_e32 v7, 0x800000, v52
	v_cndmask_b32_e64 v49, v6, v2, s[18:19]
	v_cndmask_b32_e64 v52, v7, v52, s[18:19]
	v_add_u32_e32 v2, 20, v49
	v_lshlrev_b64 v[2:3], v2, -1
	v_lshrrev_b64 v[8:9], v49, v[52:53]
	v_not_b32_e32 v3, v3
	v_not_b32_e32 v2, v2
	v_add_u32_e32 v6, 19, v49
	v_lshrrev_b32_e32 v51, 23, v8
	v_and_b32_e32 v3, 0, v3
	v_and_b32_e32 v2, v52, v2
	v_lshlrev_b64 v[6:7], v6, 1
	v_add3_u32 v51, v49, v10, v51
	v_bfe_u32 v10, v8, 20, 1
	v_add_u32_e32 v10, -1, v10
	v_cmp_eq_u64_e64 s[18:19], v[2:3], v[6:7]
	v_cndmask_b32_e64 v2, 0, v10, s[18:19]
	v_add_u32_e32 v2, v2, v8
	v_and_b32_e32 v2, 0xfffff, v2
	v_add_co_u32_e64 v2, s[18:19], v2, v8
	v_add_u32_e32 v49, 6, v51
	v_addc_co_u32_e64 v3, s[18:19], 0, v9, s[18:19]
	v_cmp_ne_u32_e64 s[18:19], 0, v49
                                        ; implicit-def: $vgpr10
	s_and_saveexec_b64 s[20:21], s[18:19]
	s_xor_b64 s[20:21], exec, s[20:21]
; %bb.2804:                             ;   in Loop: Header=BB4_2476 Depth=2
	v_add_u32_e32 v6, 7, v51
	v_cmp_lt_u64_e64 s[18:19], s[44:45], v[2:3]
	v_cndmask_b32_e64 v10, v49, v6, s[18:19]
	v_cndmask_b32_e64 v6, 0, 1, s[18:19]
	v_lshrrev_b64 v[2:3], v6, v[2:3]
; %bb.2805:                             ;   in Loop: Header=BB4_2476 Depth=2
	s_andn2_saveexec_b64 s[18:19], s[20:21]
; %bb.2806:                             ;   in Loop: Header=BB4_2476 Depth=2
	v_bfe_u32 v10, v2, 23, 1
; %bb.2807:                             ;   in Loop: Header=BB4_2476 Depth=2
	s_or_b64 exec, exec, s[18:19]
	v_lshrrev_b64 v[2:3], 20, v[2:3]
	v_cmp_gt_i32_e64 s[18:19], 16, v10
	v_cndmask_b32_e64 v3, 0, v3, s[18:19]
	v_cndmask_b32_e64 v2, 7, v2, s[18:19]
	v_cmp_eq_u64_e64 s[20:21], 0, v[2:3]
	v_min_i32_e32 v3, 15, v10
	v_cmp_eq_u32_e64 s[18:19], 0, v10
	v_lshlrev_b32_e32 v3, 3, v3
	v_and_or_b32 v2, v2, 7, v3
	s_and_b64 s[18:19], s[18:19], s[20:21]
	v_cndmask_b32_e64 v2, v2, 0, s[18:19]
	v_or_b32_e32 v10, v2, v48
.LBB4_2808:                             ;   in Loop: Header=BB4_2476 Depth=2
	s_or_b64 exec, exec, s[60:61]
.LBB4_2809:                             ;   in Loop: Header=BB4_2476 Depth=2
	s_or_b64 exec, exec, s[58:59]
                                        ; implicit-def: $vgpr2
.LBB4_2810:                             ;   in Loop: Header=BB4_2476 Depth=2
	s_andn2_saveexec_b64 s[20:21], s[56:57]
; %bb.2811:                             ;   in Loop: Header=BB4_2476 Depth=2
	v_or_b32_sdwa v2, v2, s71 dst_sel:DWORD dst_unused:UNUSED_PAD src0_sel:BYTE_3 src1_sel:DWORD
	v_cmp_eq_u64_e64 s[18:19], 0, v[52:53]
	v_cndmask_b32_e64 v10, v2, v10, s[18:19]
; %bb.2812:                             ;   in Loop: Header=BB4_2476 Depth=2
	s_or_b64 exec, exec, s[20:21]
	v_lshrrev_b32_e32 v2, 16, v17
	v_cmp_ne_u16_sdwa s[18:19], v2, v53 src0_sel:BYTE_0 src1_sel:DWORD
	v_mov_b32_e32 v3, 0
	v_mov_b32_e32 v48, 0
	s_and_saveexec_b64 s[20:21], s[18:19]
	s_cbranch_execz .LBB4_2818
; %bb.2813:                             ;   in Loop: Header=BB4_2476 Depth=2
	v_cmp_ne_u16_sdwa s[18:19], v2, s69 src0_sel:BYTE_0 src1_sel:DWORD
	v_bfrev_b32_e32 v48, 1
	s_and_saveexec_b64 s[56:57], s[18:19]
	s_cbranch_execz .LBB4_2817
; %bb.2814:                             ;   in Loop: Header=BB4_2476 Depth=2
	v_bfe_u32 v49, v17, 16, 7
	v_cmp_ne_u32_e64 s[18:19], s71, v49
	v_mov_b32_e32 v48, 0x7f800001
	s_and_saveexec_b64 s[58:59], s[18:19]
	s_cbranch_execz .LBB4_2816
; %bb.2815:                             ;   in Loop: Header=BB4_2476 Depth=2
	v_and_b32_e32 v8, 7, v2
	v_ffbh_u32_e32 v6, v8
	v_min_u32_e32 v48, 32, v6
	v_subrev_u32_e32 v6, 28, v48
	v_lshlrev_b64 v[6:7], v6, v[2:3]
	v_lshrrev_b32_e32 v9, 3, v49
	v_sub_u32_e32 v7, 29, v48
	v_and_b32_e32 v6, 7, v6
	v_cmp_gt_u32_e64 s[18:19], 8, v49
	v_cndmask_b32_e64 v7, v9, v7, s[18:19]
	v_cndmask_b32_e64 v6, v8, v6, s[18:19]
	v_lshlrev_b32_e32 v2, 24, v2
	v_lshlrev_b32_e32 v6, 20, v6
	v_and_b32_e32 v2, 0x80000000, v2
	v_lshl_add_u32 v7, v7, 23, v27
	v_or3_b32 v48, v2, v7, v6
.LBB4_2816:                             ;   in Loop: Header=BB4_2476 Depth=2
	s_or_b64 exec, exec, s[58:59]
.LBB4_2817:                             ;   in Loop: Header=BB4_2476 Depth=2
	s_or_b64 exec, exec, s[56:57]
.LBB4_2818:                             ;   in Loop: Header=BB4_2476 Depth=2
	s_or_b64 exec, exec, s[20:21]
	v_lshrrev_b32_e32 v2, 16, v13
	v_cmp_ne_u16_sdwa s[18:19], v2, v53 src0_sel:BYTE_0 src1_sel:DWORD
	s_and_saveexec_b64 s[20:21], s[18:19]
	s_cbranch_execz .LBB4_2824
; %bb.2819:                             ;   in Loop: Header=BB4_2476 Depth=2
	v_cmp_ne_u16_sdwa s[18:19], v2, s69 src0_sel:BYTE_0 src1_sel:DWORD
	v_bfrev_b32_e32 v3, 1
	s_and_saveexec_b64 s[56:57], s[18:19]
	s_cbranch_execz .LBB4_2823
; %bb.2820:                             ;   in Loop: Header=BB4_2476 Depth=2
	v_bfe_u32 v49, v13, 16, 7
	v_cmp_ne_u32_e64 s[18:19], s71, v49
	v_mov_b32_e32 v3, 0x7f800001
	s_and_saveexec_b64 s[58:59], s[18:19]
	s_cbranch_execz .LBB4_2822
; %bb.2821:                             ;   in Loop: Header=BB4_2476 Depth=2
	v_and_b32_e32 v6, 7, v2
	v_ffbh_u32_e32 v3, v6
	v_min_u32_e32 v8, 32, v3
	v_subrev_u32_e32 v3, 28, v8
	v_lshlrev_b64 v[2:3], v3, v[2:3]
	v_lshrrev_b32_e32 v7, 3, v49
	v_sub_u32_e32 v3, 29, v8
	v_and_b32_e32 v2, 7, v2
	v_cmp_gt_u32_e64 s[18:19], 8, v49
	v_cndmask_b32_e64 v3, v7, v3, s[18:19]
	v_cndmask_b32_e64 v2, v6, v2, s[18:19]
	v_lshlrev_b32_e32 v6, 8, v13
	v_lshlrev_b32_e32 v2, 20, v2
	v_and_b32_e32 v6, 0x80000000, v6
	v_lshl_add_u32 v3, v3, 23, v27
	v_or3_b32 v3, v6, v3, v2
.LBB4_2822:                             ;   in Loop: Header=BB4_2476 Depth=2
	s_or_b64 exec, exec, s[58:59]
.LBB4_2823:                             ;   in Loop: Header=BB4_2476 Depth=2
	s_or_b64 exec, exec, s[56:57]
.LBB4_2824:                             ;   in Loop: Header=BB4_2476 Depth=2
	s_or_b64 exec, exec, s[20:21]
	v_add_f32_e32 v2, v48, v3
	v_and_b32_sdwa v49, v2, s69 dst_sel:DWORD dst_unused:UNUSED_PAD src0_sel:BYTE_3 src1_sel:DWORD
	v_and_b32_e32 v6, 0x7f800000, v2
	v_mov_b32_e32 v7, v53
	v_and_b32_e32 v52, 0x7fffff, v2
	v_or_b32_e32 v48, 0x7e, v49
	v_cmp_ne_u64_e64 s[18:19], s[38:39], v[6:7]
	s_and_saveexec_b64 s[20:21], s[18:19]
	s_xor_b64 s[56:57], exec, s[20:21]
	s_cbranch_execz .LBB4_2834
; %bb.2825:                             ;   in Loop: Header=BB4_2476 Depth=2
	v_and_b32_e32 v6, 0x7fffffff, v2
	v_mov_b32_e32 v7, v53
	v_cmp_gt_u64_e64 s[18:19], s[40:41], v[6:7]
	s_and_saveexec_b64 s[58:59], s[18:19]
	s_cbranch_execz .LBB4_2833
; %bb.2826:                             ;   in Loop: Header=BB4_2476 Depth=2
	v_cmp_ne_u32_e64 s[18:19], 0, v2
	v_mov_b32_e32 v48, 0
	s_and_saveexec_b64 s[60:61], s[18:19]
	s_cbranch_execz .LBB4_2832
; %bb.2827:                             ;   in Loop: Header=BB4_2476 Depth=2
	v_bfe_u32 v2, v2, 23, 8
	v_sub_u32_e32 v6, 0x79, v2
	v_cmp_gt_u32_e64 s[18:19], s72, v2
	v_add_u32_e32 v3, 0xffffff81, v2
	v_cndmask_b32_e64 v6, 0, v6, s[18:19]
	v_cmp_eq_u32_e64 s[18:19], 0, v2
	v_mov_b32_e32 v2, 0xffffff82
	v_cndmask_b32_e64 v48, v3, v2, s[18:19]
	v_mov_b32_e32 v2, 0x78
	v_cndmask_b32_e64 v51, v6, v2, s[18:19]
	v_or_b32_e32 v7, 0x800000, v52
	v_add_u32_e32 v2, 20, v51
	v_cndmask_b32_e64 v52, v7, v52, s[18:19]
	v_lshlrev_b64 v[2:3], v2, -1
	v_not_b32_e32 v2, v2
	v_lshrrev_b64 v[8:9], v51, v[52:53]
	v_not_b32_e32 v3, v3
	v_and_b32_e32 v2, v52, v2
	v_add_u32_e32 v6, 19, v51
	v_lshrrev_b32_e32 v52, 23, v8
	v_and_b32_e32 v3, 0, v3
	v_lshlrev_b64 v[6:7], v6, 1
	v_add3_u32 v52, v51, v48, v52
	v_bfe_u32 v48, v8, 20, 1
	v_add_u32_e32 v48, -1, v48
	v_cmp_eq_u64_e64 s[18:19], v[2:3], v[6:7]
	v_cndmask_b32_e64 v2, 0, v48, s[18:19]
	v_add_u32_e32 v2, v2, v8
	v_and_b32_e32 v2, 0xfffff, v2
	v_add_co_u32_e64 v2, s[18:19], v2, v8
	v_add_u32_e32 v51, 6, v52
	v_addc_co_u32_e64 v3, s[18:19], 0, v9, s[18:19]
	v_cmp_ne_u32_e64 s[18:19], 0, v51
                                        ; implicit-def: $vgpr48
	s_and_saveexec_b64 s[20:21], s[18:19]
	s_xor_b64 s[20:21], exec, s[20:21]
; %bb.2828:                             ;   in Loop: Header=BB4_2476 Depth=2
	v_add_u32_e32 v6, 7, v52
	v_cmp_lt_u64_e64 s[18:19], s[44:45], v[2:3]
	v_cndmask_b32_e64 v48, v51, v6, s[18:19]
	v_cndmask_b32_e64 v6, 0, 1, s[18:19]
	v_lshrrev_b64 v[2:3], v6, v[2:3]
; %bb.2829:                             ;   in Loop: Header=BB4_2476 Depth=2
	s_andn2_saveexec_b64 s[18:19], s[20:21]
; %bb.2830:                             ;   in Loop: Header=BB4_2476 Depth=2
	v_bfe_u32 v48, v2, 23, 1
; %bb.2831:                             ;   in Loop: Header=BB4_2476 Depth=2
	s_or_b64 exec, exec, s[18:19]
	v_lshrrev_b64 v[2:3], 20, v[2:3]
	v_cmp_gt_i32_e64 s[18:19], 16, v48
	v_cndmask_b32_e64 v3, 0, v3, s[18:19]
	v_cndmask_b32_e64 v2, 7, v2, s[18:19]
	v_cmp_eq_u64_e64 s[20:21], 0, v[2:3]
	v_min_i32_e32 v3, 15, v48
	v_lshlrev_b32_e32 v3, 3, v3
	v_cmp_eq_u32_e64 s[18:19], 0, v48
	v_and_b32_e32 v3, 0xf8, v3
	v_and_or_b32 v2, v2, 7, v3
	s_and_b64 s[18:19], s[18:19], s[20:21]
	v_cndmask_b32_e64 v2, v2, 0, s[18:19]
	v_or_b32_e32 v48, v2, v49
.LBB4_2832:                             ;   in Loop: Header=BB4_2476 Depth=2
	s_or_b64 exec, exec, s[60:61]
.LBB4_2833:                             ;   in Loop: Header=BB4_2476 Depth=2
	s_or_b64 exec, exec, s[58:59]
                                        ; implicit-def: $vgpr2
.LBB4_2834:                             ;   in Loop: Header=BB4_2476 Depth=2
	s_andn2_saveexec_b64 s[20:21], s[56:57]
; %bb.2835:                             ;   in Loop: Header=BB4_2476 Depth=2
	v_or_b32_sdwa v2, v2, s71 dst_sel:DWORD dst_unused:UNUSED_PAD src0_sel:BYTE_3 src1_sel:DWORD
	v_cmp_eq_u64_e64 s[18:19], 0, v[52:53]
	v_cndmask_b32_e64 v48, v2, v48, s[18:19]
; %bb.2836:                             ;   in Loop: Header=BB4_2476 Depth=2
	s_or_b64 exec, exec, s[20:21]
	v_cmp_lt_u64_e64 s[18:19], s[42:43], v[16:17]
	v_mov_b32_e32 v3, 0
	v_mov_b32_e32 v16, 0
	s_and_saveexec_b64 s[20:21], s[18:19]
	s_cbranch_execz .LBB4_2842
; %bb.2837:                             ;   in Loop: Header=BB4_2476 Depth=2
	v_lshrrev_b32_e32 v2, 24, v17
	v_cmp_ne_u32_e64 s[18:19], s69, v2
	v_bfrev_b32_e32 v16, 1
	s_and_saveexec_b64 s[56:57], s[18:19]
	s_cbranch_execz .LBB4_2841
; %bb.2838:                             ;   in Loop: Header=BB4_2476 Depth=2
	v_bfe_u32 v17, v17, 24, 7
	v_cmp_ne_u32_e64 s[18:19], s71, v17
	v_mov_b32_e32 v16, 0x7f800001
	s_and_saveexec_b64 s[58:59], s[18:19]
	s_cbranch_execz .LBB4_2840
; %bb.2839:                             ;   in Loop: Header=BB4_2476 Depth=2
	v_and_b32_e32 v8, 7, v2
	v_ffbh_u32_e32 v6, v8
	v_min_u32_e32 v16, 32, v6
	v_subrev_u32_e32 v6, 28, v16
	v_lshlrev_b64 v[6:7], v6, v[2:3]
	v_lshrrev_b32_e32 v9, 3, v17
	v_sub_u32_e32 v7, 29, v16
	v_and_b32_e32 v6, 7, v6
	v_cmp_gt_u32_e64 s[18:19], 8, v17
	v_cndmask_b32_e64 v7, v9, v7, s[18:19]
	v_cndmask_b32_e64 v6, v8, v6, s[18:19]
	v_lshlrev_b32_e32 v2, 24, v2
	v_lshlrev_b32_e32 v6, 20, v6
	v_and_b32_e32 v2, 0x80000000, v2
	v_lshl_add_u32 v7, v7, 23, v27
	v_or3_b32 v16, v2, v7, v6
.LBB4_2840:                             ;   in Loop: Header=BB4_2476 Depth=2
	s_or_b64 exec, exec, s[58:59]
.LBB4_2841:                             ;   in Loop: Header=BB4_2476 Depth=2
	s_or_b64 exec, exec, s[56:57]
.LBB4_2842:                             ;   in Loop: Header=BB4_2476 Depth=2
	s_or_b64 exec, exec, s[20:21]
	v_cmp_lt_u64_e64 s[18:19], s[42:43], v[12:13]
	s_and_saveexec_b64 s[20:21], s[18:19]
	s_cbranch_execz .LBB4_2848
; %bb.2843:                             ;   in Loop: Header=BB4_2476 Depth=2
	v_lshrrev_b32_e32 v2, 24, v13
	v_cmp_ne_u32_e64 s[18:19], s69, v2
	v_bfrev_b32_e32 v3, 1
	s_and_saveexec_b64 s[56:57], s[18:19]
	s_cbranch_execz .LBB4_2847
; %bb.2844:                             ;   in Loop: Header=BB4_2476 Depth=2
	v_bfe_u32 v12, v13, 24, 7
	v_cmp_ne_u32_e64 s[18:19], s71, v12
	v_mov_b32_e32 v3, 0x7f800001
	s_and_saveexec_b64 s[58:59], s[18:19]
	s_cbranch_execz .LBB4_2846
; %bb.2845:                             ;   in Loop: Header=BB4_2476 Depth=2
	v_and_b32_e32 v3, 7, v2
	v_ffbh_u32_e32 v6, v3
	v_min_u32_e32 v9, 32, v6
	v_subrev_u32_e32 v6, 28, v9
	v_lshlrev_b64 v[6:7], v6, v[2:3]
	v_lshrrev_b32_e32 v8, 3, v12
	v_sub_u32_e32 v7, 29, v9
	v_and_b32_e32 v6, 7, v6
	v_cmp_gt_u32_e64 s[18:19], 8, v12
	v_cndmask_b32_e64 v7, v8, v7, s[18:19]
	v_cndmask_b32_e64 v3, v3, v6, s[18:19]
	v_lshlrev_b32_e32 v2, 24, v2
	v_lshlrev_b32_e32 v3, 20, v3
	v_and_b32_e32 v2, 0x80000000, v2
	v_lshl_add_u32 v6, v7, 23, v27
	v_or3_b32 v3, v2, v6, v3
.LBB4_2846:                             ;   in Loop: Header=BB4_2476 Depth=2
	s_or_b64 exec, exec, s[58:59]
.LBB4_2847:                             ;   in Loop: Header=BB4_2476 Depth=2
	s_or_b64 exec, exec, s[56:57]
.LBB4_2848:                             ;   in Loop: Header=BB4_2476 Depth=2
	s_or_b64 exec, exec, s[20:21]
	v_add_f32_e32 v3, v16, v3
	v_and_b32_sdwa v12, v3, s69 dst_sel:DWORD dst_unused:UNUSED_PAD src0_sel:BYTE_3 src1_sel:DWORD
	v_and_b32_e32 v6, 0x7f800000, v3
	v_mov_b32_e32 v7, v53
	v_and_b32_e32 v52, 0x7fffff, v3
	v_or_b32_e32 v2, 0x7e, v12
	v_cmp_ne_u64_e64 s[18:19], s[38:39], v[6:7]
	s_and_saveexec_b64 s[20:21], s[18:19]
	s_xor_b64 s[56:57], exec, s[20:21]
	s_cbranch_execz .LBB4_2858
; %bb.2849:                             ;   in Loop: Header=BB4_2476 Depth=2
	v_and_b32_e32 v6, 0x7fffffff, v3
	v_mov_b32_e32 v7, v53
	v_cmp_gt_u64_e64 s[18:19], s[40:41], v[6:7]
	s_and_saveexec_b64 s[58:59], s[18:19]
	s_cbranch_execz .LBB4_2857
; %bb.2850:                             ;   in Loop: Header=BB4_2476 Depth=2
	v_cmp_ne_u32_e64 s[18:19], 0, v3
	v_mov_b32_e32 v2, 0
	s_and_saveexec_b64 s[60:61], s[18:19]
	s_cbranch_execz .LBB4_2856
; %bb.2851:                             ;   in Loop: Header=BB4_2476 Depth=2
	v_bfe_u32 v2, v3, 23, 8
	v_sub_u32_e32 v6, 0x79, v2
	v_cmp_gt_u32_e64 s[18:19], s72, v2
	v_add_u32_e32 v3, 0xffffff81, v2
	v_cndmask_b32_e64 v6, 0, v6, s[18:19]
	v_cmp_eq_u32_e64 s[18:19], 0, v2
	v_mov_b32_e32 v2, 0xffffff82
	v_cndmask_b32_e64 v13, v3, v2, s[18:19]
	v_mov_b32_e32 v2, 0x78
	v_or_b32_e32 v7, 0x800000, v52
	v_cndmask_b32_e64 v16, v6, v2, s[18:19]
	v_cndmask_b32_e64 v52, v7, v52, s[18:19]
	v_add_u32_e32 v2, 20, v16
	v_lshlrev_b64 v[2:3], v2, -1
	v_lshrrev_b64 v[8:9], v16, v[52:53]
	v_not_b32_e32 v3, v3
	v_not_b32_e32 v2, v2
	v_add_u32_e32 v6, 19, v16
	v_lshrrev_b32_e32 v17, 23, v8
	v_and_b32_e32 v3, 0, v3
	v_and_b32_e32 v2, v52, v2
	v_lshlrev_b64 v[6:7], v6, 1
	v_add3_u32 v17, v16, v13, v17
	v_bfe_u32 v13, v8, 20, 1
	v_add_u32_e32 v13, -1, v13
	v_cmp_eq_u64_e64 s[18:19], v[2:3], v[6:7]
	v_cndmask_b32_e64 v2, 0, v13, s[18:19]
	v_add_u32_e32 v2, v2, v8
	v_and_b32_e32 v2, 0xfffff, v2
	v_add_co_u32_e64 v2, s[18:19], v2, v8
	v_add_u32_e32 v16, 6, v17
	v_addc_co_u32_e64 v3, s[18:19], 0, v9, s[18:19]
	v_cmp_ne_u32_e64 s[18:19], 0, v16
                                        ; implicit-def: $vgpr13
	s_and_saveexec_b64 s[20:21], s[18:19]
	s_xor_b64 s[20:21], exec, s[20:21]
; %bb.2852:                             ;   in Loop: Header=BB4_2476 Depth=2
	v_add_u32_e32 v6, 7, v17
	v_cmp_lt_u64_e64 s[18:19], s[44:45], v[2:3]
	v_cndmask_b32_e64 v13, v16, v6, s[18:19]
	v_cndmask_b32_e64 v6, 0, 1, s[18:19]
	v_lshrrev_b64 v[2:3], v6, v[2:3]
; %bb.2853:                             ;   in Loop: Header=BB4_2476 Depth=2
	s_andn2_saveexec_b64 s[18:19], s[20:21]
; %bb.2854:                             ;   in Loop: Header=BB4_2476 Depth=2
	v_bfe_u32 v13, v2, 23, 1
; %bb.2855:                             ;   in Loop: Header=BB4_2476 Depth=2
	s_or_b64 exec, exec, s[18:19]
	v_lshrrev_b64 v[2:3], 20, v[2:3]
	v_cmp_gt_i32_e64 s[18:19], 16, v13
	v_cndmask_b32_e64 v3, 0, v3, s[18:19]
	v_cndmask_b32_e64 v2, 7, v2, s[18:19]
	v_cmp_eq_u64_e64 s[20:21], 0, v[2:3]
	v_min_i32_e32 v3, 15, v13
	v_lshlrev_b32_e32 v3, 3, v3
	v_cmp_eq_u32_e64 s[18:19], 0, v13
	v_and_b32_e32 v3, 0xf8, v3
	v_and_or_b32 v2, v2, 7, v3
	s_and_b64 s[18:19], s[18:19], s[20:21]
	v_cndmask_b32_e64 v2, v2, 0, s[18:19]
	v_or_b32_e32 v2, v2, v12
.LBB4_2856:                             ;   in Loop: Header=BB4_2476 Depth=2
	s_or_b64 exec, exec, s[60:61]
.LBB4_2857:                             ;   in Loop: Header=BB4_2476 Depth=2
	s_or_b64 exec, exec, s[58:59]
                                        ; implicit-def: $vgpr3
.LBB4_2858:                             ;   in Loop: Header=BB4_2476 Depth=2
	s_andn2_saveexec_b64 s[20:21], s[56:57]
	s_cbranch_execz .LBB4_2475
; %bb.2859:                             ;   in Loop: Header=BB4_2476 Depth=2
	v_or_b32_sdwa v3, v3, s71 dst_sel:DWORD dst_unused:UNUSED_PAD src0_sel:BYTE_3 src1_sel:DWORD
	v_cmp_eq_u64_e64 s[18:19], 0, v[52:53]
	v_cndmask_b32_e64 v2, v3, v2, s[18:19]
	s_branch .LBB4_2475
.LBB4_2860:                             ;   in Loop: Header=BB4_1630 Depth=1
	s_or_b64 exec, exec, s[54:55]
.LBB4_2861:                             ;   in Loop: Header=BB4_1630 Depth=1
	s_or_b64 exec, exec, s[52:53]
	v_and_b32_e32 v3, 15, v41
	v_cndmask_b32_e32 v17, v25, v3, vcc
	s_mov_b64 s[20:21], 0
	v_mov_b32_e32 v16, 0
	v_cmp_ne_u32_e64 s[18:19], 0, v17
                                        ; implicit-def: $vgpr18
                                        ; implicit-def: $vgpr2
	s_mov_b64 s[52:53], exec
	s_and_b64 s[18:19], s[52:53], s[18:19]
	v_accvgpr_read_b32 v6, a34
	s_mov_b64 exec, s[18:19]
	s_cbranch_execz .LBB4_2863
; %bb.2862:                             ;   in Loop: Header=BB4_1630 Depth=1
	v_sub_u32_e32 v3, v25, v3
	v_and_b32_e32 v2, 0x3ffffc00, v41
	v_cndmask_b32_e32 v3, 0, v3, vcc
	v_add_u32_e32 v16, v3, v2
	v_cmp_lt_i32_e32 vcc, 0, v1
	v_accvgpr_read_b32 v2, a22
	v_cndmask_b32_e32 v2, 0, v2, vcc
	v_sub_u32_e32 v1, v2, v1
	v_lshl_add_u32 v18, v1, 6, v0
	v_ashrrev_i32_e32 v0, 31, v18
	v_lshrrev_b32_e32 v0, 26, v0
	v_add_u32_e32 v0, v18, v0
	s_mov_b64 s[20:21], exec
	v_ashrrev_i32_e32 v2, 6, v0
.LBB4_2863:                             ;   in Loop: Header=BB4_1630 Depth=1
	s_or_b64 exec, exec, s[52:53]
	s_and_b64 s[18:19], s[20:21], exec
.LBB4_2864:                             ;   in Loop: Header=BB4_1630 Depth=1
	s_or_b64 exec, exec, s[50:51]
	s_and_saveexec_b64 s[20:21], s[18:19]
	s_cbranch_execz .LBB4_3125
.LBB4_2865:                             ;   in Loop: Header=BB4_1630 Depth=1
	v_ashrrev_i32_e32 v0, 31, v17
	v_lshrrev_b32_e32 v0, 23, v0
	v_add_u32_e32 v0, v17, v0
	v_ashrrev_i32_e32 v19, 9, v0
	v_sub_u32_e32 v0, v19, v2
	v_ashrrev_i32_e32 v1, 31, v18
	v_cmp_lt_i32_e32 vcc, 0, v0
	v_lshrrev_b32_e32 v1, 26, v1
	s_and_saveexec_b64 s[50:51], vcc
	s_cbranch_execz .LBB4_3093
; %bb.2866:                             ;   in Loop: Header=BB4_1630 Depth=1
	v_add_u32_e32 v3, v18, v1
	v_and_b32_e32 v3, 0xffffffc0, v3
	s_trap 2
	v_sub_u32_e32 v6, v18, v3
	v_lshlrev_b32_e32 v7, 9, v2
	ds_read_b128 v[2:5], v0
	v_add3_u32 v8, v16, v6, v7
	ds_read_b64 v[6:7], v0
	v_ashrrev_i32_e32 v9, 31, v8
	s_mov_b64 s[52:53], 0
	s_waitcnt lgkmcnt(0)
	v_add_co_u32_e32 v10, vcc, v2, v8
	v_addc_co_u32_e32 v11, vcc, v3, v9, vcc
	v_add_co_u32_e32 v12, vcc, v4, v8
	v_addc_co_u32_e32 v13, vcc, v5, v9, vcc
	s_waitcnt lgkmcnt(0)
	v_add_co_u32_e32 v2, vcc, 0x1c0, v6
	v_addc_co_u32_e32 v3, vcc, 0, v7, vcc
	v_add_co_u32_e32 v14, vcc, v2, v8
	v_addc_co_u32_e32 v15, vcc, v3, v9, vcc
	s_branch .LBB4_2868
.LBB4_2867:                             ;   in Loop: Header=BB4_2868 Depth=2
	s_or_b64 exec, exec, s[18:19]
	v_add_co_u32_e32 v6, vcc, 0xfffffe40, v14
	v_addc_co_u32_e32 v7, vcc, -1, v15, vcc
	flat_store_byte v[6:7], v20 glc slc
	v_add_co_u32_e32 v6, vcc, 0xfffffe80, v14
	v_addc_co_u32_e32 v7, vcc, -1, v15, vcc
	flat_store_byte v[6:7], v23 glc slc
	;; [unrolled: 3-line block ×5, first 2 shown]
	v_add_co_u32_e32 v6, vcc, 0xffffff80, v14
	v_addc_co_u32_e32 v7, vcc, -1, v15, vcc
	v_add_co_u32_e32 v4, vcc, s67, v14
	flat_store_byte v[6:7], v5 glc slc
	v_addc_co_u32_e32 v5, vcc, -1, v15, vcc
	v_add_co_u32_e32 v10, vcc, v10, v46
	v_addc_co_u32_e32 v11, vcc, v11, v61, vcc
	v_add_co_u32_e32 v12, vcc, v12, v46
	v_accvgpr_read_b32 v2, a22
	v_addc_co_u32_e32 v13, vcc, v13, v61, vcc
	v_sub_u32_e32 v0, v0, v2
	v_cmp_gt_i32_e32 vcc, 1, v0
	flat_store_byte v[4:5], v24 glc slc
	flat_store_byte v[14:15], v3 glc slc
	s_or_b64 s[52:53], vcc, s[52:53]
	v_add_co_u32_e32 v14, vcc, v14, v46
	v_addc_co_u32_e32 v15, vcc, v15, v61, vcc
	s_andn2_b64 exec, exec, s[52:53]
	s_cbranch_execz .LBB4_3092
.LBB4_2868:                             ;   Parent Loop BB4_1630 Depth=1
                                        ; =>  This Inner Loop Header: Depth=2
	flat_load_ubyte v49, v[10:11] glc slc
	flat_load_ubyte v35, v[10:11] offset:64 glc slc
	flat_load_ubyte v30, v[10:11] offset:128 glc slc
	;; [unrolled: 1-line block ×7, first 2 shown]
	flat_load_ubyte v3, v[12:13] glc slc
	flat_load_ubyte v23, v[12:13] offset:64 glc slc
	flat_load_ubyte v26, v[12:13] offset:128 glc slc
	;; [unrolled: 1-line block ×7, first 2 shown]
	v_mov_b32_e32 v20, 0
	v_mov_b32_e32 v48, 0
	s_waitcnt vmcnt(0) lgkmcnt(0)
	v_cmp_ne_u16_e32 vcc, 0, v49
	s_and_saveexec_b64 s[18:19], vcc
	s_cbranch_execz .LBB4_2874
; %bb.2869:                             ;   in Loop: Header=BB4_2868 Depth=2
	v_cmp_ne_u16_e32 vcc, s69, v49
	v_bfrev_b32_e32 v48, 1
	s_and_saveexec_b64 s[54:55], vcc
	s_cbranch_execz .LBB4_2873
; %bb.2870:                             ;   in Loop: Header=BB4_2868 Depth=2
	v_and_b32_e32 v2, 0xffff, v49
	v_and_b32_e32 v50, 0x7f, v2
	v_cmp_ne_u32_e32 vcc, s71, v50
	v_mov_b32_e32 v48, 0x7f800001
	s_and_saveexec_b64 s[56:57], vcc
	s_cbranch_execz .LBB4_2872
; %bb.2871:                             ;   in Loop: Header=BB4_2868 Depth=2
	v_and_b32_e32 v8, 7, v2
	v_ffbh_u32_e32 v6, v8
	v_min_u32_e32 v48, 32, v6
	v_subrev_u32_e32 v6, 28, v48
	v_lshlrev_b64 v[6:7], v6, v[2:3]
	v_lshrrev_b32_e32 v9, 3, v50
	v_sub_u32_e32 v2, 29, v48
	v_and_b32_e32 v6, 7, v6
	v_cmp_gt_u32_e32 vcc, 8, v50
	v_cndmask_b32_e32 v2, v9, v2, vcc
	v_cndmask_b32_e32 v6, v8, v6, vcc
	v_lshlrev_b32_e32 v7, 24, v49
	v_lshlrev_b32_e32 v6, 20, v6
	v_and_b32_e32 v7, 0x80000000, v7
	v_lshl_add_u32 v2, v2, 23, v27
	v_or3_b32 v48, v7, v2, v6
.LBB4_2872:                             ;   in Loop: Header=BB4_2868 Depth=2
	s_or_b64 exec, exec, s[56:57]
.LBB4_2873:                             ;   in Loop: Header=BB4_2868 Depth=2
	s_or_b64 exec, exec, s[54:55]
.LBB4_2874:                             ;   in Loop: Header=BB4_2868 Depth=2
	s_or_b64 exec, exec, s[18:19]
	v_and_b32_e32 v2, 0xff, v3
	v_cmp_ne_u16_e32 vcc, 0, v2
	s_and_saveexec_b64 s[18:19], vcc
	s_cbranch_execz .LBB4_2880
; %bb.2875:                             ;   in Loop: Header=BB4_2868 Depth=2
	v_cmp_ne_u16_e32 vcc, s69, v2
	v_bfrev_b32_e32 v20, 1
	s_and_saveexec_b64 s[54:55], vcc
	s_cbranch_execz .LBB4_2879
; %bb.2876:                             ;   in Loop: Header=BB4_2868 Depth=2
	v_and_b32_e32 v49, 0x7f, v3
	v_cmp_ne_u32_e32 vcc, s71, v49
	v_mov_b32_e32 v20, 0x7f800001
	s_and_saveexec_b64 s[56:57], vcc
	s_cbranch_execz .LBB4_2878
; %bb.2877:                             ;   in Loop: Header=BB4_2868 Depth=2
	v_and_b32_e32 v8, 7, v2
	v_ffbh_u32_e32 v6, v8
	v_min_u32_e32 v20, 32, v6
	v_subrev_u32_e32 v6, 28, v20
	v_lshlrev_b64 v[6:7], v6, v[2:3]
	v_lshrrev_b32_e32 v9, 3, v49
	v_sub_u32_e32 v2, 29, v20
	v_and_b32_e32 v6, 7, v6
	v_cmp_gt_u32_e32 vcc, 8, v49
	v_cndmask_b32_e32 v2, v9, v2, vcc
	v_cndmask_b32_e32 v6, v8, v6, vcc
	v_lshlrev_b32_e32 v3, 24, v3
	v_lshlrev_b32_e32 v6, 20, v6
	v_and_b32_e32 v3, 0x80000000, v3
	v_lshl_add_u32 v2, v2, 23, v27
	v_or3_b32 v20, v3, v2, v6
.LBB4_2878:                             ;   in Loop: Header=BB4_2868 Depth=2
	s_or_b64 exec, exec, s[56:57]
.LBB4_2879:                             ;   in Loop: Header=BB4_2868 Depth=2
	s_or_b64 exec, exec, s[54:55]
.LBB4_2880:                             ;   in Loop: Header=BB4_2868 Depth=2
	s_or_b64 exec, exec, s[18:19]
	v_add_f32_e32 v2, v48, v20
	v_and_b32_sdwa v48, v2, s69 dst_sel:DWORD dst_unused:UNUSED_PAD src0_sel:BYTE_3 src1_sel:DWORD
	v_and_b32_e32 v6, 0x7f800000, v2
	v_mov_b32_e32 v7, v53
	v_and_b32_e32 v52, 0x7fffff, v2
	v_or_b32_e32 v20, 0x7e, v48
	v_cmp_ne_u64_e32 vcc, s[38:39], v[6:7]
	s_and_saveexec_b64 s[18:19], vcc
	s_xor_b64 s[54:55], exec, s[18:19]
	s_cbranch_execz .LBB4_2894
; %bb.2881:                             ;   in Loop: Header=BB4_2868 Depth=2
	v_and_b32_e32 v6, 0x7fffffff, v2
	v_mov_b32_e32 v7, v53
	v_cmp_gt_u64_e32 vcc, s[40:41], v[6:7]
	s_and_saveexec_b64 s[18:19], vcc
	s_xor_b64 s[56:57], exec, s[18:19]
	s_cbranch_execz .LBB4_2893
; %bb.2882:                             ;   in Loop: Header=BB4_2868 Depth=2
	v_cmp_ne_u32_e32 vcc, 0, v2
	v_mov_b32_e32 v20, 0
	s_and_saveexec_b64 s[58:59], vcc
	s_cbranch_execz .LBB4_2892
; %bb.2883:                             ;   in Loop: Header=BB4_2868 Depth=2
	v_bfe_u32 v2, v2, 23, 8
	v_sub_u32_e32 v6, 0x79, v2
	v_cmp_gt_u32_e32 vcc, s72, v2
	v_add_u32_e32 v3, 0xffffff81, v2
	v_cndmask_b32_e32 v6, 0, v6, vcc
	v_cmp_eq_u32_e32 vcc, 0, v2
	v_mov_b32_e32 v2, 0xffffff82
	v_cndmask_b32_e32 v20, v3, v2, vcc
	v_mov_b32_e32 v2, 0x78
	v_or_b32_e32 v7, 0x800000, v52
	v_cndmask_b32_e32 v49, v6, v2, vcc
	v_cndmask_b32_e32 v52, v7, v52, vcc
	v_add_u32_e32 v2, 20, v49
	v_lshlrev_b64 v[2:3], v2, -1
	v_lshrrev_b64 v[8:9], v49, v[52:53]
	v_not_b32_e32 v3, v3
	v_not_b32_e32 v2, v2
	v_add_u32_e32 v6, 19, v49
	v_lshrrev_b32_e32 v50, 23, v8
	v_and_b32_e32 v3, 0, v3
	v_and_b32_e32 v2, v52, v2
	v_lshlrev_b64 v[6:7], v6, 1
	v_add3_u32 v50, v49, v20, v50
	v_bfe_u32 v49, v8, 20, 1
	v_add_u32_e32 v49, -1, v49
	v_cmp_eq_u64_e32 vcc, v[2:3], v[6:7]
	v_cndmask_b32_e32 v2, 0, v49, vcc
	v_add_u32_e32 v2, v2, v8
	v_and_b32_e32 v2, 0xfffff, v2
	v_add_co_u32_e32 v2, vcc, v2, v8
	v_add_u32_e32 v20, 6, v50
	v_addc_co_u32_e32 v3, vcc, 0, v9, vcc
	v_cmp_ne_u32_e32 vcc, 0, v20
                                        ; implicit-def: $vgpr49
	s_and_saveexec_b64 s[18:19], vcc
	s_xor_b64 s[18:19], exec, s[18:19]
; %bb.2884:                             ;   in Loop: Header=BB4_2868 Depth=2
	v_add_u32_e32 v6, 7, v50
	v_cmp_lt_u64_e32 vcc, s[44:45], v[2:3]
	v_cndmask_b32_e32 v49, v20, v6, vcc
	v_cndmask_b32_e64 v6, 0, 1, vcc
	v_lshrrev_b64 v[2:3], v6, v[2:3]
; %bb.2885:                             ;   in Loop: Header=BB4_2868 Depth=2
	s_andn2_saveexec_b64 s[18:19], s[18:19]
; %bb.2886:                             ;   in Loop: Header=BB4_2868 Depth=2
	v_bfe_u32 v49, v2, 23, 1
; %bb.2887:                             ;   in Loop: Header=BB4_2868 Depth=2
	s_or_b64 exec, exec, s[18:19]
	v_lshrrev_b64 v[2:3], 20, v[2:3]
	v_cmp_gt_i32_e32 vcc, 16, v49
	v_cndmask_b32_e32 v3, 0, v3, vcc
	v_cndmask_b32_e32 v2, 7, v2, vcc
	v_cmp_ne_u32_e32 vcc, 0, v49
	v_cmp_ne_u64_e64 s[18:19], 0, v[2:3]
	s_or_b64 s[18:19], vcc, s[18:19]
                                        ; implicit-def: $vgpr20
	s_and_saveexec_b64 vcc, s[18:19]
	s_xor_b64 s[18:19], exec, vcc
; %bb.2888:                             ;   in Loop: Header=BB4_2868 Depth=2
	v_min_i32_e32 v3, 15, v49
	v_lshl_or_b32 v3, v3, 3, v48
	v_and_or_b32 v20, v2, 7, v3
                                        ; implicit-def: $vgpr48
; %bb.2889:                             ;   in Loop: Header=BB4_2868 Depth=2
	s_andn2_saveexec_b64 s[18:19], s[18:19]
; %bb.2890:                             ;   in Loop: Header=BB4_2868 Depth=2
	v_mov_b32_e32 v20, v48
; %bb.2891:                             ;   in Loop: Header=BB4_2868 Depth=2
	s_or_b64 exec, exec, s[18:19]
.LBB4_2892:                             ;   in Loop: Header=BB4_2868 Depth=2
	s_or_b64 exec, exec, s[58:59]
.LBB4_2893:                             ;   in Loop: Header=BB4_2868 Depth=2
	s_andn2_saveexec_b64 s[18:19], s[56:57]
	s_or_b64 exec, exec, s[18:19]
                                        ; implicit-def: $vgpr2
.LBB4_2894:                             ;   in Loop: Header=BB4_2868 Depth=2
	s_andn2_saveexec_b64 s[18:19], s[54:55]
; %bb.2895:                             ;   in Loop: Header=BB4_2868 Depth=2
	v_or_b32_sdwa v2, v2, s71 dst_sel:DWORD dst_unused:UNUSED_PAD src0_sel:BYTE_3 src1_sel:DWORD
	v_cmp_eq_u64_e32 vcc, 0, v[52:53]
	v_cndmask_b32_e32 v20, v2, v20, vcc
; %bb.2896:                             ;   in Loop: Header=BB4_2868 Depth=2
	s_or_b64 exec, exec, s[18:19]
	v_and_b32_e32 v2, 0xff, v35
	v_cmp_ne_u16_e32 vcc, 0, v2
	v_mov_b32_e32 v3, 0
	v_mov_b32_e32 v48, 0
	s_and_saveexec_b64 s[18:19], vcc
	s_cbranch_execz .LBB4_2902
; %bb.2897:                             ;   in Loop: Header=BB4_2868 Depth=2
	v_cmp_ne_u16_e32 vcc, s69, v2
	v_bfrev_b32_e32 v48, 1
	s_and_saveexec_b64 s[54:55], vcc
	s_cbranch_execz .LBB4_2901
; %bb.2898:                             ;   in Loop: Header=BB4_2868 Depth=2
	v_and_b32_e32 v49, 0x7f, v35
	v_cmp_ne_u32_e32 vcc, s71, v49
	v_mov_b32_e32 v48, 0x7f800001
	s_and_saveexec_b64 s[56:57], vcc
	s_cbranch_execz .LBB4_2900
; %bb.2899:                             ;   in Loop: Header=BB4_2868 Depth=2
	v_and_b32_e32 v8, 7, v2
	v_ffbh_u32_e32 v6, v8
	v_min_u32_e32 v48, 32, v6
	v_subrev_u32_e32 v6, 28, v48
	v_lshlrev_b64 v[6:7], v6, v[2:3]
	v_lshrrev_b32_e32 v9, 3, v49
	v_sub_u32_e32 v2, 29, v48
	v_and_b32_e32 v6, 7, v6
	v_cmp_gt_u32_e32 vcc, 8, v49
	v_cndmask_b32_e32 v2, v9, v2, vcc
	v_cndmask_b32_e32 v6, v8, v6, vcc
	v_lshlrev_b32_e32 v7, 24, v35
	v_lshlrev_b32_e32 v6, 20, v6
	v_and_b32_e32 v7, 0x80000000, v7
	v_lshl_add_u32 v2, v2, 23, v27
	v_or3_b32 v48, v7, v2, v6
.LBB4_2900:                             ;   in Loop: Header=BB4_2868 Depth=2
	s_or_b64 exec, exec, s[56:57]
.LBB4_2901:                             ;   in Loop: Header=BB4_2868 Depth=2
	s_or_b64 exec, exec, s[54:55]
.LBB4_2902:                             ;   in Loop: Header=BB4_2868 Depth=2
	s_or_b64 exec, exec, s[18:19]
	v_and_b32_e32 v2, 0xff, v23
	v_cmp_ne_u16_e32 vcc, 0, v2
	s_and_saveexec_b64 s[18:19], vcc
	s_cbranch_execz .LBB4_2908
; %bb.2903:                             ;   in Loop: Header=BB4_2868 Depth=2
	v_cmp_ne_u16_e32 vcc, s69, v2
	v_bfrev_b32_e32 v3, 1
	s_and_saveexec_b64 s[54:55], vcc
	s_cbranch_execz .LBB4_2907
; %bb.2904:                             ;   in Loop: Header=BB4_2868 Depth=2
	v_and_b32_e32 v35, 0x7f, v23
	v_cmp_ne_u32_e32 vcc, s71, v35
	v_mov_b32_e32 v3, 0x7f800001
	s_and_saveexec_b64 s[56:57], vcc
	s_cbranch_execz .LBB4_2906
; %bb.2905:                             ;   in Loop: Header=BB4_2868 Depth=2
	v_and_b32_e32 v6, 7, v2
	v_ffbh_u32_e32 v3, v6
	v_min_u32_e32 v8, 32, v3
	v_subrev_u32_e32 v3, 28, v8
	v_lshlrev_b64 v[2:3], v3, v[2:3]
	v_lshrrev_b32_e32 v7, 3, v35
	v_sub_u32_e32 v3, 29, v8
	v_and_b32_e32 v2, 7, v2
	v_cmp_gt_u32_e32 vcc, 8, v35
	v_cndmask_b32_e32 v3, v7, v3, vcc
	v_cndmask_b32_e32 v2, v6, v2, vcc
	v_lshlrev_b32_e32 v6, 24, v23
	v_lshlrev_b32_e32 v2, 20, v2
	v_and_b32_e32 v6, 0x80000000, v6
	v_lshl_add_u32 v3, v3, 23, v27
	v_or3_b32 v3, v6, v3, v2
.LBB4_2906:                             ;   in Loop: Header=BB4_2868 Depth=2
	s_or_b64 exec, exec, s[56:57]
.LBB4_2907:                             ;   in Loop: Header=BB4_2868 Depth=2
	s_or_b64 exec, exec, s[54:55]
.LBB4_2908:                             ;   in Loop: Header=BB4_2868 Depth=2
	s_or_b64 exec, exec, s[18:19]
	v_add_f32_e32 v2, v48, v3
	v_and_b32_sdwa v35, v2, s69 dst_sel:DWORD dst_unused:UNUSED_PAD src0_sel:BYTE_3 src1_sel:DWORD
	v_and_b32_e32 v6, 0x7f800000, v2
	v_mov_b32_e32 v7, v53
	v_and_b32_e32 v52, 0x7fffff, v2
	v_or_b32_e32 v23, 0x7e, v35
	v_cmp_ne_u64_e32 vcc, s[38:39], v[6:7]
	s_and_saveexec_b64 s[18:19], vcc
	s_xor_b64 s[54:55], exec, s[18:19]
	s_cbranch_execz .LBB4_2922
; %bb.2909:                             ;   in Loop: Header=BB4_2868 Depth=2
	v_and_b32_e32 v6, 0x7fffffff, v2
	v_mov_b32_e32 v7, v53
	v_cmp_gt_u64_e32 vcc, s[40:41], v[6:7]
	s_and_saveexec_b64 s[18:19], vcc
	s_xor_b64 s[56:57], exec, s[18:19]
	s_cbranch_execz .LBB4_2921
; %bb.2910:                             ;   in Loop: Header=BB4_2868 Depth=2
	v_cmp_ne_u32_e32 vcc, 0, v2
	v_mov_b32_e32 v23, 0
	s_and_saveexec_b64 s[58:59], vcc
	s_cbranch_execz .LBB4_2920
; %bb.2911:                             ;   in Loop: Header=BB4_2868 Depth=2
	v_bfe_u32 v2, v2, 23, 8
	v_sub_u32_e32 v6, 0x79, v2
	v_cmp_gt_u32_e32 vcc, s72, v2
	v_add_u32_e32 v3, 0xffffff81, v2
	v_cndmask_b32_e32 v6, 0, v6, vcc
	v_cmp_eq_u32_e32 vcc, 0, v2
	v_mov_b32_e32 v2, 0xffffff82
	v_cndmask_b32_e32 v23, v3, v2, vcc
	v_mov_b32_e32 v2, 0x78
	v_or_b32_e32 v7, 0x800000, v52
	v_cndmask_b32_e32 v48, v6, v2, vcc
	v_cndmask_b32_e32 v52, v7, v52, vcc
	v_add_u32_e32 v2, 20, v48
	v_lshlrev_b64 v[2:3], v2, -1
	v_lshrrev_b64 v[8:9], v48, v[52:53]
	v_not_b32_e32 v3, v3
	v_not_b32_e32 v2, v2
	v_add_u32_e32 v6, 19, v48
	v_lshrrev_b32_e32 v49, 23, v8
	v_and_b32_e32 v3, 0, v3
	v_and_b32_e32 v2, v52, v2
	v_lshlrev_b64 v[6:7], v6, 1
	v_add3_u32 v49, v48, v23, v49
	v_bfe_u32 v48, v8, 20, 1
	v_add_u32_e32 v48, -1, v48
	v_cmp_eq_u64_e32 vcc, v[2:3], v[6:7]
	v_cndmask_b32_e32 v2, 0, v48, vcc
	v_add_u32_e32 v2, v2, v8
	v_and_b32_e32 v2, 0xfffff, v2
	v_add_co_u32_e32 v2, vcc, v2, v8
	v_add_u32_e32 v23, 6, v49
	v_addc_co_u32_e32 v3, vcc, 0, v9, vcc
	v_cmp_ne_u32_e32 vcc, 0, v23
                                        ; implicit-def: $vgpr48
	s_and_saveexec_b64 s[18:19], vcc
	s_xor_b64 s[18:19], exec, s[18:19]
; %bb.2912:                             ;   in Loop: Header=BB4_2868 Depth=2
	v_add_u32_e32 v6, 7, v49
	v_cmp_lt_u64_e32 vcc, s[44:45], v[2:3]
	v_cndmask_b32_e32 v48, v23, v6, vcc
	v_cndmask_b32_e64 v6, 0, 1, vcc
	v_lshrrev_b64 v[2:3], v6, v[2:3]
; %bb.2913:                             ;   in Loop: Header=BB4_2868 Depth=2
	s_andn2_saveexec_b64 s[18:19], s[18:19]
; %bb.2914:                             ;   in Loop: Header=BB4_2868 Depth=2
	v_bfe_u32 v48, v2, 23, 1
; %bb.2915:                             ;   in Loop: Header=BB4_2868 Depth=2
	s_or_b64 exec, exec, s[18:19]
	v_lshrrev_b64 v[2:3], 20, v[2:3]
	v_cmp_gt_i32_e32 vcc, 16, v48
	v_cndmask_b32_e32 v3, 0, v3, vcc
	v_cndmask_b32_e32 v2, 7, v2, vcc
	v_cmp_ne_u32_e32 vcc, 0, v48
	v_cmp_ne_u64_e64 s[18:19], 0, v[2:3]
	s_or_b64 s[18:19], vcc, s[18:19]
                                        ; implicit-def: $vgpr23
	s_and_saveexec_b64 vcc, s[18:19]
	s_xor_b64 s[18:19], exec, vcc
; %bb.2916:                             ;   in Loop: Header=BB4_2868 Depth=2
	v_min_i32_e32 v3, 15, v48
	v_lshl_or_b32 v3, v3, 3, v35
	v_and_or_b32 v23, v2, 7, v3
                                        ; implicit-def: $vgpr35
; %bb.2917:                             ;   in Loop: Header=BB4_2868 Depth=2
	s_andn2_saveexec_b64 s[18:19], s[18:19]
; %bb.2918:                             ;   in Loop: Header=BB4_2868 Depth=2
	v_mov_b32_e32 v23, v35
; %bb.2919:                             ;   in Loop: Header=BB4_2868 Depth=2
	s_or_b64 exec, exec, s[18:19]
.LBB4_2920:                             ;   in Loop: Header=BB4_2868 Depth=2
	s_or_b64 exec, exec, s[58:59]
.LBB4_2921:                             ;   in Loop: Header=BB4_2868 Depth=2
	s_andn2_saveexec_b64 s[18:19], s[56:57]
	s_or_b64 exec, exec, s[18:19]
                                        ; implicit-def: $vgpr2
.LBB4_2922:                             ;   in Loop: Header=BB4_2868 Depth=2
	s_andn2_saveexec_b64 s[18:19], s[54:55]
; %bb.2923:                             ;   in Loop: Header=BB4_2868 Depth=2
	v_or_b32_sdwa v2, v2, s71 dst_sel:DWORD dst_unused:UNUSED_PAD src0_sel:BYTE_3 src1_sel:DWORD
	v_cmp_eq_u64_e32 vcc, 0, v[52:53]
	v_cndmask_b32_e32 v23, v2, v23, vcc
; %bb.2924:                             ;   in Loop: Header=BB4_2868 Depth=2
	s_or_b64 exec, exec, s[18:19]
	v_and_b32_e32 v2, 0xff, v30
	v_cmp_ne_u16_e32 vcc, 0, v2
	v_mov_b32_e32 v3, 0
	v_mov_b32_e32 v35, 0
	s_and_saveexec_b64 s[18:19], vcc
	s_cbranch_execz .LBB4_2930
; %bb.2925:                             ;   in Loop: Header=BB4_2868 Depth=2
	v_cmp_ne_u16_e32 vcc, s69, v2
	v_bfrev_b32_e32 v35, 1
	s_and_saveexec_b64 s[54:55], vcc
	s_cbranch_execz .LBB4_2929
; %bb.2926:                             ;   in Loop: Header=BB4_2868 Depth=2
	v_and_b32_e32 v48, 0x7f, v30
	v_cmp_ne_u32_e32 vcc, s71, v48
	v_mov_b32_e32 v35, 0x7f800001
	s_and_saveexec_b64 s[56:57], vcc
	s_cbranch_execz .LBB4_2928
; %bb.2927:                             ;   in Loop: Header=BB4_2868 Depth=2
	v_and_b32_e32 v8, 7, v2
	v_ffbh_u32_e32 v6, v8
	v_min_u32_e32 v35, 32, v6
	v_subrev_u32_e32 v6, 28, v35
	v_lshlrev_b64 v[6:7], v6, v[2:3]
	v_lshrrev_b32_e32 v9, 3, v48
	v_sub_u32_e32 v2, 29, v35
	v_and_b32_e32 v6, 7, v6
	v_cmp_gt_u32_e32 vcc, 8, v48
	v_cndmask_b32_e32 v2, v9, v2, vcc
	v_cndmask_b32_e32 v6, v8, v6, vcc
	v_lshlrev_b32_e32 v7, 24, v30
	v_lshlrev_b32_e32 v6, 20, v6
	v_and_b32_e32 v7, 0x80000000, v7
	v_lshl_add_u32 v2, v2, 23, v27
	v_or3_b32 v35, v7, v2, v6
.LBB4_2928:                             ;   in Loop: Header=BB4_2868 Depth=2
	s_or_b64 exec, exec, s[56:57]
.LBB4_2929:                             ;   in Loop: Header=BB4_2868 Depth=2
	s_or_b64 exec, exec, s[54:55]
.LBB4_2930:                             ;   in Loop: Header=BB4_2868 Depth=2
	s_or_b64 exec, exec, s[18:19]
	v_and_b32_e32 v2, 0xff, v26
	v_cmp_ne_u16_e32 vcc, 0, v2
	s_and_saveexec_b64 s[18:19], vcc
	s_cbranch_execz .LBB4_2936
; %bb.2931:                             ;   in Loop: Header=BB4_2868 Depth=2
	v_cmp_ne_u16_e32 vcc, s69, v2
	v_bfrev_b32_e32 v3, 1
	s_and_saveexec_b64 s[54:55], vcc
	s_cbranch_execz .LBB4_2935
; %bb.2932:                             ;   in Loop: Header=BB4_2868 Depth=2
	v_and_b32_e32 v30, 0x7f, v26
	v_cmp_ne_u32_e32 vcc, s71, v30
	v_mov_b32_e32 v3, 0x7f800001
	s_and_saveexec_b64 s[56:57], vcc
	s_cbranch_execz .LBB4_2934
; %bb.2933:                             ;   in Loop: Header=BB4_2868 Depth=2
	v_and_b32_e32 v6, 7, v2
	v_ffbh_u32_e32 v3, v6
	v_min_u32_e32 v8, 32, v3
	v_subrev_u32_e32 v3, 28, v8
	v_lshlrev_b64 v[2:3], v3, v[2:3]
	v_lshrrev_b32_e32 v7, 3, v30
	v_sub_u32_e32 v3, 29, v8
	v_and_b32_e32 v2, 7, v2
	v_cmp_gt_u32_e32 vcc, 8, v30
	v_cndmask_b32_e32 v3, v7, v3, vcc
	v_cndmask_b32_e32 v2, v6, v2, vcc
	v_lshlrev_b32_e32 v6, 24, v26
	v_lshlrev_b32_e32 v2, 20, v2
	v_and_b32_e32 v6, 0x80000000, v6
	v_lshl_add_u32 v3, v3, 23, v27
	v_or3_b32 v3, v6, v3, v2
.LBB4_2934:                             ;   in Loop: Header=BB4_2868 Depth=2
	s_or_b64 exec, exec, s[56:57]
.LBB4_2935:                             ;   in Loop: Header=BB4_2868 Depth=2
	s_or_b64 exec, exec, s[54:55]
.LBB4_2936:                             ;   in Loop: Header=BB4_2868 Depth=2
	s_or_b64 exec, exec, s[18:19]
	v_add_f32_e32 v2, v35, v3
	v_and_b32_sdwa v30, v2, s69 dst_sel:DWORD dst_unused:UNUSED_PAD src0_sel:BYTE_3 src1_sel:DWORD
	v_and_b32_e32 v6, 0x7f800000, v2
	v_mov_b32_e32 v7, v53
	v_and_b32_e32 v52, 0x7fffff, v2
	v_or_b32_e32 v26, 0x7e, v30
	v_cmp_ne_u64_e32 vcc, s[38:39], v[6:7]
	s_and_saveexec_b64 s[18:19], vcc
	s_xor_b64 s[54:55], exec, s[18:19]
	s_cbranch_execz .LBB4_2950
; %bb.2937:                             ;   in Loop: Header=BB4_2868 Depth=2
	v_and_b32_e32 v6, 0x7fffffff, v2
	v_mov_b32_e32 v7, v53
	v_cmp_gt_u64_e32 vcc, s[40:41], v[6:7]
	s_and_saveexec_b64 s[18:19], vcc
	s_xor_b64 s[56:57], exec, s[18:19]
	s_cbranch_execz .LBB4_2949
; %bb.2938:                             ;   in Loop: Header=BB4_2868 Depth=2
	v_cmp_ne_u32_e32 vcc, 0, v2
	v_mov_b32_e32 v26, 0
	s_and_saveexec_b64 s[58:59], vcc
	s_cbranch_execz .LBB4_2948
; %bb.2939:                             ;   in Loop: Header=BB4_2868 Depth=2
	v_bfe_u32 v2, v2, 23, 8
	v_sub_u32_e32 v6, 0x79, v2
	v_cmp_gt_u32_e32 vcc, s72, v2
	v_add_u32_e32 v3, 0xffffff81, v2
	v_cndmask_b32_e32 v6, 0, v6, vcc
	v_cmp_eq_u32_e32 vcc, 0, v2
	v_mov_b32_e32 v2, 0xffffff82
	v_cndmask_b32_e32 v26, v3, v2, vcc
	v_mov_b32_e32 v2, 0x78
	v_or_b32_e32 v7, 0x800000, v52
	v_cndmask_b32_e32 v35, v6, v2, vcc
	v_cndmask_b32_e32 v52, v7, v52, vcc
	v_add_u32_e32 v2, 20, v35
	v_lshlrev_b64 v[2:3], v2, -1
	v_lshrrev_b64 v[8:9], v35, v[52:53]
	v_not_b32_e32 v3, v3
	v_not_b32_e32 v2, v2
	v_add_u32_e32 v6, 19, v35
	v_lshrrev_b32_e32 v48, 23, v8
	v_and_b32_e32 v3, 0, v3
	v_and_b32_e32 v2, v52, v2
	v_lshlrev_b64 v[6:7], v6, 1
	v_add3_u32 v48, v35, v26, v48
	v_bfe_u32 v35, v8, 20, 1
	v_add_u32_e32 v35, -1, v35
	v_cmp_eq_u64_e32 vcc, v[2:3], v[6:7]
	v_cndmask_b32_e32 v2, 0, v35, vcc
	v_add_u32_e32 v2, v2, v8
	v_and_b32_e32 v2, 0xfffff, v2
	v_add_co_u32_e32 v2, vcc, v2, v8
	v_add_u32_e32 v26, 6, v48
	v_addc_co_u32_e32 v3, vcc, 0, v9, vcc
	v_cmp_ne_u32_e32 vcc, 0, v26
                                        ; implicit-def: $vgpr35
	s_and_saveexec_b64 s[18:19], vcc
	s_xor_b64 s[18:19], exec, s[18:19]
; %bb.2940:                             ;   in Loop: Header=BB4_2868 Depth=2
	v_add_u32_e32 v6, 7, v48
	v_cmp_lt_u64_e32 vcc, s[44:45], v[2:3]
	v_cndmask_b32_e32 v35, v26, v6, vcc
	v_cndmask_b32_e64 v6, 0, 1, vcc
	v_lshrrev_b64 v[2:3], v6, v[2:3]
; %bb.2941:                             ;   in Loop: Header=BB4_2868 Depth=2
	s_andn2_saveexec_b64 s[18:19], s[18:19]
; %bb.2942:                             ;   in Loop: Header=BB4_2868 Depth=2
	v_bfe_u32 v35, v2, 23, 1
; %bb.2943:                             ;   in Loop: Header=BB4_2868 Depth=2
	s_or_b64 exec, exec, s[18:19]
	v_lshrrev_b64 v[2:3], 20, v[2:3]
	v_cmp_gt_i32_e32 vcc, 16, v35
	v_cndmask_b32_e32 v3, 0, v3, vcc
	v_cndmask_b32_e32 v2, 7, v2, vcc
	v_cmp_ne_u32_e32 vcc, 0, v35
	v_cmp_ne_u64_e64 s[18:19], 0, v[2:3]
	s_or_b64 s[18:19], vcc, s[18:19]
                                        ; implicit-def: $vgpr26
	s_and_saveexec_b64 vcc, s[18:19]
	s_xor_b64 s[18:19], exec, vcc
; %bb.2944:                             ;   in Loop: Header=BB4_2868 Depth=2
	v_min_i32_e32 v3, 15, v35
	v_lshl_or_b32 v3, v3, 3, v30
	v_and_or_b32 v26, v2, 7, v3
                                        ; implicit-def: $vgpr30
; %bb.2945:                             ;   in Loop: Header=BB4_2868 Depth=2
	s_andn2_saveexec_b64 s[18:19], s[18:19]
; %bb.2946:                             ;   in Loop: Header=BB4_2868 Depth=2
	v_mov_b32_e32 v26, v30
; %bb.2947:                             ;   in Loop: Header=BB4_2868 Depth=2
	s_or_b64 exec, exec, s[18:19]
.LBB4_2948:                             ;   in Loop: Header=BB4_2868 Depth=2
	s_or_b64 exec, exec, s[58:59]
.LBB4_2949:                             ;   in Loop: Header=BB4_2868 Depth=2
	s_andn2_saveexec_b64 s[18:19], s[56:57]
	s_or_b64 exec, exec, s[18:19]
                                        ; implicit-def: $vgpr2
.LBB4_2950:                             ;   in Loop: Header=BB4_2868 Depth=2
	s_andn2_saveexec_b64 s[18:19], s[54:55]
; %bb.2951:                             ;   in Loop: Header=BB4_2868 Depth=2
	v_or_b32_sdwa v2, v2, s71 dst_sel:DWORD dst_unused:UNUSED_PAD src0_sel:BYTE_3 src1_sel:DWORD
	v_cmp_eq_u64_e32 vcc, 0, v[52:53]
	v_cndmask_b32_e32 v26, v2, v26, vcc
; %bb.2952:                             ;   in Loop: Header=BB4_2868 Depth=2
	s_or_b64 exec, exec, s[18:19]
	v_and_b32_e32 v2, 0xff, v5
	v_cmp_ne_u16_e32 vcc, 0, v2
	v_mov_b32_e32 v3, 0
	v_mov_b32_e32 v30, 0
	s_and_saveexec_b64 s[18:19], vcc
	s_cbranch_execz .LBB4_2958
; %bb.2953:                             ;   in Loop: Header=BB4_2868 Depth=2
	v_cmp_ne_u16_e32 vcc, s69, v2
	v_bfrev_b32_e32 v30, 1
	s_and_saveexec_b64 s[54:55], vcc
	s_cbranch_execz .LBB4_2957
; %bb.2954:                             ;   in Loop: Header=BB4_2868 Depth=2
	v_and_b32_e32 v35, 0x7f, v5
	v_cmp_ne_u32_e32 vcc, s71, v35
	v_mov_b32_e32 v30, 0x7f800001
	s_and_saveexec_b64 s[56:57], vcc
	s_cbranch_execz .LBB4_2956
; %bb.2955:                             ;   in Loop: Header=BB4_2868 Depth=2
	v_and_b32_e32 v8, 7, v2
	v_ffbh_u32_e32 v6, v8
	v_min_u32_e32 v30, 32, v6
	v_subrev_u32_e32 v6, 28, v30
	v_lshlrev_b64 v[6:7], v6, v[2:3]
	v_lshrrev_b32_e32 v9, 3, v35
	v_sub_u32_e32 v2, 29, v30
	v_and_b32_e32 v6, 7, v6
	v_cmp_gt_u32_e32 vcc, 8, v35
	v_cndmask_b32_e32 v2, v9, v2, vcc
	v_cndmask_b32_e32 v6, v8, v6, vcc
	v_lshlrev_b32_e32 v5, 24, v5
	v_lshlrev_b32_e32 v6, 20, v6
	v_and_b32_e32 v5, 0x80000000, v5
	v_lshl_add_u32 v2, v2, 23, v27
	v_or3_b32 v30, v5, v2, v6
.LBB4_2956:                             ;   in Loop: Header=BB4_2868 Depth=2
	s_or_b64 exec, exec, s[56:57]
.LBB4_2957:                             ;   in Loop: Header=BB4_2868 Depth=2
	s_or_b64 exec, exec, s[54:55]
.LBB4_2958:                             ;   in Loop: Header=BB4_2868 Depth=2
	s_or_b64 exec, exec, s[18:19]
	v_and_b32_e32 v2, 0xff, v4
	v_cmp_ne_u16_e32 vcc, 0, v2
	s_and_saveexec_b64 s[18:19], vcc
	s_cbranch_execz .LBB4_2964
; %bb.2959:                             ;   in Loop: Header=BB4_2868 Depth=2
	v_cmp_ne_u16_e32 vcc, s69, v2
	v_bfrev_b32_e32 v3, 1
	s_and_saveexec_b64 s[54:55], vcc
	s_cbranch_execz .LBB4_2963
; %bb.2960:                             ;   in Loop: Header=BB4_2868 Depth=2
	v_and_b32_e32 v5, 0x7f, v4
	v_cmp_ne_u32_e32 vcc, s71, v5
	v_mov_b32_e32 v3, 0x7f800001
	s_and_saveexec_b64 s[56:57], vcc
	s_cbranch_execz .LBB4_2962
; %bb.2961:                             ;   in Loop: Header=BB4_2868 Depth=2
	v_and_b32_e32 v6, 7, v2
	v_ffbh_u32_e32 v3, v6
	v_min_u32_e32 v8, 32, v3
	v_subrev_u32_e32 v3, 28, v8
	v_lshlrev_b64 v[2:3], v3, v[2:3]
	v_lshrrev_b32_e32 v7, 3, v5
	v_sub_u32_e32 v3, 29, v8
	v_and_b32_e32 v2, 7, v2
	v_cmp_gt_u32_e32 vcc, 8, v5
	v_cndmask_b32_e32 v3, v7, v3, vcc
	v_cndmask_b32_e32 v2, v6, v2, vcc
	v_lshlrev_b32_e32 v4, 24, v4
	v_lshlrev_b32_e32 v2, 20, v2
	v_and_b32_e32 v4, 0x80000000, v4
	v_lshl_add_u32 v3, v3, 23, v27
	v_or3_b32 v3, v4, v3, v2
.LBB4_2962:                             ;   in Loop: Header=BB4_2868 Depth=2
	s_or_b64 exec, exec, s[56:57]
.LBB4_2963:                             ;   in Loop: Header=BB4_2868 Depth=2
	s_or_b64 exec, exec, s[54:55]
.LBB4_2964:                             ;   in Loop: Header=BB4_2868 Depth=2
	s_or_b64 exec, exec, s[18:19]
	v_add_f32_e32 v2, v30, v3
	v_and_b32_sdwa v4, v2, s69 dst_sel:DWORD dst_unused:UNUSED_PAD src0_sel:BYTE_3 src1_sel:DWORD
	v_and_b32_e32 v6, 0x7f800000, v2
	v_mov_b32_e32 v7, v53
	v_and_b32_e32 v52, 0x7fffff, v2
	v_or_b32_e32 v30, 0x7e, v4
	v_cmp_ne_u64_e32 vcc, s[38:39], v[6:7]
	s_and_saveexec_b64 s[18:19], vcc
	s_xor_b64 s[54:55], exec, s[18:19]
	s_cbranch_execz .LBB4_2978
; %bb.2965:                             ;   in Loop: Header=BB4_2868 Depth=2
	v_and_b32_e32 v6, 0x7fffffff, v2
	v_mov_b32_e32 v7, v53
	v_cmp_gt_u64_e32 vcc, s[40:41], v[6:7]
	s_and_saveexec_b64 s[18:19], vcc
	s_xor_b64 s[56:57], exec, s[18:19]
	s_cbranch_execz .LBB4_2977
; %bb.2966:                             ;   in Loop: Header=BB4_2868 Depth=2
	v_cmp_ne_u32_e32 vcc, 0, v2
	v_mov_b32_e32 v30, 0
	s_and_saveexec_b64 s[58:59], vcc
	s_cbranch_execz .LBB4_2976
; %bb.2967:                             ;   in Loop: Header=BB4_2868 Depth=2
	v_bfe_u32 v2, v2, 23, 8
	v_sub_u32_e32 v5, 0x79, v2
	v_cmp_gt_u32_e32 vcc, s72, v2
	v_add_u32_e32 v3, 0xffffff81, v2
	v_cndmask_b32_e32 v5, 0, v5, vcc
	v_cmp_eq_u32_e32 vcc, 0, v2
	v_mov_b32_e32 v2, 0xffffff82
	v_cndmask_b32_e32 v30, v3, v2, vcc
	v_mov_b32_e32 v2, 0x78
	v_or_b32_e32 v6, 0x800000, v52
	v_cndmask_b32_e32 v5, v5, v2, vcc
	v_cndmask_b32_e32 v52, v6, v52, vcc
	v_add_u32_e32 v2, 20, v5
	v_lshlrev_b64 v[2:3], v2, -1
	v_lshrrev_b64 v[8:9], v5, v[52:53]
	v_not_b32_e32 v3, v3
	v_not_b32_e32 v2, v2
	v_add_u32_e32 v6, 19, v5
	v_lshrrev_b32_e32 v35, 23, v8
	v_and_b32_e32 v3, 0, v3
	v_and_b32_e32 v2, v52, v2
	v_lshlrev_b64 v[6:7], v6, 1
	v_add3_u32 v35, v5, v30, v35
	v_bfe_u32 v5, v8, 20, 1
	v_add_u32_e32 v5, -1, v5
	v_cmp_eq_u64_e32 vcc, v[2:3], v[6:7]
	v_cndmask_b32_e32 v2, 0, v5, vcc
	v_add_u32_e32 v2, v2, v8
	v_and_b32_e32 v2, 0xfffff, v2
	v_add_co_u32_e32 v2, vcc, v2, v8
	v_add_u32_e32 v30, 6, v35
	v_addc_co_u32_e32 v3, vcc, 0, v9, vcc
	v_cmp_ne_u32_e32 vcc, 0, v30
                                        ; implicit-def: $vgpr5
	s_and_saveexec_b64 s[18:19], vcc
	s_xor_b64 s[18:19], exec, s[18:19]
; %bb.2968:                             ;   in Loop: Header=BB4_2868 Depth=2
	v_cmp_lt_u64_e32 vcc, s[44:45], v[2:3]
	v_add_u32_e32 v5, 7, v35
	v_cndmask_b32_e64 v6, 0, 1, vcc
	v_cndmask_b32_e32 v5, v30, v5, vcc
	v_lshrrev_b64 v[2:3], v6, v[2:3]
; %bb.2969:                             ;   in Loop: Header=BB4_2868 Depth=2
	s_andn2_saveexec_b64 s[18:19], s[18:19]
; %bb.2970:                             ;   in Loop: Header=BB4_2868 Depth=2
	v_bfe_u32 v5, v2, 23, 1
; %bb.2971:                             ;   in Loop: Header=BB4_2868 Depth=2
	s_or_b64 exec, exec, s[18:19]
	v_lshrrev_b64 v[2:3], 20, v[2:3]
	v_cmp_gt_i32_e32 vcc, 16, v5
	v_cndmask_b32_e32 v3, 0, v3, vcc
	v_cndmask_b32_e32 v2, 7, v2, vcc
	v_cmp_ne_u32_e32 vcc, 0, v5
	v_cmp_ne_u64_e64 s[18:19], 0, v[2:3]
	s_or_b64 s[18:19], vcc, s[18:19]
                                        ; implicit-def: $vgpr30
	s_and_saveexec_b64 vcc, s[18:19]
	s_xor_b64 s[18:19], exec, vcc
; %bb.2972:                             ;   in Loop: Header=BB4_2868 Depth=2
	v_min_i32_e32 v3, 15, v5
	v_lshl_or_b32 v3, v3, 3, v4
	v_and_or_b32 v30, v2, 7, v3
                                        ; implicit-def: $vgpr4
; %bb.2973:                             ;   in Loop: Header=BB4_2868 Depth=2
	s_andn2_saveexec_b64 s[18:19], s[18:19]
; %bb.2974:                             ;   in Loop: Header=BB4_2868 Depth=2
	v_mov_b32_e32 v30, v4
; %bb.2975:                             ;   in Loop: Header=BB4_2868 Depth=2
	s_or_b64 exec, exec, s[18:19]
.LBB4_2976:                             ;   in Loop: Header=BB4_2868 Depth=2
	s_or_b64 exec, exec, s[58:59]
.LBB4_2977:                             ;   in Loop: Header=BB4_2868 Depth=2
	s_andn2_saveexec_b64 s[18:19], s[56:57]
	s_or_b64 exec, exec, s[18:19]
                                        ; implicit-def: $vgpr2
.LBB4_2978:                             ;   in Loop: Header=BB4_2868 Depth=2
	s_andn2_saveexec_b64 s[18:19], s[54:55]
; %bb.2979:                             ;   in Loop: Header=BB4_2868 Depth=2
	v_or_b32_sdwa v2, v2, s71 dst_sel:DWORD dst_unused:UNUSED_PAD src0_sel:BYTE_3 src1_sel:DWORD
	v_cmp_eq_u64_e32 vcc, 0, v[52:53]
	v_cndmask_b32_e32 v30, v2, v30, vcc
; %bb.2980:                             ;   in Loop: Header=BB4_2868 Depth=2
	s_or_b64 exec, exec, s[18:19]
	v_and_b32_e32 v2, 0xff, v34
	v_cmp_ne_u16_e32 vcc, 0, v2
	v_mov_b32_e32 v3, 0
	v_mov_b32_e32 v4, 0
	s_and_saveexec_b64 s[18:19], vcc
	s_cbranch_execz .LBB4_2986
; %bb.2981:                             ;   in Loop: Header=BB4_2868 Depth=2
	v_cmp_ne_u16_e32 vcc, s69, v2
	v_bfrev_b32_e32 v4, 1
	s_and_saveexec_b64 s[54:55], vcc
	s_cbranch_execz .LBB4_2985
; %bb.2982:                             ;   in Loop: Header=BB4_2868 Depth=2
	v_and_b32_e32 v5, 0x7f, v34
	v_cmp_ne_u32_e32 vcc, s71, v5
	v_mov_b32_e32 v4, 0x7f800001
	s_and_saveexec_b64 s[56:57], vcc
	s_cbranch_execz .LBB4_2984
; %bb.2983:                             ;   in Loop: Header=BB4_2868 Depth=2
	v_and_b32_e32 v4, 7, v2
	v_ffbh_u32_e32 v6, v4
	v_min_u32_e32 v9, 32, v6
	v_subrev_u32_e32 v6, 28, v9
	v_lshlrev_b64 v[6:7], v6, v[2:3]
	v_lshrrev_b32_e32 v8, 3, v5
	v_sub_u32_e32 v2, 29, v9
	v_and_b32_e32 v6, 7, v6
	v_cmp_gt_u32_e32 vcc, 8, v5
	v_cndmask_b32_e32 v2, v8, v2, vcc
	v_cndmask_b32_e32 v4, v4, v6, vcc
	v_lshlrev_b32_e32 v5, 24, v34
	v_lshlrev_b32_e32 v4, 20, v4
	v_and_b32_e32 v5, 0x80000000, v5
	v_lshl_add_u32 v2, v2, 23, v27
	v_or3_b32 v4, v5, v2, v4
.LBB4_2984:                             ;   in Loop: Header=BB4_2868 Depth=2
	s_or_b64 exec, exec, s[56:57]
.LBB4_2985:                             ;   in Loop: Header=BB4_2868 Depth=2
	s_or_b64 exec, exec, s[54:55]
.LBB4_2986:                             ;   in Loop: Header=BB4_2868 Depth=2
	s_or_b64 exec, exec, s[18:19]
	v_and_b32_e32 v2, 0xff, v31
	v_cmp_ne_u16_e32 vcc, 0, v2
	s_and_saveexec_b64 s[18:19], vcc
	s_cbranch_execz .LBB4_2992
; %bb.2987:                             ;   in Loop: Header=BB4_2868 Depth=2
	v_cmp_ne_u16_e32 vcc, s69, v2
	v_bfrev_b32_e32 v3, 1
	s_and_saveexec_b64 s[54:55], vcc
	s_cbranch_execz .LBB4_2991
; %bb.2988:                             ;   in Loop: Header=BB4_2868 Depth=2
	v_and_b32_e32 v5, 0x7f, v31
	v_cmp_ne_u32_e32 vcc, s71, v5
	v_mov_b32_e32 v3, 0x7f800001
	s_and_saveexec_b64 s[56:57], vcc
	s_cbranch_execz .LBB4_2990
; %bb.2989:                             ;   in Loop: Header=BB4_2868 Depth=2
	v_and_b32_e32 v6, 7, v2
	v_ffbh_u32_e32 v3, v6
	v_min_u32_e32 v8, 32, v3
	v_subrev_u32_e32 v3, 28, v8
	v_lshlrev_b64 v[2:3], v3, v[2:3]
	v_lshrrev_b32_e32 v7, 3, v5
	v_sub_u32_e32 v3, 29, v8
	v_and_b32_e32 v2, 7, v2
	v_cmp_gt_u32_e32 vcc, 8, v5
	v_cndmask_b32_e32 v3, v7, v3, vcc
	v_cndmask_b32_e32 v2, v6, v2, vcc
	v_lshlrev_b32_e32 v5, 24, v31
	v_lshlrev_b32_e32 v2, 20, v2
	v_and_b32_e32 v5, 0x80000000, v5
	v_lshl_add_u32 v3, v3, 23, v27
	v_or3_b32 v3, v5, v3, v2
.LBB4_2990:                             ;   in Loop: Header=BB4_2868 Depth=2
	s_or_b64 exec, exec, s[56:57]
.LBB4_2991:                             ;   in Loop: Header=BB4_2868 Depth=2
	s_or_b64 exec, exec, s[54:55]
.LBB4_2992:                             ;   in Loop: Header=BB4_2868 Depth=2
	s_or_b64 exec, exec, s[18:19]
	v_add_f32_e32 v2, v4, v3
	v_and_b32_sdwa v5, v2, s69 dst_sel:DWORD dst_unused:UNUSED_PAD src0_sel:BYTE_3 src1_sel:DWORD
	v_and_b32_e32 v6, 0x7f800000, v2
	v_mov_b32_e32 v7, v53
	v_and_b32_e32 v52, 0x7fffff, v2
	v_or_b32_e32 v4, 0x7e, v5
	v_cmp_ne_u64_e32 vcc, s[38:39], v[6:7]
	s_and_saveexec_b64 s[18:19], vcc
	s_xor_b64 s[54:55], exec, s[18:19]
	s_cbranch_execz .LBB4_3006
; %bb.2993:                             ;   in Loop: Header=BB4_2868 Depth=2
	v_and_b32_e32 v6, 0x7fffffff, v2
	v_mov_b32_e32 v7, v53
	v_cmp_gt_u64_e32 vcc, s[40:41], v[6:7]
	s_and_saveexec_b64 s[18:19], vcc
	s_xor_b64 s[56:57], exec, s[18:19]
	s_cbranch_execz .LBB4_3005
; %bb.2994:                             ;   in Loop: Header=BB4_2868 Depth=2
	v_cmp_ne_u32_e32 vcc, 0, v2
	v_mov_b32_e32 v4, 0
	s_and_saveexec_b64 s[58:59], vcc
	s_cbranch_execz .LBB4_3004
; %bb.2995:                             ;   in Loop: Header=BB4_2868 Depth=2
	v_bfe_u32 v2, v2, 23, 8
	v_sub_u32_e32 v4, 0x79, v2
	v_cmp_gt_u32_e32 vcc, s72, v2
	v_add_u32_e32 v3, 0xffffff81, v2
	v_cndmask_b32_e32 v4, 0, v4, vcc
	v_cmp_eq_u32_e32 vcc, 0, v2
	v_mov_b32_e32 v2, 0xffffff82
	v_cndmask_b32_e32 v31, v3, v2, vcc
	v_mov_b32_e32 v2, 0x78
	v_or_b32_e32 v6, 0x800000, v52
	v_cndmask_b32_e32 v4, v4, v2, vcc
	v_cndmask_b32_e32 v52, v6, v52, vcc
	v_add_u32_e32 v2, 20, v4
	v_lshlrev_b64 v[2:3], v2, -1
	v_lshrrev_b64 v[8:9], v4, v[52:53]
	v_not_b32_e32 v3, v3
	v_not_b32_e32 v2, v2
	v_add_u32_e32 v6, 19, v4
	v_lshrrev_b32_e32 v34, 23, v8
	v_and_b32_e32 v3, 0, v3
	v_and_b32_e32 v2, v52, v2
	v_lshlrev_b64 v[6:7], v6, 1
	v_add3_u32 v34, v4, v31, v34
	v_bfe_u32 v31, v8, 20, 1
	v_add_u32_e32 v31, -1, v31
	v_cmp_eq_u64_e32 vcc, v[2:3], v[6:7]
	v_cndmask_b32_e32 v2, 0, v31, vcc
	v_add_u32_e32 v2, v2, v8
	v_and_b32_e32 v2, 0xfffff, v2
	v_add_co_u32_e32 v2, vcc, v2, v8
	v_add_u32_e32 v4, 6, v34
	v_addc_co_u32_e32 v3, vcc, 0, v9, vcc
	v_cmp_ne_u32_e32 vcc, 0, v4
                                        ; implicit-def: $vgpr31
	s_and_saveexec_b64 s[18:19], vcc
	s_xor_b64 s[18:19], exec, s[18:19]
; %bb.2996:                             ;   in Loop: Header=BB4_2868 Depth=2
	v_add_u32_e32 v6, 7, v34
	v_cmp_lt_u64_e32 vcc, s[44:45], v[2:3]
	v_cndmask_b32_e32 v31, v4, v6, vcc
	v_cndmask_b32_e64 v4, 0, 1, vcc
	v_lshrrev_b64 v[2:3], v4, v[2:3]
; %bb.2997:                             ;   in Loop: Header=BB4_2868 Depth=2
	s_andn2_saveexec_b64 s[18:19], s[18:19]
; %bb.2998:                             ;   in Loop: Header=BB4_2868 Depth=2
	v_bfe_u32 v31, v2, 23, 1
; %bb.2999:                             ;   in Loop: Header=BB4_2868 Depth=2
	s_or_b64 exec, exec, s[18:19]
	v_lshrrev_b64 v[2:3], 20, v[2:3]
	v_cmp_gt_i32_e32 vcc, 16, v31
	v_cndmask_b32_e32 v3, 0, v3, vcc
	v_cndmask_b32_e32 v2, 7, v2, vcc
	v_cmp_ne_u32_e32 vcc, 0, v31
	v_cmp_ne_u64_e64 s[18:19], 0, v[2:3]
	s_or_b64 s[18:19], vcc, s[18:19]
                                        ; implicit-def: $vgpr4
	s_and_saveexec_b64 vcc, s[18:19]
	s_xor_b64 s[18:19], exec, vcc
; %bb.3000:                             ;   in Loop: Header=BB4_2868 Depth=2
	v_min_i32_e32 v3, 15, v31
	v_lshl_or_b32 v3, v3, 3, v5
	v_and_or_b32 v4, v2, 7, v3
                                        ; implicit-def: $vgpr5
; %bb.3001:                             ;   in Loop: Header=BB4_2868 Depth=2
	s_andn2_saveexec_b64 s[18:19], s[18:19]
; %bb.3002:                             ;   in Loop: Header=BB4_2868 Depth=2
	v_mov_b32_e32 v4, v5
; %bb.3003:                             ;   in Loop: Header=BB4_2868 Depth=2
	s_or_b64 exec, exec, s[18:19]
.LBB4_3004:                             ;   in Loop: Header=BB4_2868 Depth=2
	s_or_b64 exec, exec, s[58:59]
.LBB4_3005:                             ;   in Loop: Header=BB4_2868 Depth=2
	s_andn2_saveexec_b64 s[18:19], s[56:57]
	s_or_b64 exec, exec, s[18:19]
                                        ; implicit-def: $vgpr2
.LBB4_3006:                             ;   in Loop: Header=BB4_2868 Depth=2
	s_andn2_saveexec_b64 s[18:19], s[54:55]
; %bb.3007:                             ;   in Loop: Header=BB4_2868 Depth=2
	v_or_b32_sdwa v2, v2, s71 dst_sel:DWORD dst_unused:UNUSED_PAD src0_sel:BYTE_3 src1_sel:DWORD
	v_cmp_eq_u64_e32 vcc, 0, v[52:53]
	v_cndmask_b32_e32 v4, v2, v4, vcc
; %bb.3008:                             ;   in Loop: Header=BB4_2868 Depth=2
	s_or_b64 exec, exec, s[18:19]
	v_and_b32_e32 v2, 0xff, v29
	v_cmp_ne_u16_e32 vcc, 0, v2
	v_mov_b32_e32 v3, 0
	v_mov_b32_e32 v5, 0
	s_and_saveexec_b64 s[18:19], vcc
	s_cbranch_execz .LBB4_3014
; %bb.3009:                             ;   in Loop: Header=BB4_2868 Depth=2
	v_cmp_ne_u16_e32 vcc, s69, v2
	v_bfrev_b32_e32 v5, 1
	s_and_saveexec_b64 s[54:55], vcc
	s_cbranch_execz .LBB4_3013
; %bb.3010:                             ;   in Loop: Header=BB4_2868 Depth=2
	v_and_b32_e32 v31, 0x7f, v29
	v_cmp_ne_u32_e32 vcc, s71, v31
	v_mov_b32_e32 v5, 0x7f800001
	s_and_saveexec_b64 s[56:57], vcc
	s_cbranch_execz .LBB4_3012
; %bb.3011:                             ;   in Loop: Header=BB4_2868 Depth=2
	v_and_b32_e32 v5, 7, v2
	v_ffbh_u32_e32 v6, v5
	v_min_u32_e32 v9, 32, v6
	v_subrev_u32_e32 v6, 28, v9
	v_lshlrev_b64 v[6:7], v6, v[2:3]
	v_lshrrev_b32_e32 v8, 3, v31
	v_sub_u32_e32 v2, 29, v9
	v_and_b32_e32 v6, 7, v6
	v_cmp_gt_u32_e32 vcc, 8, v31
	v_cndmask_b32_e32 v2, v8, v2, vcc
	v_cndmask_b32_e32 v5, v5, v6, vcc
	v_lshlrev_b32_e32 v6, 24, v29
	v_lshlrev_b32_e32 v5, 20, v5
	v_and_b32_e32 v6, 0x80000000, v6
	v_lshl_add_u32 v2, v2, 23, v27
	v_or3_b32 v5, v6, v2, v5
.LBB4_3012:                             ;   in Loop: Header=BB4_2868 Depth=2
	s_or_b64 exec, exec, s[56:57]
.LBB4_3013:                             ;   in Loop: Header=BB4_2868 Depth=2
	s_or_b64 exec, exec, s[54:55]
.LBB4_3014:                             ;   in Loop: Header=BB4_2868 Depth=2
	s_or_b64 exec, exec, s[18:19]
	v_and_b32_e32 v2, 0xff, v28
	v_cmp_ne_u16_e32 vcc, 0, v2
	s_and_saveexec_b64 s[18:19], vcc
	s_cbranch_execz .LBB4_3020
; %bb.3015:                             ;   in Loop: Header=BB4_2868 Depth=2
	v_cmp_ne_u16_e32 vcc, s69, v2
	v_bfrev_b32_e32 v3, 1
	s_and_saveexec_b64 s[54:55], vcc
	s_cbranch_execz .LBB4_3019
; %bb.3016:                             ;   in Loop: Header=BB4_2868 Depth=2
	v_and_b32_e32 v29, 0x7f, v28
	v_cmp_ne_u32_e32 vcc, s71, v29
	v_mov_b32_e32 v3, 0x7f800001
	s_and_saveexec_b64 s[56:57], vcc
	s_cbranch_execz .LBB4_3018
; %bb.3017:                             ;   in Loop: Header=BB4_2868 Depth=2
	v_and_b32_e32 v6, 7, v2
	v_ffbh_u32_e32 v3, v6
	v_min_u32_e32 v8, 32, v3
	v_subrev_u32_e32 v3, 28, v8
	v_lshlrev_b64 v[2:3], v3, v[2:3]
	v_lshrrev_b32_e32 v7, 3, v29
	v_sub_u32_e32 v3, 29, v8
	v_and_b32_e32 v2, 7, v2
	v_cmp_gt_u32_e32 vcc, 8, v29
	v_cndmask_b32_e32 v3, v7, v3, vcc
	v_cndmask_b32_e32 v2, v6, v2, vcc
	v_lshlrev_b32_e32 v6, 24, v28
	v_lshlrev_b32_e32 v2, 20, v2
	v_and_b32_e32 v6, 0x80000000, v6
	v_lshl_add_u32 v3, v3, 23, v27
	v_or3_b32 v3, v6, v3, v2
.LBB4_3018:                             ;   in Loop: Header=BB4_2868 Depth=2
	s_or_b64 exec, exec, s[56:57]
.LBB4_3019:                             ;   in Loop: Header=BB4_2868 Depth=2
	s_or_b64 exec, exec, s[54:55]
.LBB4_3020:                             ;   in Loop: Header=BB4_2868 Depth=2
	s_or_b64 exec, exec, s[18:19]
	v_add_f32_e32 v2, v5, v3
	v_and_b32_sdwa v28, v2, s69 dst_sel:DWORD dst_unused:UNUSED_PAD src0_sel:BYTE_3 src1_sel:DWORD
	v_and_b32_e32 v6, 0x7f800000, v2
	v_mov_b32_e32 v7, v53
	v_and_b32_e32 v52, 0x7fffff, v2
	v_or_b32_e32 v5, 0x7e, v28
	v_cmp_ne_u64_e32 vcc, s[38:39], v[6:7]
	s_and_saveexec_b64 s[18:19], vcc
	s_xor_b64 s[54:55], exec, s[18:19]
	s_cbranch_execz .LBB4_3034
; %bb.3021:                             ;   in Loop: Header=BB4_2868 Depth=2
	v_and_b32_e32 v6, 0x7fffffff, v2
	v_mov_b32_e32 v7, v53
	v_cmp_gt_u64_e32 vcc, s[40:41], v[6:7]
	s_and_saveexec_b64 s[18:19], vcc
	s_xor_b64 s[56:57], exec, s[18:19]
	s_cbranch_execz .LBB4_3033
; %bb.3022:                             ;   in Loop: Header=BB4_2868 Depth=2
	v_cmp_ne_u32_e32 vcc, 0, v2
	v_mov_b32_e32 v5, 0
	s_and_saveexec_b64 s[58:59], vcc
	s_cbranch_execz .LBB4_3032
; %bb.3023:                             ;   in Loop: Header=BB4_2868 Depth=2
	v_bfe_u32 v2, v2, 23, 8
	v_sub_u32_e32 v5, 0x79, v2
	v_cmp_gt_u32_e32 vcc, s72, v2
	v_add_u32_e32 v3, 0xffffff81, v2
	v_cndmask_b32_e32 v5, 0, v5, vcc
	v_cmp_eq_u32_e32 vcc, 0, v2
	v_mov_b32_e32 v2, 0xffffff82
	v_cndmask_b32_e32 v29, v3, v2, vcc
	v_mov_b32_e32 v2, 0x78
	v_or_b32_e32 v6, 0x800000, v52
	v_cndmask_b32_e32 v5, v5, v2, vcc
	v_cndmask_b32_e32 v52, v6, v52, vcc
	v_add_u32_e32 v2, 20, v5
	v_lshlrev_b64 v[2:3], v2, -1
	v_lshrrev_b64 v[8:9], v5, v[52:53]
	v_not_b32_e32 v3, v3
	v_not_b32_e32 v2, v2
	v_add_u32_e32 v6, 19, v5
	v_lshrrev_b32_e32 v31, 23, v8
	v_and_b32_e32 v3, 0, v3
	v_and_b32_e32 v2, v52, v2
	v_lshlrev_b64 v[6:7], v6, 1
	v_add3_u32 v31, v5, v29, v31
	v_bfe_u32 v29, v8, 20, 1
	v_add_u32_e32 v29, -1, v29
	v_cmp_eq_u64_e32 vcc, v[2:3], v[6:7]
	v_cndmask_b32_e32 v2, 0, v29, vcc
	v_add_u32_e32 v2, v2, v8
	v_and_b32_e32 v2, 0xfffff, v2
	v_add_co_u32_e32 v2, vcc, v2, v8
	v_add_u32_e32 v5, 6, v31
	v_addc_co_u32_e32 v3, vcc, 0, v9, vcc
	v_cmp_ne_u32_e32 vcc, 0, v5
                                        ; implicit-def: $vgpr29
	s_and_saveexec_b64 s[18:19], vcc
	s_xor_b64 s[18:19], exec, s[18:19]
; %bb.3024:                             ;   in Loop: Header=BB4_2868 Depth=2
	v_add_u32_e32 v6, 7, v31
	v_cmp_lt_u64_e32 vcc, s[44:45], v[2:3]
	v_cndmask_b32_e32 v29, v5, v6, vcc
	v_cndmask_b32_e64 v5, 0, 1, vcc
	v_lshrrev_b64 v[2:3], v5, v[2:3]
; %bb.3025:                             ;   in Loop: Header=BB4_2868 Depth=2
	s_andn2_saveexec_b64 s[18:19], s[18:19]
; %bb.3026:                             ;   in Loop: Header=BB4_2868 Depth=2
	v_bfe_u32 v29, v2, 23, 1
; %bb.3027:                             ;   in Loop: Header=BB4_2868 Depth=2
	s_or_b64 exec, exec, s[18:19]
	v_lshrrev_b64 v[2:3], 20, v[2:3]
	v_cmp_gt_i32_e32 vcc, 16, v29
	v_cndmask_b32_e32 v3, 0, v3, vcc
	v_cndmask_b32_e32 v2, 7, v2, vcc
	v_cmp_ne_u32_e32 vcc, 0, v29
	v_cmp_ne_u64_e64 s[18:19], 0, v[2:3]
	s_or_b64 s[18:19], vcc, s[18:19]
                                        ; implicit-def: $vgpr5
	s_and_saveexec_b64 vcc, s[18:19]
	s_xor_b64 s[18:19], exec, vcc
; %bb.3028:                             ;   in Loop: Header=BB4_2868 Depth=2
	v_min_i32_e32 v3, 15, v29
	v_lshl_or_b32 v3, v3, 3, v28
	v_and_or_b32 v5, v2, 7, v3
                                        ; implicit-def: $vgpr28
; %bb.3029:                             ;   in Loop: Header=BB4_2868 Depth=2
	s_andn2_saveexec_b64 s[18:19], s[18:19]
; %bb.3030:                             ;   in Loop: Header=BB4_2868 Depth=2
	v_mov_b32_e32 v5, v28
; %bb.3031:                             ;   in Loop: Header=BB4_2868 Depth=2
	s_or_b64 exec, exec, s[18:19]
.LBB4_3032:                             ;   in Loop: Header=BB4_2868 Depth=2
	s_or_b64 exec, exec, s[58:59]
.LBB4_3033:                             ;   in Loop: Header=BB4_2868 Depth=2
	s_andn2_saveexec_b64 s[18:19], s[56:57]
	s_or_b64 exec, exec, s[18:19]
                                        ; implicit-def: $vgpr2
.LBB4_3034:                             ;   in Loop: Header=BB4_2868 Depth=2
	s_andn2_saveexec_b64 s[18:19], s[54:55]
; %bb.3035:                             ;   in Loop: Header=BB4_2868 Depth=2
	v_or_b32_sdwa v2, v2, s71 dst_sel:DWORD dst_unused:UNUSED_PAD src0_sel:BYTE_3 src1_sel:DWORD
	v_cmp_eq_u64_e32 vcc, 0, v[52:53]
	v_cndmask_b32_e32 v5, v2, v5, vcc
; %bb.3036:                             ;   in Loop: Header=BB4_2868 Depth=2
	s_or_b64 exec, exec, s[18:19]
	v_and_b32_e32 v2, 0xff, v25
	v_cmp_ne_u16_e32 vcc, 0, v2
	v_mov_b32_e32 v3, 0
	v_mov_b32_e32 v28, 0
	s_and_saveexec_b64 s[18:19], vcc
	s_cbranch_execz .LBB4_3042
; %bb.3037:                             ;   in Loop: Header=BB4_2868 Depth=2
	v_cmp_ne_u16_e32 vcc, s69, v2
	v_bfrev_b32_e32 v28, 1
	s_and_saveexec_b64 s[54:55], vcc
	s_cbranch_execz .LBB4_3041
; %bb.3038:                             ;   in Loop: Header=BB4_2868 Depth=2
	v_and_b32_e32 v29, 0x7f, v25
	v_cmp_ne_u32_e32 vcc, s71, v29
	v_mov_b32_e32 v28, 0x7f800001
	s_and_saveexec_b64 s[56:57], vcc
	s_cbranch_execz .LBB4_3040
; %bb.3039:                             ;   in Loop: Header=BB4_2868 Depth=2
	v_and_b32_e32 v8, 7, v2
	v_ffbh_u32_e32 v6, v8
	v_min_u32_e32 v28, 32, v6
	v_subrev_u32_e32 v6, 28, v28
	v_lshlrev_b64 v[6:7], v6, v[2:3]
	v_lshrrev_b32_e32 v9, 3, v29
	v_sub_u32_e32 v2, 29, v28
	v_and_b32_e32 v6, 7, v6
	v_cmp_gt_u32_e32 vcc, 8, v29
	v_cndmask_b32_e32 v2, v9, v2, vcc
	v_cndmask_b32_e32 v6, v8, v6, vcc
	v_lshlrev_b32_e32 v7, 24, v25
	v_lshlrev_b32_e32 v6, 20, v6
	v_and_b32_e32 v7, 0x80000000, v7
	v_lshl_add_u32 v2, v2, 23, v27
	v_or3_b32 v28, v7, v2, v6
.LBB4_3040:                             ;   in Loop: Header=BB4_2868 Depth=2
	s_or_b64 exec, exec, s[56:57]
.LBB4_3041:                             ;   in Loop: Header=BB4_2868 Depth=2
	s_or_b64 exec, exec, s[54:55]
.LBB4_3042:                             ;   in Loop: Header=BB4_2868 Depth=2
	s_or_b64 exec, exec, s[18:19]
	v_and_b32_e32 v2, 0xff, v24
	v_cmp_ne_u16_e32 vcc, 0, v2
	s_and_saveexec_b64 s[18:19], vcc
	s_cbranch_execz .LBB4_3048
; %bb.3043:                             ;   in Loop: Header=BB4_2868 Depth=2
	v_cmp_ne_u16_e32 vcc, s69, v2
	v_bfrev_b32_e32 v3, 1
	s_and_saveexec_b64 s[54:55], vcc
	s_cbranch_execz .LBB4_3047
; %bb.3044:                             ;   in Loop: Header=BB4_2868 Depth=2
	v_and_b32_e32 v25, 0x7f, v24
	v_cmp_ne_u32_e32 vcc, s71, v25
	v_mov_b32_e32 v3, 0x7f800001
	s_and_saveexec_b64 s[56:57], vcc
	s_cbranch_execz .LBB4_3046
; %bb.3045:                             ;   in Loop: Header=BB4_2868 Depth=2
	v_and_b32_e32 v6, 7, v2
	v_ffbh_u32_e32 v3, v6
	v_min_u32_e32 v8, 32, v3
	v_subrev_u32_e32 v3, 28, v8
	v_lshlrev_b64 v[2:3], v3, v[2:3]
	v_lshrrev_b32_e32 v7, 3, v25
	v_sub_u32_e32 v3, 29, v8
	v_and_b32_e32 v2, 7, v2
	v_cmp_gt_u32_e32 vcc, 8, v25
	v_cndmask_b32_e32 v3, v7, v3, vcc
	v_cndmask_b32_e32 v2, v6, v2, vcc
	v_lshlrev_b32_e32 v6, 24, v24
	v_lshlrev_b32_e32 v2, 20, v2
	v_and_b32_e32 v6, 0x80000000, v6
	v_lshl_add_u32 v3, v3, 23, v27
	v_or3_b32 v3, v6, v3, v2
.LBB4_3046:                             ;   in Loop: Header=BB4_2868 Depth=2
	s_or_b64 exec, exec, s[56:57]
.LBB4_3047:                             ;   in Loop: Header=BB4_2868 Depth=2
	s_or_b64 exec, exec, s[54:55]
.LBB4_3048:                             ;   in Loop: Header=BB4_2868 Depth=2
	s_or_b64 exec, exec, s[18:19]
	v_add_f32_e32 v2, v28, v3
	v_and_b32_sdwa v25, v2, s69 dst_sel:DWORD dst_unused:UNUSED_PAD src0_sel:BYTE_3 src1_sel:DWORD
	v_and_b32_e32 v6, 0x7f800000, v2
	v_mov_b32_e32 v7, v53
	v_and_b32_e32 v52, 0x7fffff, v2
	v_or_b32_e32 v24, 0x7e, v25
	v_cmp_ne_u64_e32 vcc, s[38:39], v[6:7]
	s_and_saveexec_b64 s[18:19], vcc
	s_xor_b64 s[54:55], exec, s[18:19]
	s_cbranch_execz .LBB4_3062
; %bb.3049:                             ;   in Loop: Header=BB4_2868 Depth=2
	v_and_b32_e32 v6, 0x7fffffff, v2
	v_mov_b32_e32 v7, v53
	v_cmp_gt_u64_e32 vcc, s[40:41], v[6:7]
	s_and_saveexec_b64 s[18:19], vcc
	s_xor_b64 s[56:57], exec, s[18:19]
	s_cbranch_execz .LBB4_3061
; %bb.3050:                             ;   in Loop: Header=BB4_2868 Depth=2
	v_cmp_ne_u32_e32 vcc, 0, v2
	v_mov_b32_e32 v24, 0
	s_and_saveexec_b64 s[58:59], vcc
	s_cbranch_execz .LBB4_3060
; %bb.3051:                             ;   in Loop: Header=BB4_2868 Depth=2
	v_bfe_u32 v2, v2, 23, 8
	v_sub_u32_e32 v6, 0x79, v2
	v_cmp_gt_u32_e32 vcc, s72, v2
	v_add_u32_e32 v3, 0xffffff81, v2
	v_cndmask_b32_e32 v6, 0, v6, vcc
	v_cmp_eq_u32_e32 vcc, 0, v2
	v_mov_b32_e32 v2, 0xffffff82
	v_cndmask_b32_e32 v24, v3, v2, vcc
	v_mov_b32_e32 v2, 0x78
	v_or_b32_e32 v7, 0x800000, v52
	v_cndmask_b32_e32 v28, v6, v2, vcc
	v_cndmask_b32_e32 v52, v7, v52, vcc
	v_add_u32_e32 v2, 20, v28
	v_lshlrev_b64 v[2:3], v2, -1
	v_lshrrev_b64 v[8:9], v28, v[52:53]
	v_not_b32_e32 v3, v3
	v_not_b32_e32 v2, v2
	v_add_u32_e32 v6, 19, v28
	v_lshrrev_b32_e32 v29, 23, v8
	v_and_b32_e32 v3, 0, v3
	v_and_b32_e32 v2, v52, v2
	v_lshlrev_b64 v[6:7], v6, 1
	v_add3_u32 v29, v28, v24, v29
	v_bfe_u32 v28, v8, 20, 1
	v_add_u32_e32 v28, -1, v28
	v_cmp_eq_u64_e32 vcc, v[2:3], v[6:7]
	v_cndmask_b32_e32 v2, 0, v28, vcc
	v_add_u32_e32 v2, v2, v8
	v_and_b32_e32 v2, 0xfffff, v2
	v_add_co_u32_e32 v2, vcc, v2, v8
	v_add_u32_e32 v24, 6, v29
	v_addc_co_u32_e32 v3, vcc, 0, v9, vcc
	v_cmp_ne_u32_e32 vcc, 0, v24
                                        ; implicit-def: $vgpr28
	s_and_saveexec_b64 s[18:19], vcc
	s_xor_b64 s[18:19], exec, s[18:19]
; %bb.3052:                             ;   in Loop: Header=BB4_2868 Depth=2
	v_add_u32_e32 v6, 7, v29
	v_cmp_lt_u64_e32 vcc, s[44:45], v[2:3]
	v_cndmask_b32_e32 v28, v24, v6, vcc
	v_cndmask_b32_e64 v6, 0, 1, vcc
	v_lshrrev_b64 v[2:3], v6, v[2:3]
; %bb.3053:                             ;   in Loop: Header=BB4_2868 Depth=2
	s_andn2_saveexec_b64 s[18:19], s[18:19]
; %bb.3054:                             ;   in Loop: Header=BB4_2868 Depth=2
	v_bfe_u32 v28, v2, 23, 1
; %bb.3055:                             ;   in Loop: Header=BB4_2868 Depth=2
	s_or_b64 exec, exec, s[18:19]
	v_lshrrev_b64 v[2:3], 20, v[2:3]
	v_cmp_gt_i32_e32 vcc, 16, v28
	v_cndmask_b32_e32 v3, 0, v3, vcc
	v_cndmask_b32_e32 v2, 7, v2, vcc
	v_cmp_ne_u32_e32 vcc, 0, v28
	v_cmp_ne_u64_e64 s[18:19], 0, v[2:3]
	s_or_b64 s[18:19], vcc, s[18:19]
                                        ; implicit-def: $vgpr24
	s_and_saveexec_b64 vcc, s[18:19]
	s_xor_b64 s[18:19], exec, vcc
; %bb.3056:                             ;   in Loop: Header=BB4_2868 Depth=2
	v_min_i32_e32 v3, 15, v28
	v_lshl_or_b32 v3, v3, 3, v25
	v_and_or_b32 v24, v2, 7, v3
                                        ; implicit-def: $vgpr25
; %bb.3057:                             ;   in Loop: Header=BB4_2868 Depth=2
	s_andn2_saveexec_b64 s[18:19], s[18:19]
; %bb.3058:                             ;   in Loop: Header=BB4_2868 Depth=2
	v_mov_b32_e32 v24, v25
; %bb.3059:                             ;   in Loop: Header=BB4_2868 Depth=2
	s_or_b64 exec, exec, s[18:19]
.LBB4_3060:                             ;   in Loop: Header=BB4_2868 Depth=2
	s_or_b64 exec, exec, s[58:59]
.LBB4_3061:                             ;   in Loop: Header=BB4_2868 Depth=2
	s_andn2_saveexec_b64 s[18:19], s[56:57]
	s_or_b64 exec, exec, s[18:19]
                                        ; implicit-def: $vgpr2
.LBB4_3062:                             ;   in Loop: Header=BB4_2868 Depth=2
	s_andn2_saveexec_b64 s[18:19], s[54:55]
; %bb.3063:                             ;   in Loop: Header=BB4_2868 Depth=2
	v_or_b32_sdwa v2, v2, s71 dst_sel:DWORD dst_unused:UNUSED_PAD src0_sel:BYTE_3 src1_sel:DWORD
	v_cmp_eq_u64_e32 vcc, 0, v[52:53]
	v_cndmask_b32_e32 v24, v2, v24, vcc
; %bb.3064:                             ;   in Loop: Header=BB4_2868 Depth=2
	s_or_b64 exec, exec, s[18:19]
	v_and_b32_e32 v2, 0xff, v22
	v_cmp_ne_u16_e32 vcc, 0, v2
	v_mov_b32_e32 v3, 0
	v_mov_b32_e32 v25, 0
	s_and_saveexec_b64 s[18:19], vcc
	s_cbranch_execz .LBB4_3070
; %bb.3065:                             ;   in Loop: Header=BB4_2868 Depth=2
	v_cmp_ne_u16_e32 vcc, s69, v2
	v_bfrev_b32_e32 v25, 1
	s_and_saveexec_b64 s[54:55], vcc
	s_cbranch_execz .LBB4_3069
; %bb.3066:                             ;   in Loop: Header=BB4_2868 Depth=2
	v_and_b32_e32 v28, 0x7f, v22
	v_cmp_ne_u32_e32 vcc, s71, v28
	v_mov_b32_e32 v25, 0x7f800001
	s_and_saveexec_b64 s[56:57], vcc
	s_cbranch_execz .LBB4_3068
; %bb.3067:                             ;   in Loop: Header=BB4_2868 Depth=2
	v_and_b32_e32 v8, 7, v2
	v_ffbh_u32_e32 v6, v8
	v_min_u32_e32 v25, 32, v6
	v_subrev_u32_e32 v6, 28, v25
	v_lshlrev_b64 v[6:7], v6, v[2:3]
	v_lshrrev_b32_e32 v9, 3, v28
	v_sub_u32_e32 v2, 29, v25
	v_and_b32_e32 v6, 7, v6
	v_cmp_gt_u32_e32 vcc, 8, v28
	v_cndmask_b32_e32 v2, v9, v2, vcc
	v_cndmask_b32_e32 v6, v8, v6, vcc
	v_lshlrev_b32_e32 v7, 24, v22
	v_lshlrev_b32_e32 v6, 20, v6
	v_and_b32_e32 v7, 0x80000000, v7
	v_lshl_add_u32 v2, v2, 23, v27
	v_or3_b32 v25, v7, v2, v6
.LBB4_3068:                             ;   in Loop: Header=BB4_2868 Depth=2
	s_or_b64 exec, exec, s[56:57]
.LBB4_3069:                             ;   in Loop: Header=BB4_2868 Depth=2
	s_or_b64 exec, exec, s[54:55]
.LBB4_3070:                             ;   in Loop: Header=BB4_2868 Depth=2
	s_or_b64 exec, exec, s[18:19]
	v_and_b32_e32 v2, 0xff, v21
	v_cmp_ne_u16_e32 vcc, 0, v2
	s_and_saveexec_b64 s[18:19], vcc
	s_cbranch_execz .LBB4_3076
; %bb.3071:                             ;   in Loop: Header=BB4_2868 Depth=2
	v_cmp_ne_u16_e32 vcc, s69, v2
	v_bfrev_b32_e32 v3, 1
	s_and_saveexec_b64 s[54:55], vcc
	s_cbranch_execz .LBB4_3075
; %bb.3072:                             ;   in Loop: Header=BB4_2868 Depth=2
	v_and_b32_e32 v22, 0x7f, v21
	v_cmp_ne_u32_e32 vcc, s71, v22
	v_mov_b32_e32 v3, 0x7f800001
	s_and_saveexec_b64 s[56:57], vcc
	s_cbranch_execz .LBB4_3074
; %bb.3073:                             ;   in Loop: Header=BB4_2868 Depth=2
	v_and_b32_e32 v6, 7, v2
	v_ffbh_u32_e32 v3, v6
	v_min_u32_e32 v8, 32, v3
	v_subrev_u32_e32 v3, 28, v8
	v_lshlrev_b64 v[2:3], v3, v[2:3]
	v_lshrrev_b32_e32 v7, 3, v22
	v_sub_u32_e32 v3, 29, v8
	v_and_b32_e32 v2, 7, v2
	v_cmp_gt_u32_e32 vcc, 8, v22
	v_cndmask_b32_e32 v3, v7, v3, vcc
	v_cndmask_b32_e32 v2, v6, v2, vcc
	v_lshlrev_b32_e32 v6, 24, v21
	v_lshlrev_b32_e32 v2, 20, v2
	v_and_b32_e32 v6, 0x80000000, v6
	v_lshl_add_u32 v3, v3, 23, v27
	v_or3_b32 v3, v6, v3, v2
.LBB4_3074:                             ;   in Loop: Header=BB4_2868 Depth=2
	s_or_b64 exec, exec, s[56:57]
.LBB4_3075:                             ;   in Loop: Header=BB4_2868 Depth=2
	s_or_b64 exec, exec, s[54:55]
.LBB4_3076:                             ;   in Loop: Header=BB4_2868 Depth=2
	s_or_b64 exec, exec, s[18:19]
	v_add_f32_e32 v2, v25, v3
	v_and_b32_sdwa v21, v2, s69 dst_sel:DWORD dst_unused:UNUSED_PAD src0_sel:BYTE_3 src1_sel:DWORD
	v_and_b32_e32 v6, 0x7f800000, v2
	v_mov_b32_e32 v7, v53
	v_and_b32_e32 v52, 0x7fffff, v2
	v_or_b32_e32 v3, 0x7e, v21
	v_cmp_ne_u64_e32 vcc, s[38:39], v[6:7]
	s_and_saveexec_b64 s[18:19], vcc
	s_xor_b64 s[54:55], exec, s[18:19]
	s_cbranch_execz .LBB4_3090
; %bb.3077:                             ;   in Loop: Header=BB4_2868 Depth=2
	v_and_b32_e32 v6, 0x7fffffff, v2
	v_mov_b32_e32 v7, v53
	v_cmp_gt_u64_e32 vcc, s[40:41], v[6:7]
	s_and_saveexec_b64 s[18:19], vcc
	s_xor_b64 s[56:57], exec, s[18:19]
	s_cbranch_execz .LBB4_3089
; %bb.3078:                             ;   in Loop: Header=BB4_2868 Depth=2
	v_cmp_ne_u32_e32 vcc, 0, v2
	v_mov_b32_e32 v3, 0
	s_and_saveexec_b64 s[58:59], vcc
	s_cbranch_execz .LBB4_3088
; %bb.3079:                             ;   in Loop: Header=BB4_2868 Depth=2
	v_bfe_u32 v2, v2, 23, 8
	v_sub_u32_e32 v6, 0x79, v2
	v_cmp_gt_u32_e32 vcc, s72, v2
	v_add_u32_e32 v3, 0xffffff81, v2
	v_cndmask_b32_e32 v6, 0, v6, vcc
	v_cmp_eq_u32_e32 vcc, 0, v2
	v_mov_b32_e32 v2, 0xffffff82
	v_cndmask_b32_e32 v22, v3, v2, vcc
	v_mov_b32_e32 v2, 0x78
	v_or_b32_e32 v7, 0x800000, v52
	v_cndmask_b32_e32 v25, v6, v2, vcc
	v_cndmask_b32_e32 v52, v7, v52, vcc
	v_add_u32_e32 v2, 20, v25
	v_lshlrev_b64 v[2:3], v2, -1
	v_lshrrev_b64 v[8:9], v25, v[52:53]
	v_not_b32_e32 v3, v3
	v_not_b32_e32 v2, v2
	v_add_u32_e32 v6, 19, v25
	v_lshrrev_b32_e32 v28, 23, v8
	v_and_b32_e32 v3, 0, v3
	v_and_b32_e32 v2, v52, v2
	v_lshlrev_b64 v[6:7], v6, 1
	v_add3_u32 v28, v25, v22, v28
	v_bfe_u32 v22, v8, 20, 1
	v_add_u32_e32 v22, -1, v22
	v_cmp_eq_u64_e32 vcc, v[2:3], v[6:7]
	v_cndmask_b32_e32 v2, 0, v22, vcc
	v_add_u32_e32 v2, v2, v8
	v_and_b32_e32 v2, 0xfffff, v2
	v_add_co_u32_e32 v2, vcc, v2, v8
	v_add_u32_e32 v25, 6, v28
	v_addc_co_u32_e32 v3, vcc, 0, v9, vcc
	v_cmp_ne_u32_e32 vcc, 0, v25
                                        ; implicit-def: $vgpr22
	s_and_saveexec_b64 s[18:19], vcc
	s_xor_b64 s[18:19], exec, s[18:19]
; %bb.3080:                             ;   in Loop: Header=BB4_2868 Depth=2
	v_add_u32_e32 v6, 7, v28
	v_cmp_lt_u64_e32 vcc, s[44:45], v[2:3]
	v_cndmask_b32_e32 v22, v25, v6, vcc
	v_cndmask_b32_e64 v6, 0, 1, vcc
	v_lshrrev_b64 v[2:3], v6, v[2:3]
; %bb.3081:                             ;   in Loop: Header=BB4_2868 Depth=2
	s_andn2_saveexec_b64 s[18:19], s[18:19]
; %bb.3082:                             ;   in Loop: Header=BB4_2868 Depth=2
	v_bfe_u32 v22, v2, 23, 1
; %bb.3083:                             ;   in Loop: Header=BB4_2868 Depth=2
	s_or_b64 exec, exec, s[18:19]
	v_lshrrev_b64 v[2:3], 20, v[2:3]
	v_cmp_gt_i32_e32 vcc, 16, v22
	v_cndmask_b32_e32 v3, 0, v3, vcc
	v_cndmask_b32_e32 v2, 7, v2, vcc
	v_cmp_ne_u32_e32 vcc, 0, v22
	v_cmp_ne_u64_e64 s[18:19], 0, v[2:3]
	s_or_b64 s[18:19], vcc, s[18:19]
                                        ; implicit-def: $vgpr3
	s_and_saveexec_b64 vcc, s[18:19]
	s_xor_b64 s[18:19], exec, vcc
; %bb.3084:                             ;   in Loop: Header=BB4_2868 Depth=2
	v_min_i32_e32 v3, 15, v22
	v_lshl_or_b32 v3, v3, 3, v21
	v_and_or_b32 v3, v2, 7, v3
                                        ; implicit-def: $vgpr21
; %bb.3085:                             ;   in Loop: Header=BB4_2868 Depth=2
	s_andn2_saveexec_b64 s[18:19], s[18:19]
; %bb.3086:                             ;   in Loop: Header=BB4_2868 Depth=2
	v_mov_b32_e32 v3, v21
; %bb.3087:                             ;   in Loop: Header=BB4_2868 Depth=2
	s_or_b64 exec, exec, s[18:19]
.LBB4_3088:                             ;   in Loop: Header=BB4_2868 Depth=2
	s_or_b64 exec, exec, s[58:59]
.LBB4_3089:                             ;   in Loop: Header=BB4_2868 Depth=2
	s_andn2_saveexec_b64 s[18:19], s[56:57]
	s_or_b64 exec, exec, s[18:19]
                                        ; implicit-def: $vgpr2
.LBB4_3090:                             ;   in Loop: Header=BB4_2868 Depth=2
	s_andn2_saveexec_b64 s[18:19], s[54:55]
	s_cbranch_execz .LBB4_2867
; %bb.3091:                             ;   in Loop: Header=BB4_2868 Depth=2
	v_or_b32_sdwa v2, v2, s71 dst_sel:DWORD dst_unused:UNUSED_PAD src0_sel:BYTE_3 src1_sel:DWORD
	v_cmp_eq_u64_e32 vcc, 0, v[52:53]
	v_cndmask_b32_e32 v3, v2, v3, vcc
	s_branch .LBB4_2867
.LBB4_3092:                             ;   in Loop: Header=BB4_1630 Depth=1
	s_or_b64 exec, exec, s[52:53]
	v_accvgpr_read_b32 v6, a34
.LBB4_3093:                             ;   in Loop: Header=BB4_1630 Depth=1
	s_or_b64 exec, exec, s[50:51]
	v_lshlrev_b32_e32 v2, 9, v19
	v_cmp_ne_u32_e32 vcc, v17, v2
	s_and_b64 exec, exec, vcc
	s_cbranch_execz .LBB4_3125
; %bb.3094:                             ;   in Loop: Header=BB4_1630 Depth=1
	v_add_u32_e32 v1, v18, v1
	v_and_b32_e32 v1, 0xffffffc0, v1
	v_sub_u32_e32 v1, v18, v1
	v_lshlrev_b32_e32 v0, 6, v0
	v_sub_u32_e32 v0, v1, v0
	v_add_u32_e32 v1, v2, v0
	v_sub_u32_e32 v0, v17, v1
	v_cmp_lt_i32_e32 vcc, 0, v0
	s_and_b64 exec, exec, vcc
	s_cbranch_execz .LBB4_3125
; %bb.3095:                             ;   in Loop: Header=BB4_1630 Depth=1
	s_trap 2
	ds_read_b128 v[2:5], v0
	ds_read_b64 v[6:7], v0
	v_add_u32_e32 v1, v1, v16
	v_ashrrev_i32_e32 v8, 31, v1
	s_mov_b64 s[50:51], 0
	s_waitcnt lgkmcnt(0)
	v_add_co_u32_e32 v10, vcc, v2, v1
	v_addc_co_u32_e32 v11, vcc, v3, v8, vcc
	v_add_co_u32_e32 v12, vcc, v4, v1
	v_addc_co_u32_e32 v13, vcc, v5, v8, vcc
	;; [unrolled: 2-line block ×3, first 2 shown]
	v_accvgpr_read_b32 v6, a34
	s_branch .LBB4_3097
.LBB4_3096:                             ;   in Loop: Header=BB4_3097 Depth=2
	s_or_b64 exec, exec, s[18:19]
	v_accvgpr_read_b32 v2, a32
	v_add_co_u32_e32 v10, vcc, v10, v2
	v_accvgpr_read_b32 v1, a33
	v_addc_co_u32_e32 v11, vcc, v11, v1, vcc
	v_add_co_u32_e32 v12, vcc, v12, v2
	v_addc_co_u32_e32 v13, vcc, v13, v1, vcc
	v_sub_u32_e32 v0, v0, v2
	v_cmp_gt_i32_e32 vcc, 1, v0
	flat_store_byte v[14:15], v3 glc slc
	s_or_b64 s[50:51], vcc, s[50:51]
	v_add_co_u32_e32 v14, vcc, v14, v2
	v_addc_co_u32_e32 v15, vcc, v15, v1, vcc
	s_andn2_b64 exec, exec, s[50:51]
	s_cbranch_execz .LBB4_3125
.LBB4_3097:                             ;   Parent Loop BB4_1630 Depth=1
                                        ; =>  This Inner Loop Header: Depth=2
	flat_load_ubyte v5, v[10:11] glc slc
	flat_load_ubyte v3, v[12:13] glc slc
	v_mov_b32_e32 v1, 0
	v_mov_b32_e32 v4, 0
	s_waitcnt vmcnt(0) lgkmcnt(0)
	v_cmp_ne_u16_e32 vcc, 0, v5
	s_and_saveexec_b64 s[18:19], vcc
	s_cbranch_execz .LBB4_3103
; %bb.3098:                             ;   in Loop: Header=BB4_3097 Depth=2
	v_cmp_ne_u16_e32 vcc, s69, v5
	v_bfrev_b32_e32 v4, 1
	s_and_saveexec_b64 s[52:53], vcc
	s_cbranch_execz .LBB4_3102
; %bb.3099:                             ;   in Loop: Header=BB4_3097 Depth=2
	v_and_b32_e32 v2, 0xffff, v5
	v_and_b32_e32 v16, 0x7f, v2
	v_cmp_ne_u32_e32 vcc, s71, v16
	v_mov_b32_e32 v4, 0x7f800001
	s_and_saveexec_b64 s[54:55], vcc
	s_cbranch_execz .LBB4_3101
; %bb.3100:                             ;   in Loop: Header=BB4_3097 Depth=2
	v_and_b32_e32 v4, 7, v2
	v_ffbh_u32_e32 v6, v4
	v_min_u32_e32 v9, 32, v6
	v_subrev_u32_e32 v6, 28, v9
	v_lshlrev_b64 v[6:7], v6, v[2:3]
	v_lshrrev_b32_e32 v8, 3, v16
	v_sub_u32_e32 v2, 29, v9
	v_and_b32_e32 v6, 7, v6
	v_cmp_gt_u32_e32 vcc, 8, v16
	v_cndmask_b32_e32 v2, v8, v2, vcc
	v_cndmask_b32_e32 v4, v4, v6, vcc
	v_lshlrev_b32_e32 v5, 24, v5
	v_lshlrev_b32_e32 v4, 20, v4
	v_and_b32_e32 v5, 0x80000000, v5
	v_lshl_add_u32 v2, v2, 23, v27
	v_accvgpr_read_b32 v6, a34
	v_or3_b32 v4, v5, v2, v4
.LBB4_3101:                             ;   in Loop: Header=BB4_3097 Depth=2
	s_or_b64 exec, exec, s[54:55]
.LBB4_3102:                             ;   in Loop: Header=BB4_3097 Depth=2
	s_or_b64 exec, exec, s[52:53]
.LBB4_3103:                             ;   in Loop: Header=BB4_3097 Depth=2
	s_or_b64 exec, exec, s[18:19]
	v_and_b32_e32 v2, 0xff, v3
	v_cmp_ne_u16_e32 vcc, 0, v2
	s_and_saveexec_b64 s[18:19], vcc
	s_cbranch_execz .LBB4_3109
; %bb.3104:                             ;   in Loop: Header=BB4_3097 Depth=2
	v_cmp_ne_u16_e32 vcc, s69, v2
	v_bfrev_b32_e32 v1, 1
	s_and_saveexec_b64 s[52:53], vcc
	s_cbranch_execz .LBB4_3108
; %bb.3105:                             ;   in Loop: Header=BB4_3097 Depth=2
	v_and_b32_e32 v5, 0x7f, v3
	v_cmp_ne_u32_e32 vcc, s71, v5
	v_mov_b32_e32 v1, 0x7f800001
	s_and_saveexec_b64 s[54:55], vcc
	s_cbranch_execz .LBB4_3107
; %bb.3106:                             ;   in Loop: Header=BB4_3097 Depth=2
	v_and_b32_e32 v1, 7, v2
	v_lshlrev_b32_e32 v3, 24, v3
	v_and_b32_e32 v7, 0x80000000, v3
	v_ffbh_u32_e32 v3, v1
	v_min_u32_e32 v8, 32, v3
	v_subrev_u32_e32 v3, 28, v8
	v_lshlrev_b64 v[2:3], v3, v[2:3]
	v_lshrrev_b32_e32 v6, 3, v5
	v_sub_u32_e32 v3, 29, v8
	v_and_b32_e32 v2, 7, v2
	v_cmp_gt_u32_e32 vcc, 8, v5
	v_cndmask_b32_e32 v3, v6, v3, vcc
	v_cndmask_b32_e32 v1, v1, v2, vcc
	v_lshlrev_b32_e32 v1, 20, v1
	v_lshl_add_u32 v2, v3, 23, v27
	v_or3_b32 v1, v7, v2, v1
	v_accvgpr_read_b32 v6, a34
.LBB4_3107:                             ;   in Loop: Header=BB4_3097 Depth=2
	s_or_b64 exec, exec, s[54:55]
.LBB4_3108:                             ;   in Loop: Header=BB4_3097 Depth=2
	s_or_b64 exec, exec, s[52:53]
.LBB4_3109:                             ;   in Loop: Header=BB4_3097 Depth=2
	s_or_b64 exec, exec, s[18:19]
	v_add_f32_e32 v2, v4, v1
	v_and_b32_sdwa v1, v2, s69 dst_sel:DWORD dst_unused:UNUSED_PAD src0_sel:BYTE_3 src1_sel:DWORD
	v_and_b32_e32 v4, 0x7f800000, v2
	v_mov_b32_e32 v5, v53
	v_and_b32_e32 v52, 0x7fffff, v2
	v_or_b32_e32 v3, 0x7e, v1
	v_cmp_ne_u64_e32 vcc, s[38:39], v[4:5]
	s_and_saveexec_b64 s[18:19], vcc
	s_xor_b64 s[52:53], exec, s[18:19]
	s_cbranch_execz .LBB4_3123
; %bb.3110:                             ;   in Loop: Header=BB4_3097 Depth=2
	v_and_b32_e32 v4, 0x7fffffff, v2
	v_mov_b32_e32 v5, v53
	v_cmp_gt_u64_e32 vcc, s[40:41], v[4:5]
	s_and_saveexec_b64 s[18:19], vcc
	s_xor_b64 s[54:55], exec, s[18:19]
	s_cbranch_execz .LBB4_3122
; %bb.3111:                             ;   in Loop: Header=BB4_3097 Depth=2
	v_cmp_ne_u32_e32 vcc, 0, v2
	v_mov_b32_e32 v3, 0
	s_and_saveexec_b64 s[56:57], vcc
	s_cbranch_execz .LBB4_3121
; %bb.3112:                             ;   in Loop: Header=BB4_3097 Depth=2
	v_bfe_u32 v2, v2, 23, 8
	v_sub_u32_e32 v4, 0x79, v2
	v_cmp_gt_u32_e32 vcc, s72, v2
	v_add_u32_e32 v3, 0xffffff81, v2
	v_cndmask_b32_e32 v4, 0, v4, vcc
	v_cmp_eq_u32_e32 vcc, 0, v2
	v_mov_b32_e32 v2, 0xffffff82
	v_cndmask_b32_e32 v16, v3, v2, vcc
	v_mov_b32_e32 v2, 0x78
	v_or_b32_e32 v5, 0x800000, v52
	v_cndmask_b32_e32 v4, v4, v2, vcc
	v_cndmask_b32_e32 v52, v5, v52, vcc
	v_add_u32_e32 v2, 20, v4
	v_lshlrev_b64 v[2:3], v2, -1
	v_add_u32_e32 v5, 19, v4
	v_lshrrev_b64 v[8:9], v4, v[52:53]
	v_not_b32_e32 v3, v3
	v_not_b32_e32 v2, v2
	v_lshlrev_b64 v[6:7], v5, 1
	v_lshrrev_b32_e32 v5, 23, v8
	v_and_b32_e32 v3, 0, v3
	v_and_b32_e32 v2, v52, v2
	v_add3_u32 v16, v4, v16, v5
	v_bfe_u32 v4, v8, 20, 1
	v_add_u32_e32 v4, -1, v4
	v_cmp_eq_u64_e32 vcc, v[2:3], v[6:7]
	v_cndmask_b32_e32 v2, 0, v4, vcc
	v_add_u32_e32 v2, v2, v8
	v_and_b32_e32 v2, 0xfffff, v2
	v_add_co_u32_e32 v2, vcc, v2, v8
	v_add_u32_e32 v5, 6, v16
	v_addc_co_u32_e32 v3, vcc, 0, v9, vcc
	v_cmp_ne_u32_e32 vcc, 0, v5
                                        ; implicit-def: $vgpr4
	s_and_saveexec_b64 s[18:19], vcc
	s_xor_b64 s[18:19], exec, s[18:19]
; %bb.3113:                             ;   in Loop: Header=BB4_3097 Depth=2
	v_add_u32_e32 v4, 7, v16
	v_cmp_lt_u64_e32 vcc, s[44:45], v[2:3]
	v_cndmask_b32_e32 v4, v5, v4, vcc
	v_cndmask_b32_e64 v5, 0, 1, vcc
	v_lshrrev_b64 v[2:3], v5, v[2:3]
; %bb.3114:                             ;   in Loop: Header=BB4_3097 Depth=2
	s_andn2_saveexec_b64 s[18:19], s[18:19]
; %bb.3115:                             ;   in Loop: Header=BB4_3097 Depth=2
	v_bfe_u32 v4, v2, 23, 1
; %bb.3116:                             ;   in Loop: Header=BB4_3097 Depth=2
	s_or_b64 exec, exec, s[18:19]
	v_lshrrev_b64 v[2:3], 20, v[2:3]
	v_cmp_gt_i32_e32 vcc, 16, v4
	v_cndmask_b32_e32 v3, 0, v3, vcc
	v_cndmask_b32_e32 v2, 7, v2, vcc
	v_cmp_ne_u32_e32 vcc, 0, v4
	v_cmp_ne_u64_e64 s[18:19], 0, v[2:3]
	s_or_b64 s[18:19], vcc, s[18:19]
                                        ; implicit-def: $vgpr3
	s_mov_b64 vcc, exec
	s_and_b64 s[58:59], vcc, s[18:19]
	s_xor_b64 s[18:19], s[58:59], vcc
	v_accvgpr_read_b32 v6, a34
	s_mov_b64 exec, s[58:59]
; %bb.3117:                             ;   in Loop: Header=BB4_3097 Depth=2
	v_min_i32_e32 v3, 15, v4
	v_lshl_or_b32 v1, v3, 3, v1
	v_and_or_b32 v3, v2, 7, v1
                                        ; implicit-def: $vgpr1
; %bb.3118:                             ;   in Loop: Header=BB4_3097 Depth=2
	s_andn2_saveexec_b64 s[18:19], s[18:19]
; %bb.3119:                             ;   in Loop: Header=BB4_3097 Depth=2
	v_mov_b32_e32 v3, v1
; %bb.3120:                             ;   in Loop: Header=BB4_3097 Depth=2
	s_or_b64 exec, exec, s[18:19]
.LBB4_3121:                             ;   in Loop: Header=BB4_3097 Depth=2
	s_or_b64 exec, exec, s[56:57]
.LBB4_3122:                             ;   in Loop: Header=BB4_3097 Depth=2
	s_andn2_saveexec_b64 s[18:19], s[54:55]
	s_or_b64 exec, exec, s[18:19]
                                        ; implicit-def: $vgpr2
.LBB4_3123:                             ;   in Loop: Header=BB4_3097 Depth=2
	s_andn2_saveexec_b64 s[18:19], s[52:53]
	s_cbranch_execz .LBB4_3096
; %bb.3124:                             ;   in Loop: Header=BB4_3097 Depth=2
	v_or_b32_sdwa v1, v2, s71 dst_sel:DWORD dst_unused:UNUSED_PAD src0_sel:BYTE_3 src1_sel:DWORD
	v_cmp_eq_u64_e32 vcc, 0, v[52:53]
	v_cndmask_b32_e32 v3, v1, v3, vcc
	s_branch .LBB4_3096
.LBB4_3125:                             ;   in Loop: Header=BB4_1630 Depth=1
	s_or_b64 exec, exec, s[20:21]
	v_cmp_ne_u32_e64 s[18:19], 0, v41
.LBB4_3126:                             ;   in Loop: Header=BB4_1630 Depth=1
	s_and_saveexec_b64 s[20:21], s[10:11]
	s_cbranch_execz .LBB4_3145
; %bb.3127:                             ;   in Loop: Header=BB4_1630 Depth=1
	s_and_saveexec_b64 vcc, s[30:31]
	s_xor_b64 s[50:51], exec, vcc
	s_cbranch_execz .LBB4_3142
; %bb.3128:                             ;   in Loop: Header=BB4_1630 Depth=1
	s_and_saveexec_b64 s[52:53], s[12:13]
	s_cbranch_execz .LBB4_3141
; %bb.3129:                             ;   in Loop: Header=BB4_1630 Depth=1
	s_mov_b64 s[56:57], exec
	v_mbcnt_lo_u32_b32 v0, s56, 0
	v_mbcnt_hi_u32_b32 v0, s57, v0
	v_cmp_eq_u32_e32 vcc, 0, v0
	s_waitcnt vmcnt(0) lgkmcnt(0)
	buffer_wbinvl1_vol
	s_and_saveexec_b64 s[54:55], vcc
	s_cbranch_execz .LBB4_3131
; %bb.3130:                             ;   in Loop: Header=BB4_1630 Depth=1
	s_bcnt1_i32_b64 vcc_lo, s[56:57]
	v_mov_b32_e32 v52, vcc_lo
	ds_add_u64 v0, v[52:53]
	s_trap 2
.LBB4_3131:                             ;   in Loop: Header=BB4_1630 Depth=1
	s_or_b64 exec, exec, s[54:55]
	s_trap 2
	ds_read_b64 v[0:1], v0
	v_accvgpr_read_b32 v2, a22
	v_add_co_u32_e32 v38, vcc, v38, v2
	v_addc_co_u32_e32 v39, vcc, 0, v39, vcc
	s_waitcnt lgkmcnt(0)
	v_cmp_lt_u64_e32 vcc, v[0:1], v[38:39]
	s_and_saveexec_b64 s[54:55], vcc
	s_cbranch_execz .LBB4_3140
; %bb.3132:                             ;   in Loop: Header=BB4_1630 Depth=1
	s_mov_b32 s74, 0
	s_mov_b64 s[56:57], 0
                                        ; implicit-def: $sgpr58_sgpr59
                                        ; implicit-def: $sgpr60_sgpr61
	s_branch .LBB4_3134
.LBB4_3133:                             ;   in Loop: Header=BB4_3134 Depth=2
	s_or_b64 exec, exec, s[64:65]
	s_and_b64 vcc, exec, vcc
	s_or_b64 s[56:57], vcc, s[56:57]
	s_andn2_b64 vcc, s[58:59], exec
	s_and_b64 s[58:59], s[60:61], exec
	s_or_b64 s[58:59], vcc, s[58:59]
	s_andn2_b64 exec, exec, s[56:57]
	s_cbranch_execz .LBB4_3138
.LBB4_3134:                             ;   Parent Loop BB4_1630 Depth=1
                                        ; =>  This Inner Loop Header: Depth=2
	s_add_i32 s74, s74, 1
	s_cmpk_lg_i32 s74, 0x2710
	s_cselect_b64 s[62:63], -1, 0
	s_and_b64 vcc, exec, s[62:63]
                                        ; implicit-def: $sgpr64_sgpr65
	s_cbranch_vccnz .LBB4_3136
; %bb.3135:                             ;   in Loop: Header=BB4_3134 Depth=2
	s_trap 2
	ds_read_b64 v[0:1], v0
	s_andn2_b64 s[62:63], s[62:63], exec
	s_mov_b32 s74, 0
	s_mov_b64 s[64:65], -1
	s_waitcnt lgkmcnt(0)
	flat_load_dword v0, v[0:1] glc
	s_waitcnt vmcnt(0) lgkmcnt(0)
	buffer_invl2
	buffer_wbinvl1_vol
	v_cmp_eq_u32_e32 vcc, 0, v0
	s_and_b64 vcc, vcc, exec
	s_or_b64 s[62:63], s[62:63], vcc
.LBB4_3136:                             ;   in Loop: Header=BB4_3134 Depth=2
	s_andn2_b64 s[60:61], s[60:61], exec
	s_and_b64 s[64:65], s[64:65], exec
	s_mov_b64 vcc, -1
	s_or_b64 s[60:61], s[60:61], s[64:65]
	s_and_saveexec_b64 s[64:65], s[62:63]
	s_cbranch_execz .LBB4_3133
; %bb.3137:                             ;   in Loop: Header=BB4_3134 Depth=2
	s_sleep 1
	s_trap 2
	ds_read_b64 v[0:1], v0
	s_andn2_b64 s[60:61], s[60:61], exec
	s_waitcnt lgkmcnt(0)
	v_cmp_ge_u64_e32 vcc, v[0:1], v[38:39]
	s_orn2_b64 vcc, vcc, exec
	s_branch .LBB4_3133
.LBB4_3138:                             ;   in Loop: Header=BB4_1630 Depth=1
	s_or_b64 exec, exec, s[56:57]
	s_and_saveexec_b64 vcc, s[58:59]
	s_xor_b64 vcc, exec, vcc
	s_cbranch_execz .LBB4_3140
; %bb.3139:                             ;   in Loop: Header=BB4_1630 Depth=1
	v_mov_b32_e32 v0, 1
	ds_write_b32 v0, v0
	s_trap 2
.LBB4_3140:                             ;   in Loop: Header=BB4_1630 Depth=1
	s_or_b64 exec, exec, s[54:55]
	;;#ASMSTART
	s_wakeup
	;;#ASMEND
.LBB4_3141:                             ;   in Loop: Header=BB4_1630 Depth=1
	s_or_b64 exec, exec, s[52:53]
.LBB4_3142:                             ;   in Loop: Header=BB4_1630 Depth=1
	s_andn2_saveexec_b64 vcc, s[50:51]
	s_cbranch_execz .LBB4_3144
; %bb.3143:                             ;   in Loop: Header=BB4_1630 Depth=1
	s_waitcnt vmcnt(0) lgkmcnt(0)
	buffer_wbinvl1_vol
	s_barrier
.LBB4_3144:                             ;   in Loop: Header=BB4_1630 Depth=1
	s_or_b64 exec, exec, vcc
.LBB4_3145:                             ;   in Loop: Header=BB4_1630 Depth=1
	s_or_b64 exec, exec, s[20:21]
	v_and_b32_e32 v0, 16, v62
	v_cmp_ne_u32_e32 vcc, 0, v0
	s_and_b64 s[20:21], vcc, s[18:19]
	s_and_saveexec_b64 s[18:19], s[20:21]
	s_cbranch_execz .LBB4_3147
; %bb.3146:                             ;   in Loop: Header=BB4_1630 Depth=1
	s_waitcnt vmcnt(0) lgkmcnt(0)
	buffer_wbinvl1_vol
.LBB4_3147:                             ;   in Loop: Header=BB4_1630 Depth=1
	s_or_b64 exec, exec, s[18:19]
	v_and_b32_e32 v0, 32, v62
	v_cmp_ne_u32_e32 vcc, 0, v0
	s_and_saveexec_b64 s[18:19], vcc
	s_cbranch_execz .LBB4_3149
; %bb.3148:                             ;   in Loop: Header=BB4_1630 Depth=1
	v_accvgpr_read_b32 v0, a12
	v_accvgpr_read_b32 v2, a14
	;; [unrolled: 1-line block ×3, first 2 shown]
	v_add_co_u32_e32 v2, vcc, 1, v2
	v_addc_co_u32_e32 v3, vcc, 0, v3, vcc
	v_accvgpr_read_b32 v1, a13
	v_accvgpr_write_b32 a15, v3
	v_accvgpr_write_b32 a14, v2
	;; [unrolled: 1-line block ×4, first 2 shown]
	flat_store_dwordx2 v[32:33], v[2:3]
.LBB4_3149:                             ;   in Loop: Header=BB4_1630 Depth=1
	s_or_b64 exec, exec, s[18:19]
	v_mov_b32_e32 v0, v40
.LBB4_3150:                             ;   in Loop: Header=BB4_1630 Depth=1
	s_or_b64 exec, exec, s[48:49]
	s_and_saveexec_b64 s[20:21], s[46:47]
	s_cbranch_execz .LBB4_1629
; %bb.3151:                             ;   in Loop: Header=BB4_1630 Depth=1
	v_and_b32_e32 v1, 4, v62
	v_cmp_ne_u32_e32 vcc, 0, v1
	s_mov_b64 s[46:47], -1
	s_and_saveexec_b64 s[18:19], vcc
	s_cbranch_execnz .LBB4_3154
; %bb.3152:                             ;   in Loop: Header=BB4_1630 Depth=1
	s_or_b64 exec, exec, s[18:19]
	s_xor_b64 s[18:19], s[46:47], -1
	s_and_saveexec_b64 s[46:47], s[18:19]
	s_cbranch_execnz .LBB4_3165
.LBB4_3153:                             ;   in Loop: Header=BB4_1630 Depth=1
	s_or_b64 exec, exec, s[46:47]
	s_and_saveexec_b64 s[18:19], s[10:11]
	s_cbranch_execnz .LBB4_3174
	s_branch .LBB4_3192
.LBB4_3154:                             ;   in Loop: Header=BB4_1630 Depth=1
	v_accvgpr_read_b32 v2, a12
	v_accvgpr_read_b32 v4, a14
	;; [unrolled: 1-line block ×3, first 2 shown]
	v_add_co_u32_e32 v10, vcc, 1, v4
	v_addc_co_u32_e32 v11, vcc, 0, v5, vcc
	v_cmp_lt_u64_e32 vcc, v[36:37], v[10:11]
	v_mov_b32_e32 v1, 1
	v_accvgpr_read_b32 v3, a13
	s_and_saveexec_b64 s[46:47], vcc
	s_cbranch_execz .LBB4_3164
; %bb.3155:                             ;   in Loop: Header=BB4_1630 Depth=1
	s_mov_b64 s[48:49], 0
	v_mov_b32_e32 v1, 0
                                        ; implicit-def: $sgpr50_sgpr51
	s_branch .LBB4_3159
.LBB4_3156:                             ;   in Loop: Header=BB4_3159 Depth=2
	s_or_b64 exec, exec, s[58:59]
	v_mov_b32_e32 v2, 0
	s_orn2_b64 s[56:57], s[56:57], exec
.LBB4_3157:                             ;   in Loop: Header=BB4_3159 Depth=2
	s_or_b64 exec, exec, s[54:55]
	s_andn2_b64 vcc, s[50:51], exec
	s_and_b64 s[50:51], s[56:57], exec
	s_or_b64 s[50:51], vcc, s[50:51]
	v_mov_b32_e32 v1, v2
.LBB4_3158:                             ;   in Loop: Header=BB4_3159 Depth=2
	s_or_b64 exec, exec, s[52:53]
	s_waitcnt vmcnt(0) lgkmcnt(0)
	v_cmp_ge_u64_e32 vcc, v[36:37], v[10:11]
	s_xor_b64 s[52:53], s[50:51], -1
	s_or_b64 vcc, s[52:53], vcc
	s_and_b64 vcc, exec, vcc
	s_or_b64 s[48:49], vcc, s[48:49]
	s_andn2_b64 exec, exec, s[48:49]
	s_cbranch_execz .LBB4_3163
.LBB4_3159:                             ;   Parent Loop BB4_1630 Depth=1
                                        ; =>  This Inner Loop Header: Depth=2
	s_sleep 1
	flat_load_dwordx2 v[36:37], v[32:33] glc
	v_and_b32_e32 v2, 64, v62
	v_cmp_eq_u32_e32 vcc, 0, v2
	s_andn2_b64 s[50:51], s[50:51], exec
	s_and_saveexec_b64 s[52:53], vcc
	s_cbranch_execz .LBB4_3158
; %bb.3160:                             ;   in Loop: Header=BB4_3159 Depth=2
	v_add_u32_e32 v2, 1, v1
	v_cmp_lt_i32_e32 vcc, s68, v1
	s_mov_b64 s[56:57], -1
	s_and_saveexec_b64 s[54:55], vcc
	s_cbranch_execz .LBB4_3157
; %bb.3161:                             ;   in Loop: Header=BB4_3159 Depth=2
	s_trap 2
	ds_read_b64 v[2:3], v0
	s_waitcnt vmcnt(0) lgkmcnt(0)
	flat_load_dword v1, v[2:3] glc
	s_waitcnt vmcnt(0) lgkmcnt(0)
	buffer_invl2
	buffer_wbinvl1_vol
	v_cmp_ne_u32_e32 vcc, 0, v1
	s_and_saveexec_b64 s[58:59], vcc
	s_cbranch_execz .LBB4_3156
; %bb.3162:                             ;   in Loop: Header=BB4_3159 Depth=2
	v_or_b32_e32 v62, 64, v62
	s_xor_b64 s[56:57], exec, -1
	ds_write_b32 v0, v1
	s_trap 2
	s_branch .LBB4_3156
.LBB4_3163:                             ;   in Loop: Header=BB4_1630 Depth=1
	s_or_b64 exec, exec, s[48:49]
	v_and_b32_e32 v1, 4, v62
.LBB4_3164:                             ;   in Loop: Header=BB4_1630 Depth=1
	s_or_b64 exec, exec, s[46:47]
	v_cmp_eq_u32_e32 vcc, 0, v1
	s_orn2_b64 s[46:47], vcc, exec
	;;#ASMSTART
	s_wakeup
	;;#ASMEND
	s_or_b64 exec, exec, s[18:19]
	s_xor_b64 s[18:19], s[46:47], -1
	s_and_saveexec_b64 s[46:47], s[18:19]
	s_cbranch_execz .LBB4_3153
.LBB4_3165:                             ;   in Loop: Header=BB4_1630 Depth=1
	v_accvgpr_read_b32 v2, a12
	v_and_b32_e32 v1, 0x100, v62
	v_accvgpr_read_b32 v4, a14
	v_cmp_ne_u32_e32 vcc, 0, v1
	v_accvgpr_read_b32 v3, a13
	v_and_b32_e32 v1, 7, v4
	s_mov_b64 s[18:19], -1
	v_accvgpr_read_b32 v5, a15
                                        ; implicit-def: $vgpr2_vgpr3
	s_and_saveexec_b64 s[48:49], vcc
	s_cbranch_execz .LBB4_3169
; %bb.3166:                             ;   in Loop: Header=BB4_1630 Depth=1
	v_accvgpr_read_b32 v2, a12
	v_accvgpr_read_b32 v3, a13
	v_mad_u64_u32 v[10:11], s[18:19], v1, 24, v[2:3]
	flat_load_dword v2, v[10:11]
	v_accvgpr_read_b32 v4, a14
	v_accvgpr_read_b32 v5, a15
	s_waitcnt vmcnt(0) lgkmcnt(0)
	v_cmp_ne_u32_e32 vcc, 1, v2
	v_cmp_eq_u32_e64 s[18:19], 1, v2
                                        ; implicit-def: $vgpr2_vgpr3
	s_and_saveexec_b64 s[50:51], s[18:19]
	s_cbranch_execz .LBB4_3168
; %bb.3167:                             ;   in Loop: Header=BB4_1630 Depth=1
	flat_load_dword v2, v[10:11] offset:4 glc
	s_waitcnt vmcnt(0) lgkmcnt(0)
	v_ashrrev_i32_e32 v3, 31, v2
.LBB4_3168:                             ;   in Loop: Header=BB4_1630 Depth=1
	s_or_b64 exec, exec, s[50:51]
	s_orn2_b64 s[18:19], vcc, exec
.LBB4_3169:                             ;   in Loop: Header=BB4_1630 Depth=1
	s_or_b64 exec, exec, s[48:49]
	s_and_saveexec_b64 vcc, s[18:19]
; %bb.3170:                             ;   in Loop: Header=BB4_1630 Depth=1
	v_accvgpr_read_b32 v2, a16
	v_mad_i64_i32 v[2:3], s[18:19], v1, v2, 0
; %bb.3171:                             ;   in Loop: Header=BB4_1630 Depth=1
	s_or_b64 exec, exec, vcc
	v_accvgpr_read_b32 v4, a18
	v_accvgpr_read_b32 v5, a19
	v_add_co_u32_e32 v2, vcc, v4, v2
	v_addc_co_u32_e32 v3, vcc, v5, v3, vcc
	v_and_b32_e32 v1, 0x2000, v62
	v_cmp_ne_u32_e32 vcc, 0, v1
	ds_write_b64 v0, v[2:3] offset:728
	s_and_saveexec_b64 s[18:19], vcc
	s_cbranch_execz .LBB4_3173
; %bb.3172:                             ;   in Loop: Header=BB4_1630 Depth=1
	ds_read_b64 v[2:3], v0 offset:584
	s_waitcnt lgkmcnt(0)
	v_add_co_u32_e32 v2, vcc, 1, v2
	v_addc_co_u32_e32 v3, vcc, 0, v3, vcc
	ds_write_b64 v0, v[2:3] offset:584
.LBB4_3173:                             ;   in Loop: Header=BB4_1630 Depth=1
	s_or_b64 exec, exec, s[18:19]
	v_accvgpr_read_b32 v2, a12
	v_accvgpr_read_b32 v4, a14
	;; [unrolled: 1-line block ×3, first 2 shown]
	v_add_co_u32_e32 v4, vcc, 1, v4
	v_addc_co_u32_e32 v5, vcc, 0, v5, vcc
	v_accvgpr_read_b32 v3, a13
	v_accvgpr_write_b32 a15, v5
	v_accvgpr_write_b32 a14, v4
	;; [unrolled: 1-line block ×4, first 2 shown]
	s_or_b64 exec, exec, s[46:47]
	s_and_saveexec_b64 s[18:19], s[10:11]
	s_cbranch_execz .LBB4_3192
.LBB4_3174:                             ;   in Loop: Header=BB4_1630 Depth=1
	s_and_saveexec_b64 vcc, s[30:31]
	s_xor_b64 s[46:47], exec, vcc
	s_cbranch_execz .LBB4_3189
; %bb.3175:                             ;   in Loop: Header=BB4_1630 Depth=1
	s_and_saveexec_b64 s[48:49], s[12:13]
	s_cbranch_execz .LBB4_3188
; %bb.3176:                             ;   in Loop: Header=BB4_1630 Depth=1
	s_mov_b64 s[52:53], exec
	v_mbcnt_lo_u32_b32 v1, s52, 0
	v_mbcnt_hi_u32_b32 v1, s53, v1
	v_cmp_eq_u32_e32 vcc, 0, v1
	s_waitcnt vmcnt(0) lgkmcnt(0)
	buffer_wbinvl1_vol
	s_and_saveexec_b64 s[50:51], vcc
	s_cbranch_execz .LBB4_3178
; %bb.3177:                             ;   in Loop: Header=BB4_1630 Depth=1
	s_bcnt1_i32_b64 vcc_lo, s[52:53]
	v_mov_b32_e32 v52, vcc_lo
	ds_add_u64 v0, v[52:53]
	s_trap 2
.LBB4_3178:                             ;   in Loop: Header=BB4_1630 Depth=1
	s_or_b64 exec, exec, s[50:51]
	s_trap 2
	ds_read_b64 v[2:3], v0
	v_accvgpr_read_b32 v4, a22
	v_add_co_u32_e32 v38, vcc, v38, v4
	v_addc_co_u32_e32 v39, vcc, 0, v39, vcc
	s_waitcnt lgkmcnt(0)
	v_cmp_lt_u64_e32 vcc, v[2:3], v[38:39]
	s_and_saveexec_b64 s[50:51], vcc
	s_cbranch_execz .LBB4_3187
; %bb.3179:                             ;   in Loop: Header=BB4_1630 Depth=1
	s_mov_b32 s62, 0
	s_mov_b64 s[52:53], 0
                                        ; implicit-def: $sgpr54_sgpr55
                                        ; implicit-def: $sgpr56_sgpr57
	s_branch .LBB4_3181
.LBB4_3180:                             ;   in Loop: Header=BB4_3181 Depth=2
	s_or_b64 exec, exec, s[60:61]
	s_and_b64 vcc, exec, vcc
	s_or_b64 s[52:53], vcc, s[52:53]
	s_andn2_b64 vcc, s[54:55], exec
	s_and_b64 s[54:55], s[56:57], exec
	s_or_b64 s[54:55], vcc, s[54:55]
	s_andn2_b64 exec, exec, s[52:53]
	s_cbranch_execz .LBB4_3185
.LBB4_3181:                             ;   Parent Loop BB4_1630 Depth=1
                                        ; =>  This Inner Loop Header: Depth=2
	s_add_i32 s62, s62, 1
	s_cmpk_lg_i32 s62, 0x2710
	s_cselect_b64 s[58:59], -1, 0
	s_and_b64 vcc, exec, s[58:59]
                                        ; implicit-def: $sgpr60_sgpr61
	s_cbranch_vccnz .LBB4_3183
; %bb.3182:                             ;   in Loop: Header=BB4_3181 Depth=2
	s_trap 2
	ds_read_b64 v[2:3], v0
	s_andn2_b64 s[58:59], s[58:59], exec
	s_mov_b32 s62, 0
	s_mov_b64 s[60:61], -1
	s_waitcnt lgkmcnt(0)
	flat_load_dword v1, v[2:3] glc
	s_waitcnt vmcnt(0) lgkmcnt(0)
	buffer_invl2
	buffer_wbinvl1_vol
	v_cmp_eq_u32_e32 vcc, 0, v1
	s_and_b64 vcc, vcc, exec
	s_or_b64 s[58:59], s[58:59], vcc
.LBB4_3183:                             ;   in Loop: Header=BB4_3181 Depth=2
	s_andn2_b64 s[56:57], s[56:57], exec
	s_and_b64 s[60:61], s[60:61], exec
	s_mov_b64 vcc, -1
	s_or_b64 s[56:57], s[56:57], s[60:61]
	s_and_saveexec_b64 s[60:61], s[58:59]
	s_cbranch_execz .LBB4_3180
; %bb.3184:                             ;   in Loop: Header=BB4_3181 Depth=2
	s_sleep 1
	s_trap 2
	ds_read_b64 v[2:3], v0
	s_andn2_b64 s[56:57], s[56:57], exec
	s_waitcnt lgkmcnt(0)
	v_cmp_ge_u64_e32 vcc, v[2:3], v[38:39]
	s_orn2_b64 vcc, vcc, exec
	s_branch .LBB4_3180
.LBB4_3185:                             ;   in Loop: Header=BB4_1630 Depth=1
	s_or_b64 exec, exec, s[52:53]
	s_and_saveexec_b64 vcc, s[54:55]
	s_xor_b64 vcc, exec, vcc
	s_cbranch_execz .LBB4_3187
; %bb.3186:                             ;   in Loop: Header=BB4_1630 Depth=1
	v_mov_b32_e32 v1, 1
	ds_write_b32 v0, v1
	s_trap 2
.LBB4_3187:                             ;   in Loop: Header=BB4_1630 Depth=1
	s_or_b64 exec, exec, s[50:51]
	;;#ASMSTART
	s_wakeup
	;;#ASMEND
.LBB4_3188:                             ;   in Loop: Header=BB4_1630 Depth=1
	s_or_b64 exec, exec, s[48:49]
.LBB4_3189:                             ;   in Loop: Header=BB4_1630 Depth=1
	s_andn2_saveexec_b64 vcc, s[46:47]
	s_cbranch_execz .LBB4_3191
; %bb.3190:                             ;   in Loop: Header=BB4_1630 Depth=1
	s_waitcnt vmcnt(0) lgkmcnt(0)
	buffer_wbinvl1_vol
	s_barrier
.LBB4_3191:                             ;   in Loop: Header=BB4_1630 Depth=1
	s_or_b64 exec, exec, vcc
.LBB4_3192:                             ;   in Loop: Header=BB4_1630 Depth=1
	s_or_b64 exec, exec, s[18:19]
	s_trap 2
	ds_read_b32 v1, v0
	v_sub_u32_e32 v0, v6, v0
	v_min_i32_e32 v0, v40, v0
	v_cmp_lt_i32_e32 vcc, 0, v0
	v_and_b32_e32 v0, 16, v62
	s_waitcnt lgkmcnt(0)
	v_readfirstlane_b32 s18, v1
	s_cmp_eq_u32 s18, 0
	s_cselect_b64 s[18:19], -1, 0
	s_and_b64 s[18:19], vcc, s[18:19]
	v_cmp_ne_u32_e32 vcc, 0, v0
	s_and_b64 vcc, vcc, s[18:19]
	s_and_saveexec_b64 s[18:19], vcc
	s_cbranch_execz .LBB4_3194
; %bb.3193:                             ;   in Loop: Header=BB4_1630 Depth=1
	s_waitcnt vmcnt(0)
	buffer_wbinvl1_vol
.LBB4_3194:                             ;   in Loop: Header=BB4_1630 Depth=1
	s_or_b64 exec, exec, s[18:19]
	v_and_b32_e32 v0, 32, v62
	v_cmp_ne_u32_e32 vcc, 0, v0
	s_and_saveexec_b64 s[18:19], vcc
	s_cbranch_execz .LBB4_1628
; %bb.3195:                             ;   in Loop: Header=BB4_1630 Depth=1
	v_accvgpr_read_b32 v0, a12
	v_accvgpr_read_b32 v2, a14
	;; [unrolled: 1-line block ×3, first 2 shown]
	v_add_co_u32_e32 v2, vcc, 1, v2
	v_addc_co_u32_e32 v3, vcc, 0, v3, vcc
	v_accvgpr_read_b32 v1, a13
	v_accvgpr_write_b32 a15, v3
	v_accvgpr_write_b32 a14, v2
	;; [unrolled: 1-line block ×4, first 2 shown]
	flat_store_dwordx2 v[32:33], v[2:3]
	s_branch .LBB4_1628
.LBB4_3196:
	s_or_b64 exec, exec, s[34:35]
	v_accvgpr_read_b32 v45, a15
	v_accvgpr_read_b32 v44, a14
	;; [unrolled: 1-line block ×4, first 2 shown]
.LBB4_3197:
	s_or_b64 exec, exec, s[24:25]
.LBB4_3198:
	s_or_b64 exec, exec, s[22:23]
                                        ; implicit-def: $vgpr60_vgpr61
                                        ; implicit-def: $vgpr40_vgpr41
                                        ; implicit-def: $agpr22_agpr23
                                        ; implicit-def: $agpr16
                                        ; implicit-def: $vgpr36_vgpr37
                                        ; implicit-def: $agpr18_agpr19
                                        ; implicit-def: $vgpr32_vgpr33
                                        ; implicit-def: $vgpr58
                                        ; implicit-def: $vgpr1
                                        ; implicit-def: $agpr20_agpr21
.LBB4_3199:
	s_andn2_saveexec_b64 s[22:23], s[28:29]
	s_cbranch_execz .LBB4_3372
; %bb.3200:
	s_mov_b64 s[28:29], 0
	v_cmp_ne_u64_e32 vcc, 0, v[40:41]
	v_pk_mov_b32 v[38:39], 0, 0
	s_and_saveexec_b64 s[24:25], vcc
	s_cbranch_execz .LBB4_3371
; %bb.3201:
	v_and_b32_e32 v0, 63, v56
	v_cmp_eq_u32_e64 s[12:13], 0, v0
	v_ashrrev_i32_e32 v0, 31, v58
	v_lshrrev_b32_e32 v0, 26, v0
	v_add_u32_e32 v2, v58, v0
	v_and_b32_e32 v0, 0xffffffc0, v2
	v_sub_u32_e32 v0, v58, v0
	v_cmp_lt_i32_e64 s[16:17], v0, v1
	v_ashrrev_i32_e32 v1, 6, v2
	v_lshlrev_b32_e32 v2, 11, v1
	s_waitcnt vmcnt(0)
	v_lshrrev_b32_e32 v10, 6, v47
	v_lshl_add_u32 v14, v0, 4, v2
	v_mov_b32_e32 v2, 0xfffff800
	v_lshl_add_u32 v2, v10, 11, v2
	s_movk_i32 s18, 0x800
	v_ashrrev_i32_e32 v3, 31, v2
	v_add_co_u32_e64 v25, s[18:19], s18, v2
	v_addc_co_u32_e64 v26, s[18:19], 0, v3, s[18:19]
	v_lshlrev_b32_e32 v27, 10, v10
	v_add_u32_e32 v2, 0xfffffc00, v27
	s_movk_i32 s18, 0x400
	s_ashr_i32 s6, s70, 31
	v_ashrrev_i32_e32 v3, 31, v2
	v_add_co_u32_e64 v28, s[18:19], s18, v2
	s_lshr_b32 s6, s6, 24
	v_addc_co_u32_e64 v29, s[18:19], 0, v3, s[18:19]
	s_waitcnt lgkmcnt(0)
	v_accvgpr_read_b32 v2, a22
	s_add_i32 s70, s70, s6
	v_cmp_eq_u32_e32 vcc, 64, v47
	v_and_b32_e32 v16, 0xffffffc0, v47
	v_accvgpr_read_b32 v3, a23
	v_pk_mov_b32 v[18:19], 0, 0
	v_accvgpr_read_b32 v4, a20
	s_ashr_i32 s58, s70, 8
	v_cmp_ge_i32_e64 s[6:7], v58, v47
	v_cmp_ne_u32_e64 s[10:11], 64, v47
	v_cmp_ne_u32_sdwa s[30:31], v57, v47 src0_sel:WORD_0 src1_sel:DWORD
	v_mov_b32_e32 v13, 0
	v_cmp_gt_i32_e64 s[14:15], 1, v0
	v_ashrrev_i32_e32 v15, 31, v14
	v_ashrrev_i32_e32 v11, 31, v16
	v_cmp_ne_u64_e64 s[18:19], 0, v[2:3]
	s_movk_i32 s59, 0x270e
	v_mov_b32_e32 v30, 1
	s_xor_b64 s[34:35], vcc, -1
	v_pk_mov_b32 v[38:39], v[18:19], v[18:19] op_sel:[0,1]
	v_accvgpr_read_b32 v5, a21
	s_trap 2
	s_branch .LBB4_3205
.LBB4_3202:                             ;   in Loop: Header=BB4_3205 Depth=1
	s_or_b64 exec, exec, vcc
	v_add_co_u32_e32 v44, vcc, 1, v44
	v_addc_co_u32_e32 v45, vcc, 0, v45, vcc
	flat_store_dwordx2 v[32:33], v[44:45]
.LBB4_3203:                             ;   in Loop: Header=BB4_3205 Depth=1
	s_or_b64 exec, exec, s[20:21]
.LBB4_3204:                             ;   in Loop: Header=BB4_3205 Depth=1
	s_or_b64 exec, exec, s[38:39]
	v_accvgpr_read_b32 v4, a20
	v_add_co_u32_e32 v18, vcc, v18, v4
	v_addc_co_u32_e32 v19, vcc, 0, v19, vcc
	v_cmp_ge_u64_e32 vcc, v[18:19], v[40:41]
	v_accvgpr_read_b32 v5, a21
	s_or_b64 s[28:29], vcc, s[28:29]
	s_andn2_b64 exec, exec, s[28:29]
	s_cbranch_execz .LBB4_3370
.LBB4_3205:                             ; =>This Loop Header: Depth=1
                                        ;     Child Loop BB4_3214 Depth 2
                                        ;     Child Loop BB4_3238 Depth 2
	;; [unrolled: 1-line block ×10, first 2 shown]
	v_sub_co_u32_e32 v2, vcc, v40, v18
	v_subb_co_u32_e32 v3, vcc, v41, v19, vcc
	v_cmp_lt_u64_e32 vcc, v[4:5], v[2:3]
	v_cndmask_b32_e64 v21, v3, 0, vcc
	v_cndmask_b32_e32 v20, v2, v4, vcc
	v_add_u32_e32 v2, 15, v20
	v_cmp_eq_u64_e32 vcc, 0, v[20:21]
	v_and_b32_e32 v2, 0x7ffffff0, v2
	s_or_b64 s[36:37], s[6:7], vcc
	v_max_i32_e32 v12, s58, v2
	s_xor_b64 s[20:21], s[36:37], -1
	v_mov_b32_e32 v2, 0
	s_and_saveexec_b64 s[38:39], s[20:21]
	s_cbranch_execz .LBB4_3323
; %bb.3206:                             ;   in Loop: Header=BB4_3205 Depth=1
	s_and_saveexec_b64 s[20:21], s[4:5]
	s_cbranch_execz .LBB4_3208
; %bb.3207:                             ;   in Loop: Header=BB4_3205 Depth=1
	s_trap 2
	ds_read_b64 v[2:3], v0
	s_waitcnt lgkmcnt(0)
	v_add_co_u32_e32 v2, vcc, v2, v60
	v_addc_co_u32_e32 v3, vcc, v3, v61, vcc
	v_add_co_u32_e32 v2, vcc, v2, v18
	v_addc_co_u32_e32 v3, vcc, v3, v19, vcc
	ds_write_b64 v0, v[2:3]
	v_mov_b32_e32 v2, v13
	v_mov_b32_e32 v3, v13
	ds_write_b64 v0, v[2:3]
.LBB4_3208:                             ;   in Loop: Header=BB4_3205 Depth=1
	s_or_b64 exec, exec, s[20:21]
	v_and_b32_e32 v2, 8, v62
	v_cmp_ne_u32_e32 vcc, 0, v2
	s_mov_b64 s[40:41], -1
	s_and_saveexec_b64 s[20:21], vcc
	s_cbranch_execz .LBB4_3220
; %bb.3209:                             ;   in Loop: Header=BB4_3205 Depth=1
	v_add_co_u32_e32 v2, vcc, 8, v36
	v_addc_co_u32_e32 v3, vcc, 0, v37, vcc
	v_add_co_u32_e32 v22, vcc, 1, v44
	v_addc_co_u32_e32 v23, vcc, 0, v45, vcc
	v_cmp_lt_u64_e32 vcc, v[2:3], v[22:23]
	v_mov_b32_e32 v2, 1
	s_and_saveexec_b64 s[40:41], vcc
	s_cbranch_execz .LBB4_3219
; %bb.3210:                             ;   in Loop: Header=BB4_3205 Depth=1
	s_mov_b64 s[42:43], 0
	v_mov_b32_e32 v2, 0
                                        ; implicit-def: $sgpr44_sgpr45
	s_branch .LBB4_3214
.LBB4_3211:                             ;   in Loop: Header=BB4_3214 Depth=2
	s_or_b64 exec, exec, s[52:53]
	v_mov_b32_e32 v3, 0
	s_orn2_b64 s[50:51], s[50:51], exec
.LBB4_3212:                             ;   in Loop: Header=BB4_3214 Depth=2
	s_or_b64 exec, exec, s[48:49]
	s_andn2_b64 vcc, s[44:45], exec
	s_and_b64 s[44:45], s[50:51], exec
	s_or_b64 s[44:45], vcc, s[44:45]
	v_mov_b32_e32 v2, v3
.LBB4_3213:                             ;   in Loop: Header=BB4_3214 Depth=2
	s_or_b64 exec, exec, s[46:47]
	s_waitcnt vmcnt(0) lgkmcnt(0)
	v_add_co_u32_e32 v4, vcc, 8, v36
	v_addc_co_u32_e32 v5, vcc, 0, v37, vcc
	v_cmp_ge_u64_e32 vcc, v[4:5], v[22:23]
	s_xor_b64 s[46:47], s[44:45], -1
	s_or_b64 vcc, s[46:47], vcc
	s_and_b64 vcc, exec, vcc
	s_or_b64 s[42:43], vcc, s[42:43]
	s_andn2_b64 exec, exec, s[42:43]
	s_cbranch_execz .LBB4_3218
.LBB4_3214:                             ;   Parent Loop BB4_3205 Depth=1
                                        ; =>  This Inner Loop Header: Depth=2
	s_sleep 1
	flat_load_dwordx2 v[36:37], v[32:33] glc
	v_and_b32_e32 v3, 64, v62
	v_cmp_eq_u32_e32 vcc, 0, v3
	s_andn2_b64 s[44:45], s[44:45], exec
	s_and_saveexec_b64 s[46:47], vcc
	s_cbranch_execz .LBB4_3213
; %bb.3215:                             ;   in Loop: Header=BB4_3214 Depth=2
	v_add_u32_e32 v3, 1, v2
	v_cmp_lt_i32_e32 vcc, s59, v2
	s_mov_b64 s[50:51], -1
	s_and_saveexec_b64 s[48:49], vcc
	s_cbranch_execz .LBB4_3212
; %bb.3216:                             ;   in Loop: Header=BB4_3214 Depth=2
	s_trap 2
	ds_read_b64 v[2:3], v0
	s_waitcnt vmcnt(0) lgkmcnt(0)
	flat_load_dword v2, v[2:3] glc
	s_waitcnt vmcnt(0) lgkmcnt(0)
	buffer_invl2
	buffer_wbinvl1_vol
	v_cmp_ne_u32_e32 vcc, 0, v2
	s_and_saveexec_b64 s[52:53], vcc
	s_cbranch_execz .LBB4_3211
; %bb.3217:                             ;   in Loop: Header=BB4_3214 Depth=2
	v_or_b32_e32 v62, 64, v62
	s_xor_b64 s[50:51], exec, -1
	ds_write_b32 v0, v2
	s_trap 2
	s_branch .LBB4_3211
.LBB4_3218:                             ;   in Loop: Header=BB4_3205 Depth=1
	s_or_b64 exec, exec, s[42:43]
	v_and_b32_e32 v2, 8, v62
.LBB4_3219:                             ;   in Loop: Header=BB4_3205 Depth=1
	s_or_b64 exec, exec, s[40:41]
	v_cmp_eq_u32_e32 vcc, 0, v2
	s_orn2_b64 s[40:41], vcc, exec
	;;#ASMSTART
	s_wakeup
	;;#ASMEND
.LBB4_3220:                             ;   in Loop: Header=BB4_3205 Depth=1
	s_or_b64 exec, exec, s[20:21]
	s_xor_b64 s[20:21], s[40:41], -1
	v_min_u32_e32 v12, v12, v20
	s_and_saveexec_b64 s[40:41], s[20:21]
	s_cbranch_execz .LBB4_3230
; %bb.3221:                             ;   in Loop: Header=BB4_3205 Depth=1
	v_and_b32_e32 v2, 0x100, v62
	v_cmp_ne_u32_e32 vcc, 0, v2
	v_and_b32_e32 v4, 7, v44
	s_mov_b64 s[20:21], -1
                                        ; implicit-def: $vgpr2_vgpr3
	s_and_saveexec_b64 s[42:43], vcc
	s_cbranch_execz .LBB4_3225
; %bb.3222:                             ;   in Loop: Header=BB4_3205 Depth=1
	v_mad_u64_u32 v[22:23], s[20:21], v4, 24, v[42:43]
	flat_load_dword v2, v[22:23]
	s_waitcnt vmcnt(0) lgkmcnt(0)
	v_cmp_ne_u32_e32 vcc, 1, v2
	v_cmp_eq_u32_e64 s[20:21], 1, v2
	flat_store_dwordx2 v[22:23], v[12:13] offset:8
                                        ; implicit-def: $vgpr2_vgpr3
	s_and_saveexec_b64 s[44:45], s[20:21]
	s_cbranch_execz .LBB4_3224
; %bb.3223:                             ;   in Loop: Header=BB4_3205 Depth=1
	flat_load_dword v2, v[22:23] offset:4 glc
	s_waitcnt vmcnt(0) lgkmcnt(0)
	v_ashrrev_i32_e32 v3, 31, v2
.LBB4_3224:                             ;   in Loop: Header=BB4_3205 Depth=1
	s_or_b64 exec, exec, s[44:45]
	s_orn2_b64 s[20:21], vcc, exec
.LBB4_3225:                             ;   in Loop: Header=BB4_3205 Depth=1
	s_or_b64 exec, exec, s[42:43]
	s_and_saveexec_b64 vcc, s[20:21]
; %bb.3226:                             ;   in Loop: Header=BB4_3205 Depth=1
	v_accvgpr_read_b32 v2, a16
	v_mad_i64_i32 v[2:3], s[20:21], v4, v2, 0
; %bb.3227:                             ;   in Loop: Header=BB4_3205 Depth=1
	s_or_b64 exec, exec, vcc
	v_accvgpr_read_b32 v4, a18
	v_accvgpr_read_b32 v5, a19
	v_add_co_u32_e32 v2, vcc, v4, v2
	v_addc_co_u32_e32 v3, vcc, v5, v3, vcc
	ds_write_b64 v0, v[2:3] offset:784
	v_and_b32_e32 v2, 0x2000, v62
	v_cmp_ne_u32_e32 vcc, 0, v2
	s_and_saveexec_b64 s[20:21], vcc
	s_cbranch_execz .LBB4_3229
; %bb.3228:                             ;   in Loop: Header=BB4_3205 Depth=1
	ds_read_b64 v[2:3], v0 offset:584
	s_waitcnt lgkmcnt(0)
	v_add_co_u32_e32 v2, vcc, 1, v2
	v_addc_co_u32_e32 v3, vcc, 0, v3, vcc
	ds_write_b64 v0, v[2:3] offset:584
.LBB4_3229:                             ;   in Loop: Header=BB4_3205 Depth=1
	s_or_b64 exec, exec, s[20:21]
	v_add_co_u32_e32 v44, vcc, 1, v44
	v_addc_co_u32_e32 v45, vcc, 0, v45, vcc
.LBB4_3230:                             ;   in Loop: Header=BB4_3205 Depth=1
	s_or_b64 exec, exec, s[40:41]
	s_and_saveexec_b64 s[20:21], s[10:11]
	s_cbranch_execz .LBB4_3249
; %bb.3231:                             ;   in Loop: Header=BB4_3205 Depth=1
	s_and_saveexec_b64 vcc, s[30:31]
	s_xor_b64 s[40:41], exec, vcc
	s_cbranch_execz .LBB4_3246
; %bb.3232:                             ;   in Loop: Header=BB4_3205 Depth=1
	s_and_saveexec_b64 s[42:43], s[12:13]
	s_cbranch_execz .LBB4_3245
; %bb.3233:                             ;   in Loop: Header=BB4_3205 Depth=1
	s_mov_b64 s[46:47], exec
	v_mbcnt_lo_u32_b32 v2, s46, 0
	v_mbcnt_hi_u32_b32 v2, s47, v2
	v_cmp_eq_u32_e32 vcc, 0, v2
	s_waitcnt vmcnt(0) lgkmcnt(0)
	buffer_wbinvl1_vol
	s_and_saveexec_b64 s[44:45], vcc
	s_cbranch_execz .LBB4_3235
; %bb.3234:                             ;   in Loop: Header=BB4_3205 Depth=1
	s_bcnt1_i32_b64 vcc_lo, s[46:47]
	v_mov_b32_e32 v2, vcc_lo
	v_mov_b32_e32 v3, v13
	ds_add_u64 v0, v[2:3]
	s_trap 2
.LBB4_3235:                             ;   in Loop: Header=BB4_3205 Depth=1
	s_or_b64 exec, exec, s[44:45]
	s_trap 2
	ds_read_b64 v[2:3], v0
	v_add_co_u32_e32 v38, vcc, v38, v10
	v_addc_co_u32_e32 v39, vcc, 0, v39, vcc
	s_waitcnt lgkmcnt(0)
	v_cmp_lt_u64_e32 vcc, v[2:3], v[38:39]
	s_and_saveexec_b64 s[44:45], vcc
	s_cbranch_execz .LBB4_3244
; %bb.3236:                             ;   in Loop: Header=BB4_3205 Depth=1
	s_mov_b32 s56, 0
	s_mov_b64 s[46:47], 0
                                        ; implicit-def: $sgpr48_sgpr49
                                        ; implicit-def: $sgpr50_sgpr51
	s_branch .LBB4_3238
.LBB4_3237:                             ;   in Loop: Header=BB4_3238 Depth=2
	s_or_b64 exec, exec, s[54:55]
	s_and_b64 vcc, exec, vcc
	s_or_b64 s[46:47], vcc, s[46:47]
	s_andn2_b64 vcc, s[48:49], exec
	s_and_b64 s[48:49], s[50:51], exec
	s_or_b64 s[48:49], vcc, s[48:49]
	s_andn2_b64 exec, exec, s[46:47]
	s_cbranch_execz .LBB4_3242
.LBB4_3238:                             ;   Parent Loop BB4_3205 Depth=1
                                        ; =>  This Inner Loop Header: Depth=2
	s_add_i32 s56, s56, 1
	s_cmpk_lg_i32 s56, 0x2710
	s_cselect_b64 s[52:53], -1, 0
	s_and_b64 vcc, exec, s[52:53]
                                        ; implicit-def: $sgpr54_sgpr55
	s_cbranch_vccnz .LBB4_3240
; %bb.3239:                             ;   in Loop: Header=BB4_3238 Depth=2
	s_trap 2
	ds_read_b64 v[2:3], v0
	s_andn2_b64 s[52:53], s[52:53], exec
	s_mov_b32 s56, 0
	s_mov_b64 s[54:55], -1
	s_waitcnt lgkmcnt(0)
	flat_load_dword v2, v[2:3] glc
	s_waitcnt vmcnt(0) lgkmcnt(0)
	buffer_invl2
	buffer_wbinvl1_vol
	v_cmp_eq_u32_e32 vcc, 0, v2
	s_and_b64 vcc, vcc, exec
	s_or_b64 s[52:53], s[52:53], vcc
.LBB4_3240:                             ;   in Loop: Header=BB4_3238 Depth=2
	s_andn2_b64 s[50:51], s[50:51], exec
	s_and_b64 s[54:55], s[54:55], exec
	s_mov_b64 vcc, -1
	s_or_b64 s[50:51], s[50:51], s[54:55]
	s_and_saveexec_b64 s[54:55], s[52:53]
	s_cbranch_execz .LBB4_3237
; %bb.3241:                             ;   in Loop: Header=BB4_3238 Depth=2
	s_sleep 1
	s_trap 2
	ds_read_b64 v[2:3], v0
	s_andn2_b64 s[50:51], s[50:51], exec
	s_waitcnt lgkmcnt(0)
	v_cmp_ge_u64_e32 vcc, v[2:3], v[38:39]
	s_orn2_b64 vcc, vcc, exec
	s_branch .LBB4_3237
.LBB4_3242:                             ;   in Loop: Header=BB4_3205 Depth=1
	s_or_b64 exec, exec, s[46:47]
	s_and_saveexec_b64 vcc, s[48:49]
	s_xor_b64 vcc, exec, vcc
	s_cbranch_execz .LBB4_3244
; %bb.3243:                             ;   in Loop: Header=BB4_3205 Depth=1
	ds_write_b32 v0, v30
	s_trap 2
.LBB4_3244:                             ;   in Loop: Header=BB4_3205 Depth=1
	s_or_b64 exec, exec, s[44:45]
	;;#ASMSTART
	s_wakeup
	;;#ASMEND
.LBB4_3245:                             ;   in Loop: Header=BB4_3205 Depth=1
	s_or_b64 exec, exec, s[42:43]
.LBB4_3246:                             ;   in Loop: Header=BB4_3205 Depth=1
	s_andn2_saveexec_b64 vcc, s[40:41]
	s_cbranch_execz .LBB4_3248
; %bb.3247:                             ;   in Loop: Header=BB4_3205 Depth=1
	s_waitcnt vmcnt(0) lgkmcnt(0)
	buffer_wbinvl1_vol
	s_barrier
.LBB4_3248:                             ;   in Loop: Header=BB4_3205 Depth=1
	s_or_b64 exec, exec, vcc
.LBB4_3249:                             ;   in Loop: Header=BB4_3205 Depth=1
	s_or_b64 exec, exec, s[20:21]
	s_trap 2
	ds_read_b32 v2, v0
	v_and_b32_e32 v3, 0x4000, v62
	v_cmp_ne_u32_e32 vcc, 0, v3
	s_and_b64 vcc, s[34:35], vcc
	s_and_saveexec_b64 s[20:21], vcc
	s_cbranch_execz .LBB4_3268
; %bb.3250:                             ;   in Loop: Header=BB4_3205 Depth=1
	s_and_saveexec_b64 vcc, s[30:31]
	s_xor_b64 s[40:41], exec, vcc
	s_cbranch_execz .LBB4_3265
; %bb.3251:                             ;   in Loop: Header=BB4_3205 Depth=1
	s_and_saveexec_b64 s[42:43], s[12:13]
	s_cbranch_execz .LBB4_3264
; %bb.3252:                             ;   in Loop: Header=BB4_3205 Depth=1
	s_mov_b64 s[46:47], exec
	v_mbcnt_lo_u32_b32 v3, s46, 0
	v_mbcnt_hi_u32_b32 v3, s47, v3
	v_cmp_eq_u32_e32 vcc, 0, v3
	s_waitcnt vmcnt(0) lgkmcnt(0)
	buffer_wbinvl1_vol
	s_and_saveexec_b64 s[44:45], vcc
	s_cbranch_execz .LBB4_3254
; %bb.3253:                             ;   in Loop: Header=BB4_3205 Depth=1
	s_bcnt1_i32_b64 vcc_lo, s[46:47]
	v_mov_b32_e32 v4, vcc_lo
	v_mov_b32_e32 v5, v13
	ds_add_u64 v0, v[4:5]
	s_trap 2
.LBB4_3254:                             ;   in Loop: Header=BB4_3205 Depth=1
	s_or_b64 exec, exec, s[44:45]
	s_trap 2
	ds_read_b64 v[4:5], v0
	v_add_co_u32_e32 v38, vcc, v38, v10
	v_addc_co_u32_e32 v39, vcc, 0, v39, vcc
	s_waitcnt lgkmcnt(0)
	v_cmp_lt_u64_e32 vcc, v[4:5], v[38:39]
	s_and_saveexec_b64 s[44:45], vcc
	s_cbranch_execz .LBB4_3263
; %bb.3255:                             ;   in Loop: Header=BB4_3205 Depth=1
	s_mov_b32 s56, 0
	s_mov_b64 s[46:47], 0
                                        ; implicit-def: $sgpr48_sgpr49
                                        ; implicit-def: $sgpr50_sgpr51
	s_branch .LBB4_3257
.LBB4_3256:                             ;   in Loop: Header=BB4_3257 Depth=2
	s_or_b64 exec, exec, s[54:55]
	s_and_b64 vcc, exec, vcc
	s_or_b64 s[46:47], vcc, s[46:47]
	s_andn2_b64 vcc, s[48:49], exec
	s_and_b64 s[48:49], s[50:51], exec
	s_or_b64 s[48:49], vcc, s[48:49]
	s_andn2_b64 exec, exec, s[46:47]
	s_cbranch_execz .LBB4_3261
.LBB4_3257:                             ;   Parent Loop BB4_3205 Depth=1
                                        ; =>  This Inner Loop Header: Depth=2
	s_add_i32 s56, s56, 1
	s_cmpk_lg_i32 s56, 0x2710
	s_cselect_b64 s[52:53], -1, 0
	s_and_b64 vcc, exec, s[52:53]
                                        ; implicit-def: $sgpr54_sgpr55
	s_cbranch_vccnz .LBB4_3259
; %bb.3258:                             ;   in Loop: Header=BB4_3257 Depth=2
	s_trap 2
	ds_read_b64 v[4:5], v0
	s_andn2_b64 s[52:53], s[52:53], exec
	s_mov_b32 s56, 0
	s_mov_b64 s[54:55], -1
	s_waitcnt lgkmcnt(0)
	flat_load_dword v3, v[4:5] glc
	s_waitcnt vmcnt(0) lgkmcnt(0)
	buffer_invl2
	buffer_wbinvl1_vol
	v_cmp_eq_u32_e32 vcc, 0, v3
	s_and_b64 vcc, vcc, exec
	s_or_b64 s[52:53], s[52:53], vcc
.LBB4_3259:                             ;   in Loop: Header=BB4_3257 Depth=2
	s_andn2_b64 s[50:51], s[50:51], exec
	s_and_b64 s[54:55], s[54:55], exec
	s_mov_b64 vcc, -1
	s_or_b64 s[50:51], s[50:51], s[54:55]
	s_and_saveexec_b64 s[54:55], s[52:53]
	s_cbranch_execz .LBB4_3256
; %bb.3260:                             ;   in Loop: Header=BB4_3257 Depth=2
	s_sleep 1
	s_trap 2
	ds_read_b64 v[4:5], v0
	s_andn2_b64 s[50:51], s[50:51], exec
	s_waitcnt lgkmcnt(0)
	v_cmp_ge_u64_e32 vcc, v[4:5], v[38:39]
	s_orn2_b64 vcc, vcc, exec
	s_branch .LBB4_3256
.LBB4_3261:                             ;   in Loop: Header=BB4_3205 Depth=1
	s_or_b64 exec, exec, s[46:47]
	s_and_saveexec_b64 vcc, s[48:49]
	s_xor_b64 vcc, exec, vcc
	s_cbranch_execz .LBB4_3263
; %bb.3262:                             ;   in Loop: Header=BB4_3205 Depth=1
	ds_write_b32 v0, v30
	s_trap 2
.LBB4_3263:                             ;   in Loop: Header=BB4_3205 Depth=1
	s_or_b64 exec, exec, s[44:45]
	;;#ASMSTART
	s_wakeup
	;;#ASMEND
.LBB4_3264:                             ;   in Loop: Header=BB4_3205 Depth=1
	s_or_b64 exec, exec, s[42:43]
.LBB4_3265:                             ;   in Loop: Header=BB4_3205 Depth=1
	s_andn2_saveexec_b64 vcc, s[40:41]
	s_cbranch_execz .LBB4_3267
; %bb.3266:                             ;   in Loop: Header=BB4_3205 Depth=1
	s_waitcnt vmcnt(0) lgkmcnt(0)
	buffer_wbinvl1_vol
	s_barrier
.LBB4_3267:                             ;   in Loop: Header=BB4_3205 Depth=1
	s_or_b64 exec, exec, vcc
.LBB4_3268:                             ;   in Loop: Header=BB4_3205 Depth=1
	s_or_b64 exec, exec, s[20:21]
	s_trap 2
	ds_read_b64 v[4:5], v0
	s_waitcnt lgkmcnt(0)
	v_readfirstlane_b32 s20, v4
	v_readfirstlane_b32 s21, v5
	s_cmp_eq_u64 s[20:21], 0
	s_cselect_b64 s[20:21], -1, 0
	s_or_b64 vcc, s[20:21], s[20:21]
	s_mov_b64 s[20:21], 0
	s_and_b64 vcc, exec, vcc
	s_cbranch_vccnz .LBB4_3297
; %bb.3269:                             ;   in Loop: Header=BB4_3205 Depth=1
	s_mov_b64 s[20:21], -1
	s_and_saveexec_b64 s[40:41], s[14:15]
	s_cbranch_execz .LBB4_3271
; %bb.3270:                             ;   in Loop: Header=BB4_3205 Depth=1
	ds_read_b32 v3, v0 offset:720
	s_waitcnt lgkmcnt(0)
	v_and_b32_e32 v3, 15, v3
	v_cmp_eq_u32_e32 vcc, 0, v3
	s_orn2_b64 s[20:21], vcc, exec
.LBB4_3271:                             ;   in Loop: Header=BB4_3205 Depth=1
	s_or_b64 exec, exec, s[40:41]
	s_and_saveexec_b64 s[40:41], s[16:17]
	s_cbranch_execz .LBB4_3273
; %bb.3272:                             ;   in Loop: Header=BB4_3205 Depth=1
	ds_read_b32 v3, v0 offset:784
	s_waitcnt lgkmcnt(0)
	v_and_b32_e32 v3, 15, v3
	v_cmp_eq_u32_e32 vcc, 0, v3
	s_and_b64 vcc, s[20:21], vcc
	s_andn2_b64 s[20:21], s[20:21], exec
	s_and_b64 vcc, vcc, exec
	s_or_b64 s[20:21], s[20:21], vcc
.LBB4_3273:                             ;   in Loop: Header=BB4_3205 Depth=1
	s_or_b64 exec, exec, s[40:41]
	s_xor_b64 s[20:21], s[20:21], -1
	v_cmp_eq_u32_e32 vcc, 0, v2
	v_cndmask_b32_e64 v2, 0, 1, s[20:21]
	v_cndmask_b32_e32 v4, 0, v12, vcc
	;;#ASMSTART
	;;#ASMEND
	v_mov_b32_e32 v5, 0
	s_mov_b64 s[42:43], -1
	v_cmp_ne_u32_e32 vcc, 0, v2
	v_mov_b32_e32 v2, v4
	v_mov_b32_e32 v3, v58
	;; [unrolled: 1-line block ×3, first 2 shown]
	s_cbranch_vccz .LBB4_3275
; %bb.3274:                             ;   in Loop: Header=BB4_3205 Depth=1
	s_and_saveexec_b64 s[20:21], s[42:43]
	s_cbranch_execnz .LBB4_3288
	s_branch .LBB4_3296
.LBB4_3275:                             ;   in Loop: Header=BB4_3205 Depth=1
	v_lshrrev_b32_e32 v2, 11, v4
	v_sub_u32_e32 v21, v2, v1
	v_cmp_lt_i32_e32 vcc, 0, v21
	s_and_saveexec_b64 s[20:21], vcc
	s_cbranch_execz .LBB4_3279
; %bb.3276:                             ;   in Loop: Header=BB4_3205 Depth=1
	s_trap 2
	ds_read_b64 v[2:3], v0
	s_mov_b64 s[40:41], 0
	v_pk_mov_b32 v[22:23], v[14:15], v[14:15] op_sel:[0,1]
.LBB4_3277:                             ;   Parent Loop BB4_3205 Depth=1
                                        ; =>  This Inner Loop Header: Depth=2
	s_waitcnt lgkmcnt(0)
	v_add_co_u32_e32 v6, vcc, v2, v22
	v_addc_co_u32_e32 v7, vcc, v3, v23, vcc
	global_load_dwordx4 v[48:51], v[6:7], off glc slc
	global_load_dwordx4 v[52:55], v[6:7], off offset:1024 glc slc
	v_add_co_u32_e32 v22, vcc, v22, v25
	v_sub_u32_e32 v21, v21, v10
	v_addc_co_u32_e32 v23, vcc, v23, v26, vcc
	v_cmp_gt_i32_e32 vcc, 1, v21
	s_or_b64 s[40:41], vcc, s[40:41]
	s_waitcnt vmcnt(0)
	global_store_dwordx4 v[6:7], v[48:51], off glc slc
	global_store_dwordx4 v[6:7], v[52:55], off offset:1024 glc slc
	s_andn2_b64 exec, exec, s[40:41]
	s_cbranch_execnz .LBB4_3277
; %bb.3278:                             ;   in Loop: Header=BB4_3205 Depth=1
	s_or_b64 exec, exec, s[40:41]
.LBB4_3279:                             ;   in Loop: Header=BB4_3205 Depth=1
	s_or_b64 exec, exec, s[20:21]
	v_and_b32_e32 v22, 0x3ffff800, v4
	v_cmp_ne_u32_e32 vcc, v22, v4
	s_mov_b64 s[42:43], 0
	v_mov_b32_e32 v5, 0
                                        ; implicit-def: $vgpr2
                                        ; implicit-def: $vgpr3
                                        ; implicit-def: $vgpr17
	s_and_saveexec_b64 s[40:41], vcc
	s_cbranch_execz .LBB4_3287
; %bb.3280:                             ;   in Loop: Header=BB4_3205 Depth=1
	v_lshlrev_b32_e32 v3, 6, v21
	v_sub_u32_e32 v3, v0, v3
	v_ashrrev_i32_e32 v5, 31, v3
	v_lshrrev_b32_e32 v5, 26, v5
	v_add_u32_e32 v5, v3, v5
	v_ashrrev_i32_e32 v6, 6, v5
	v_and_b32_e32 v5, 0xffffffc0, v5
	v_and_b32_e32 v2, 0x7ff, v4
	v_sub_u32_e32 v21, v3, v5
	v_and_b32_e32 v7, 0x400, v4
	v_lshlrev_b32_e32 v3, 4, v21
	v_sub_u32_e32 v24, v2, v7
	v_lshl_add_u32 v17, v6, 10, v3
	v_bfe_u32 v3, v4, 10, 1
	v_cmp_lt_i32_e32 vcc, 15, v24
	v_sub_u32_e32 v5, v2, v17
	v_addc_co_u32_e64 v2, s[20:21], 0, v3, vcc
	v_sub_u32_e32 v23, v2, v6
	v_cmp_lt_i32_e64 s[20:21], 15, v5
	s_and_saveexec_b64 s[42:43], s[20:21]
	s_cbranch_execz .LBB4_3284
; %bb.3281:                             ;   in Loop: Header=BB4_3205 Depth=1
	s_trap 2
	ds_read_b64 v[2:3], v0
	v_add_u32_e32 v22, v17, v22
	v_ashrrev_i32_e32 v17, 31, v22
	s_mov_b64 s[44:45], 0
.LBB4_3282:                             ;   Parent Loop BB4_3205 Depth=1
                                        ; =>  This Inner Loop Header: Depth=2
	s_waitcnt lgkmcnt(0)
	v_add_co_u32_e64 v6, s[20:21], v2, v22
	v_addc_co_u32_e64 v7, s[20:21], v3, v17, s[20:21]
	global_load_dwordx4 v[48:51], v[6:7], off glc slc
	v_add_co_u32_e64 v22, s[20:21], v22, v28
	v_sub_u32_e32 v5, v5, v27
	v_addc_co_u32_e64 v17, s[20:21], v17, v29, s[20:21]
	v_cmp_gt_i32_e64 s[20:21], 16, v5
	v_sub_u32_e32 v23, v23, v10
	s_or_b64 s[44:45], s[20:21], s[44:45]
	s_waitcnt vmcnt(0)
	global_store_dwordx4 v[6:7], v[48:51], off glc slc
	s_andn2_b64 exec, exec, s[44:45]
	s_cbranch_execnz .LBB4_3282
; %bb.3283:                             ;   in Loop: Header=BB4_3205 Depth=1
	s_or_b64 exec, exec, s[44:45]
.LBB4_3284:                             ;   in Loop: Header=BB4_3205 Depth=1
	s_or_b64 exec, exec, s[42:43]
	v_and_b32_e32 v22, 15, v4
	v_cndmask_b32_e32 v2, v24, v22, vcc
	v_cmp_ne_u32_e64 s[20:21], 0, v2
	s_mov_b64 s[42:43], 0
	v_mov_b32_e32 v5, 0
                                        ; implicit-def: $vgpr3
                                        ; implicit-def: $vgpr17
	s_and_saveexec_b64 s[44:45], s[20:21]
	s_cbranch_execz .LBB4_3286
; %bb.3285:                             ;   in Loop: Header=BB4_3205 Depth=1
	v_sub_u32_e32 v5, v24, v22
	v_and_b32_e32 v3, 0x3ffffc00, v4
	v_cndmask_b32_e32 v5, 0, v5, vcc
	v_cmp_lt_i32_e32 vcc, 0, v23
	v_add_u32_e32 v5, v5, v3
	v_cndmask_b32_e32 v3, 0, v10, vcc
	v_sub_u32_e32 v3, v3, v23
	v_lshl_add_u32 v3, v3, 6, v21
	v_ashrrev_i32_e32 v6, 31, v3
	v_lshrrev_b32_e32 v6, 26, v6
	v_add_u32_e32 v6, v3, v6
	s_mov_b64 s[42:43], exec
	v_ashrrev_i32_e32 v17, 6, v6
.LBB4_3286:                             ;   in Loop: Header=BB4_3205 Depth=1
	s_or_b64 exec, exec, s[44:45]
	s_and_b64 s[42:43], s[42:43], exec
.LBB4_3287:                             ;   in Loop: Header=BB4_3205 Depth=1
	s_or_b64 exec, exec, s[40:41]
	s_and_saveexec_b64 s[20:21], s[42:43]
	s_cbranch_execz .LBB4_3296
.LBB4_3288:                             ;   in Loop: Header=BB4_3205 Depth=1
	v_ashrrev_i32_e32 v6, 31, v2
	v_lshrrev_b32_e32 v6, 22, v6
	v_add_u32_e32 v6, v2, v6
	v_ashrrev_i32_e32 v34, 10, v6
	v_sub_u32_e32 v21, v34, v17
	v_ashrrev_i32_e32 v6, 31, v3
	v_cmp_lt_i32_e32 vcc, 0, v21
	v_lshrrev_b32_e32 v31, 26, v6
	s_and_saveexec_b64 s[40:41], vcc
	s_cbranch_execz .LBB4_3292
; %bb.3289:                             ;   in Loop: Header=BB4_3205 Depth=1
	s_trap 2
	ds_read_b64 v[22:23], v0
	v_add_u32_e32 v6, v3, v31
	v_and_b32_e32 v6, 0xffffffc0, v6
	v_sub_u32_e32 v6, v3, v6
	v_lshlrev_b32_e32 v7, 10, v17
	v_accvgpr_write_b32 a2, v42
	v_accvgpr_write_b32 a0, v40
	v_add3_u32 v24, v5, v6, v7
	v_accvgpr_write_b32 a3, v43
	v_accvgpr_write_b32 a4, v44
	;; [unrolled: 1-line block ×4, first 2 shown]
	v_ashrrev_i32_e32 v17, 31, v24
	s_mov_b64 s[42:43], 0
	s_waitcnt lgkmcnt(0)
	v_pk_mov_b32 v[52:53], v[22:23], v[22:23] op_sel:[0,1]
.LBB4_3290:                             ;   Parent Loop BB4_3205 Depth=1
                                        ; =>  This Inner Loop Header: Depth=2
	v_add_co_u32_e32 v6, vcc, v24, v52
	v_addc_co_u32_e32 v7, vcc, v17, v53, vcc
	flat_load_ubyte v8, v[6:7] glc slc
	flat_load_ubyte v9, v[6:7] offset:64 glc slc
	flat_load_ubyte v35, v[6:7] offset:128 glc slc
	;; [unrolled: 1-line block ×15, first 2 shown]
	v_add_co_u32_e32 v6, vcc, v24, v22
	v_addc_co_u32_e32 v7, vcc, v17, v23, vcc
	v_add_co_u32_e32 v52, vcc, v52, v28
	v_addc_co_u32_e32 v53, vcc, v53, v29, vcc
	v_add_co_u32_e32 v22, vcc, v22, v28
	v_sub_u32_e32 v21, v21, v10
	v_addc_co_u32_e32 v23, vcc, v23, v29, vcc
	v_cmp_gt_i32_e32 vcc, 1, v21
	s_or_b64 s[42:43], vcc, s[42:43]
	s_waitcnt vmcnt(0) lgkmcnt(0)
	flat_store_byte v[6:7], v8 glc slc
	flat_store_byte v[6:7], v9 offset:64 glc slc
	flat_store_byte v[6:7], v35 offset:128 glc slc
	;; [unrolled: 1-line block ×15, first 2 shown]
	s_andn2_b64 exec, exec, s[42:43]
	s_cbranch_execnz .LBB4_3290
; %bb.3291:                             ;   in Loop: Header=BB4_3205 Depth=1
	s_or_b64 exec, exec, s[42:43]
	v_accvgpr_read_b32 v41, a1
	v_accvgpr_read_b32 v45, a5
	;; [unrolled: 1-line block ×6, first 2 shown]
.LBB4_3292:                             ;   in Loop: Header=BB4_3205 Depth=1
	s_or_b64 exec, exec, s[40:41]
	v_lshlrev_b32_e32 v17, 10, v34
	v_cmp_ne_u32_e32 vcc, v2, v17
	s_and_b64 exec, exec, vcc
	s_cbranch_execz .LBB4_3296
; %bb.3293:                             ;   in Loop: Header=BB4_3205 Depth=1
	v_add_u32_e32 v6, v3, v31
	v_and_b32_e32 v6, 0xffffffc0, v6
	v_sub_u32_e32 v3, v3, v6
	v_lshlrev_b32_e32 v6, 6, v21
	v_sub_u32_e32 v3, v3, v6
	v_add_u32_e32 v17, v17, v3
	v_sub_u32_e32 v21, v2, v17
	v_cmp_lt_i32_e32 vcc, 0, v21
	s_and_b64 exec, exec, vcc
	s_cbranch_execz .LBB4_3296
; %bb.3294:                             ;   in Loop: Header=BB4_3205 Depth=1
	s_trap 2
	ds_read_b64 v[2:3], v0
	v_add_u32_e32 v22, v17, v5
	v_ashrrev_i32_e32 v17, 31, v22
	s_mov_b64 s[40:41], 0
.LBB4_3295:                             ;   Parent Loop BB4_3205 Depth=1
                                        ; =>  This Inner Loop Header: Depth=2
	s_waitcnt lgkmcnt(0)
	v_add_co_u32_e32 v6, vcc, v2, v22
	v_addc_co_u32_e32 v7, vcc, v3, v17, vcc
	flat_load_ubyte v5, v[6:7] glc slc
	v_add_co_u32_e32 v22, vcc, v22, v16
	v_sub_u32_e32 v21, v21, v16
	v_addc_co_u32_e32 v17, vcc, v17, v11, vcc
	v_cmp_gt_i32_e32 vcc, 1, v21
	s_or_b64 s[40:41], vcc, s[40:41]
	s_waitcnt vmcnt(0) lgkmcnt(0)
	flat_store_byte v[6:7], v5 glc slc
	s_andn2_b64 exec, exec, s[40:41]
	s_cbranch_execnz .LBB4_3295
.LBB4_3296:                             ;   in Loop: Header=BB4_3205 Depth=1
	s_or_b64 exec, exec, s[20:21]
	v_cmp_ne_u32_e64 s[20:21], 0, v4
.LBB4_3297:                             ;   in Loop: Header=BB4_3205 Depth=1
	s_and_saveexec_b64 s[40:41], s[10:11]
	s_cbranch_execz .LBB4_3316
; %bb.3298:                             ;   in Loop: Header=BB4_3205 Depth=1
	s_and_saveexec_b64 vcc, s[30:31]
	s_xor_b64 s[42:43], exec, vcc
	s_cbranch_execz .LBB4_3313
; %bb.3299:                             ;   in Loop: Header=BB4_3205 Depth=1
	s_and_saveexec_b64 s[44:45], s[12:13]
	s_cbranch_execz .LBB4_3312
; %bb.3300:                             ;   in Loop: Header=BB4_3205 Depth=1
	s_mov_b64 s[48:49], exec
	v_mbcnt_lo_u32_b32 v2, s48, 0
	v_mbcnt_hi_u32_b32 v2, s49, v2
	v_cmp_eq_u32_e32 vcc, 0, v2
	s_waitcnt vmcnt(0) lgkmcnt(0)
	buffer_wbinvl1_vol
	s_and_saveexec_b64 s[46:47], vcc
	s_cbranch_execz .LBB4_3302
; %bb.3301:                             ;   in Loop: Header=BB4_3205 Depth=1
	s_bcnt1_i32_b64 vcc_lo, s[48:49]
	v_mov_b32_e32 v2, vcc_lo
	v_mov_b32_e32 v3, v13
	ds_add_u64 v0, v[2:3]
	s_trap 2
.LBB4_3302:                             ;   in Loop: Header=BB4_3205 Depth=1
	s_or_b64 exec, exec, s[46:47]
	s_trap 2
	ds_read_b64 v[2:3], v0
	v_add_co_u32_e32 v38, vcc, v38, v10
	v_addc_co_u32_e32 v39, vcc, 0, v39, vcc
	s_waitcnt lgkmcnt(0)
	v_cmp_lt_u64_e32 vcc, v[2:3], v[38:39]
	s_and_saveexec_b64 s[46:47], vcc
	s_cbranch_execz .LBB4_3311
; %bb.3303:                             ;   in Loop: Header=BB4_3205 Depth=1
	s_mov_b32 s60, 0
	s_mov_b64 s[48:49], 0
                                        ; implicit-def: $sgpr50_sgpr51
                                        ; implicit-def: $sgpr52_sgpr53
	s_branch .LBB4_3305
.LBB4_3304:                             ;   in Loop: Header=BB4_3305 Depth=2
	s_or_b64 exec, exec, s[56:57]
	s_and_b64 vcc, exec, vcc
	s_or_b64 s[48:49], vcc, s[48:49]
	s_andn2_b64 vcc, s[50:51], exec
	s_and_b64 s[50:51], s[52:53], exec
	s_or_b64 s[50:51], vcc, s[50:51]
	s_andn2_b64 exec, exec, s[48:49]
	s_cbranch_execz .LBB4_3309
.LBB4_3305:                             ;   Parent Loop BB4_3205 Depth=1
                                        ; =>  This Inner Loop Header: Depth=2
	s_add_i32 s60, s60, 1
	s_cmpk_lg_i32 s60, 0x2710
	s_cselect_b64 s[54:55], -1, 0
	s_and_b64 vcc, exec, s[54:55]
                                        ; implicit-def: $sgpr56_sgpr57
	s_cbranch_vccnz .LBB4_3307
; %bb.3306:                             ;   in Loop: Header=BB4_3305 Depth=2
	s_trap 2
	ds_read_b64 v[2:3], v0
	s_andn2_b64 s[54:55], s[54:55], exec
	s_mov_b32 s60, 0
	s_mov_b64 s[56:57], -1
	s_waitcnt lgkmcnt(0)
	flat_load_dword v2, v[2:3] glc
	s_waitcnt vmcnt(0) lgkmcnt(0)
	buffer_invl2
	buffer_wbinvl1_vol
	v_cmp_eq_u32_e32 vcc, 0, v2
	s_and_b64 vcc, vcc, exec
	s_or_b64 s[54:55], s[54:55], vcc
.LBB4_3307:                             ;   in Loop: Header=BB4_3305 Depth=2
	s_andn2_b64 s[52:53], s[52:53], exec
	s_and_b64 s[56:57], s[56:57], exec
	s_mov_b64 vcc, -1
	s_or_b64 s[52:53], s[52:53], s[56:57]
	s_and_saveexec_b64 s[56:57], s[54:55]
	s_cbranch_execz .LBB4_3304
; %bb.3308:                             ;   in Loop: Header=BB4_3305 Depth=2
	s_sleep 1
	s_trap 2
	ds_read_b64 v[2:3], v0
	s_andn2_b64 s[52:53], s[52:53], exec
	s_waitcnt lgkmcnt(0)
	v_cmp_ge_u64_e32 vcc, v[2:3], v[38:39]
	s_orn2_b64 vcc, vcc, exec
	s_branch .LBB4_3304
.LBB4_3309:                             ;   in Loop: Header=BB4_3205 Depth=1
	s_or_b64 exec, exec, s[48:49]
	s_and_saveexec_b64 vcc, s[50:51]
	s_xor_b64 vcc, exec, vcc
	s_cbranch_execz .LBB4_3311
; %bb.3310:                             ;   in Loop: Header=BB4_3205 Depth=1
	ds_write_b32 v0, v30
	s_trap 2
.LBB4_3311:                             ;   in Loop: Header=BB4_3205 Depth=1
	s_or_b64 exec, exec, s[46:47]
	;;#ASMSTART
	s_wakeup
	;;#ASMEND
.LBB4_3312:                             ;   in Loop: Header=BB4_3205 Depth=1
	s_or_b64 exec, exec, s[44:45]
.LBB4_3313:                             ;   in Loop: Header=BB4_3205 Depth=1
	s_andn2_saveexec_b64 vcc, s[42:43]
	s_cbranch_execz .LBB4_3315
; %bb.3314:                             ;   in Loop: Header=BB4_3205 Depth=1
	s_waitcnt vmcnt(0) lgkmcnt(0)
	buffer_wbinvl1_vol
	s_barrier
.LBB4_3315:                             ;   in Loop: Header=BB4_3205 Depth=1
	s_or_b64 exec, exec, vcc
.LBB4_3316:                             ;   in Loop: Header=BB4_3205 Depth=1
	s_or_b64 exec, exec, s[40:41]
	v_and_b32_e32 v2, 16, v62
	v_cmp_ne_u32_e32 vcc, 0, v2
	s_and_b64 vcc, vcc, s[20:21]
	s_and_saveexec_b64 s[20:21], vcc
	s_cbranch_execz .LBB4_3318
; %bb.3317:                             ;   in Loop: Header=BB4_3205 Depth=1
	s_waitcnt vmcnt(0) lgkmcnt(0)
	buffer_wbinvl1_vol
.LBB4_3318:                             ;   in Loop: Header=BB4_3205 Depth=1
	s_or_b64 exec, exec, s[20:21]
	v_cmp_ne_u32_e32 vcc, 0, v2
	s_and_saveexec_b64 s[20:21], vcc
	s_cbranch_execz .LBB4_3322
; %bb.3319:                             ;   in Loop: Header=BB4_3205 Depth=1
	s_and_saveexec_b64 vcc, s[18:19]
	s_cbranch_execz .LBB4_3321
; %bb.3320:                             ;   in Loop: Header=BB4_3205 Depth=1
	v_accvgpr_read_b32 v2, a22
	v_accvgpr_read_b32 v3, a23
	flat_store_dword v[2:3], v30
.LBB4_3321:                             ;   in Loop: Header=BB4_3205 Depth=1
	s_or_b64 exec, exec, vcc
	v_add_co_u32_e32 v44, vcc, 1, v44
	v_addc_co_u32_e32 v45, vcc, 0, v45, vcc
	flat_store_dwordx2 v[32:33], v[44:45]
.LBB4_3322:                             ;   in Loop: Header=BB4_3205 Depth=1
	s_or_b64 exec, exec, s[20:21]
	v_mov_b32_e32 v2, v12
.LBB4_3323:                             ;   in Loop: Header=BB4_3205 Depth=1
	s_or_b64 exec, exec, s[38:39]
	s_and_saveexec_b64 s[38:39], s[36:37]
	s_cbranch_execz .LBB4_3204
; %bb.3324:                             ;   in Loop: Header=BB4_3205 Depth=1
	v_and_b32_e32 v3, 8, v62
	v_cmp_ne_u32_e32 vcc, 0, v3
	s_mov_b64 s[36:37], -1
	s_and_saveexec_b64 s[20:21], vcc
	s_cbranch_execz .LBB4_3336
; %bb.3325:                             ;   in Loop: Header=BB4_3205 Depth=1
	v_add_co_u32_e32 v4, vcc, 8, v36
	v_addc_co_u32_e32 v5, vcc, 0, v37, vcc
	v_add_co_u32_e32 v22, vcc, 1, v44
	v_addc_co_u32_e32 v23, vcc, 0, v45, vcc
	v_cmp_lt_u64_e32 vcc, v[4:5], v[22:23]
	v_mov_b32_e32 v3, 1
	s_and_saveexec_b64 s[36:37], vcc
	s_cbranch_execz .LBB4_3335
; %bb.3326:                             ;   in Loop: Header=BB4_3205 Depth=1
	s_mov_b64 s[40:41], 0
	v_mov_b32_e32 v3, 0
                                        ; implicit-def: $sgpr42_sgpr43
	s_branch .LBB4_3330
.LBB4_3327:                             ;   in Loop: Header=BB4_3330 Depth=2
	s_or_b64 exec, exec, s[50:51]
	v_mov_b32_e32 v4, 0
	s_orn2_b64 s[48:49], s[48:49], exec
.LBB4_3328:                             ;   in Loop: Header=BB4_3330 Depth=2
	s_or_b64 exec, exec, s[46:47]
	s_andn2_b64 vcc, s[42:43], exec
	s_and_b64 s[42:43], s[48:49], exec
	s_or_b64 s[42:43], vcc, s[42:43]
	v_mov_b32_e32 v3, v4
.LBB4_3329:                             ;   in Loop: Header=BB4_3330 Depth=2
	s_or_b64 exec, exec, s[44:45]
	s_waitcnt vmcnt(0) lgkmcnt(0)
	v_add_co_u32_e32 v4, vcc, 8, v36
	v_addc_co_u32_e32 v5, vcc, 0, v37, vcc
	v_cmp_ge_u64_e32 vcc, v[4:5], v[22:23]
	s_xor_b64 s[44:45], s[42:43], -1
	s_or_b64 vcc, s[44:45], vcc
	s_and_b64 vcc, exec, vcc
	s_or_b64 s[40:41], vcc, s[40:41]
	s_andn2_b64 exec, exec, s[40:41]
	s_cbranch_execz .LBB4_3334
.LBB4_3330:                             ;   Parent Loop BB4_3205 Depth=1
                                        ; =>  This Inner Loop Header: Depth=2
	s_sleep 1
	flat_load_dwordx2 v[36:37], v[32:33] glc
	v_and_b32_e32 v4, 64, v62
	v_cmp_eq_u32_e32 vcc, 0, v4
	s_andn2_b64 s[42:43], s[42:43], exec
	s_and_saveexec_b64 s[44:45], vcc
	s_cbranch_execz .LBB4_3329
; %bb.3331:                             ;   in Loop: Header=BB4_3330 Depth=2
	v_add_u32_e32 v4, 1, v3
	v_cmp_lt_i32_e32 vcc, s59, v3
	s_mov_b64 s[48:49], -1
	s_and_saveexec_b64 s[46:47], vcc
	s_cbranch_execz .LBB4_3328
; %bb.3332:                             ;   in Loop: Header=BB4_3330 Depth=2
	s_trap 2
	ds_read_b64 v[4:5], v0
	s_waitcnt vmcnt(0) lgkmcnt(0)
	flat_load_dword v3, v[4:5] glc
	s_waitcnt vmcnt(0) lgkmcnt(0)
	buffer_invl2
	buffer_wbinvl1_vol
	v_cmp_ne_u32_e32 vcc, 0, v3
	s_and_saveexec_b64 s[50:51], vcc
	s_cbranch_execz .LBB4_3327
; %bb.3333:                             ;   in Loop: Header=BB4_3330 Depth=2
	v_or_b32_e32 v62, 64, v62
	s_xor_b64 s[48:49], exec, -1
	ds_write_b32 v0, v3
	s_trap 2
	s_branch .LBB4_3327
.LBB4_3334:                             ;   in Loop: Header=BB4_3205 Depth=1
	s_or_b64 exec, exec, s[40:41]
	v_and_b32_e32 v3, 8, v62
.LBB4_3335:                             ;   in Loop: Header=BB4_3205 Depth=1
	s_or_b64 exec, exec, s[36:37]
	v_cmp_eq_u32_e32 vcc, 0, v3
	s_orn2_b64 s[36:37], vcc, exec
	;;#ASMSTART
	s_wakeup
	;;#ASMEND
.LBB4_3336:                             ;   in Loop: Header=BB4_3205 Depth=1
	s_or_b64 exec, exec, s[20:21]
	v_sub_u32_e32 v2, v20, v2
	s_xor_b64 s[20:21], s[36:37], -1
	v_min_i32_e32 v20, v12, v2
	s_and_saveexec_b64 s[36:37], s[20:21]
	s_cbranch_execz .LBB4_3346
; %bb.3337:                             ;   in Loop: Header=BB4_3205 Depth=1
	v_and_b32_e32 v2, 0x100, v62
	v_cmp_ne_u32_e32 vcc, 0, v2
	v_and_b32_e32 v4, 7, v44
	s_mov_b64 s[20:21], -1
                                        ; implicit-def: $vgpr2_vgpr3
	s_and_saveexec_b64 s[40:41], vcc
	s_cbranch_execz .LBB4_3341
; %bb.3338:                             ;   in Loop: Header=BB4_3205 Depth=1
	v_mad_u64_u32 v[22:23], s[20:21], v4, 24, v[42:43]
	flat_load_dword v2, v[22:23]
	v_ashrrev_i32_e32 v21, 31, v20
	flat_store_dwordx2 v[22:23], v[20:21] offset:8
	s_waitcnt vmcnt(0) lgkmcnt(0)
	v_cmp_ne_u32_e32 vcc, 1, v2
	v_cmp_eq_u32_e64 s[20:21], 1, v2
                                        ; implicit-def: $vgpr2_vgpr3
	s_and_saveexec_b64 s[42:43], s[20:21]
	s_cbranch_execz .LBB4_3340
; %bb.3339:                             ;   in Loop: Header=BB4_3205 Depth=1
	flat_load_dword v2, v[22:23] offset:4 glc
	s_waitcnt vmcnt(0) lgkmcnt(0)
	v_ashrrev_i32_e32 v3, 31, v2
.LBB4_3340:                             ;   in Loop: Header=BB4_3205 Depth=1
	s_or_b64 exec, exec, s[42:43]
	s_orn2_b64 s[20:21], vcc, exec
.LBB4_3341:                             ;   in Loop: Header=BB4_3205 Depth=1
	s_or_b64 exec, exec, s[40:41]
	s_and_saveexec_b64 vcc, s[20:21]
; %bb.3342:                             ;   in Loop: Header=BB4_3205 Depth=1
	v_accvgpr_read_b32 v2, a16
	v_mad_i64_i32 v[2:3], s[20:21], v4, v2, 0
; %bb.3343:                             ;   in Loop: Header=BB4_3205 Depth=1
	s_or_b64 exec, exec, vcc
	v_accvgpr_read_b32 v4, a18
	v_accvgpr_read_b32 v5, a19
	v_add_co_u32_e32 v2, vcc, v4, v2
	v_addc_co_u32_e32 v3, vcc, v5, v3, vcc
	ds_write_b64 v0, v[2:3] offset:784
	v_and_b32_e32 v2, 0x2000, v62
	v_cmp_ne_u32_e32 vcc, 0, v2
	s_and_saveexec_b64 s[20:21], vcc
	s_cbranch_execz .LBB4_3345
; %bb.3344:                             ;   in Loop: Header=BB4_3205 Depth=1
	ds_read_b64 v[2:3], v0 offset:584
	s_waitcnt lgkmcnt(0)
	v_add_co_u32_e32 v2, vcc, 1, v2
	v_addc_co_u32_e32 v3, vcc, 0, v3, vcc
	ds_write_b64 v0, v[2:3] offset:584
.LBB4_3345:                             ;   in Loop: Header=BB4_3205 Depth=1
	s_or_b64 exec, exec, s[20:21]
	v_add_co_u32_e32 v44, vcc, 1, v44
	v_addc_co_u32_e32 v45, vcc, 0, v45, vcc
.LBB4_3346:                             ;   in Loop: Header=BB4_3205 Depth=1
	s_or_b64 exec, exec, s[36:37]
	s_and_saveexec_b64 s[20:21], s[10:11]
	s_cbranch_execz .LBB4_3365
; %bb.3347:                             ;   in Loop: Header=BB4_3205 Depth=1
	s_and_saveexec_b64 vcc, s[30:31]
	s_xor_b64 s[36:37], exec, vcc
	s_cbranch_execz .LBB4_3362
; %bb.3348:                             ;   in Loop: Header=BB4_3205 Depth=1
	s_and_saveexec_b64 s[40:41], s[12:13]
	s_cbranch_execz .LBB4_3361
; %bb.3349:                             ;   in Loop: Header=BB4_3205 Depth=1
	s_mov_b64 s[44:45], exec
	v_mbcnt_lo_u32_b32 v2, s44, 0
	v_mbcnt_hi_u32_b32 v2, s45, v2
	v_cmp_eq_u32_e32 vcc, 0, v2
	s_waitcnt vmcnt(0) lgkmcnt(0)
	buffer_wbinvl1_vol
	s_and_saveexec_b64 s[42:43], vcc
	s_cbranch_execz .LBB4_3351
; %bb.3350:                             ;   in Loop: Header=BB4_3205 Depth=1
	s_bcnt1_i32_b64 vcc_lo, s[44:45]
	v_mov_b32_e32 v12, vcc_lo
	ds_add_u64 v0, v[12:13]
	s_trap 2
.LBB4_3351:                             ;   in Loop: Header=BB4_3205 Depth=1
	s_or_b64 exec, exec, s[42:43]
	s_trap 2
	ds_read_b64 v[2:3], v0
	v_add_co_u32_e32 v38, vcc, v38, v10
	v_addc_co_u32_e32 v39, vcc, 0, v39, vcc
	s_waitcnt lgkmcnt(0)
	v_cmp_lt_u64_e32 vcc, v[2:3], v[38:39]
	s_and_saveexec_b64 s[42:43], vcc
	s_cbranch_execz .LBB4_3360
; %bb.3352:                             ;   in Loop: Header=BB4_3205 Depth=1
	s_mov_b32 s54, 0
	s_mov_b64 s[44:45], 0
                                        ; implicit-def: $sgpr46_sgpr47
                                        ; implicit-def: $sgpr48_sgpr49
	s_branch .LBB4_3354
.LBB4_3353:                             ;   in Loop: Header=BB4_3354 Depth=2
	s_or_b64 exec, exec, s[52:53]
	s_and_b64 vcc, exec, vcc
	s_or_b64 s[44:45], vcc, s[44:45]
	s_andn2_b64 vcc, s[46:47], exec
	s_and_b64 s[46:47], s[48:49], exec
	s_or_b64 s[46:47], vcc, s[46:47]
	s_andn2_b64 exec, exec, s[44:45]
	s_cbranch_execz .LBB4_3358
.LBB4_3354:                             ;   Parent Loop BB4_3205 Depth=1
                                        ; =>  This Inner Loop Header: Depth=2
	s_add_i32 s54, s54, 1
	s_cmpk_lg_i32 s54, 0x2710
	s_cselect_b64 s[50:51], -1, 0
	s_and_b64 vcc, exec, s[50:51]
                                        ; implicit-def: $sgpr52_sgpr53
	s_cbranch_vccnz .LBB4_3356
; %bb.3355:                             ;   in Loop: Header=BB4_3354 Depth=2
	s_trap 2
	ds_read_b64 v[2:3], v0
	s_andn2_b64 s[50:51], s[50:51], exec
	s_mov_b32 s54, 0
	s_mov_b64 s[52:53], -1
	s_waitcnt lgkmcnt(0)
	flat_load_dword v2, v[2:3] glc
	s_waitcnt vmcnt(0) lgkmcnt(0)
	buffer_invl2
	buffer_wbinvl1_vol
	v_cmp_eq_u32_e32 vcc, 0, v2
	s_and_b64 vcc, vcc, exec
	s_or_b64 s[50:51], s[50:51], vcc
.LBB4_3356:                             ;   in Loop: Header=BB4_3354 Depth=2
	s_andn2_b64 s[48:49], s[48:49], exec
	s_and_b64 s[52:53], s[52:53], exec
	s_mov_b64 vcc, -1
	s_or_b64 s[48:49], s[48:49], s[52:53]
	s_and_saveexec_b64 s[52:53], s[50:51]
	s_cbranch_execz .LBB4_3353
; %bb.3357:                             ;   in Loop: Header=BB4_3354 Depth=2
	s_sleep 1
	s_trap 2
	ds_read_b64 v[2:3], v0
	s_andn2_b64 s[48:49], s[48:49], exec
	s_waitcnt lgkmcnt(0)
	v_cmp_ge_u64_e32 vcc, v[2:3], v[38:39]
	s_orn2_b64 vcc, vcc, exec
	s_branch .LBB4_3353
.LBB4_3358:                             ;   in Loop: Header=BB4_3205 Depth=1
	s_or_b64 exec, exec, s[44:45]
	s_and_saveexec_b64 vcc, s[46:47]
	s_xor_b64 vcc, exec, vcc
	s_cbranch_execz .LBB4_3360
; %bb.3359:                             ;   in Loop: Header=BB4_3205 Depth=1
	ds_write_b32 v0, v30
	s_trap 2
.LBB4_3360:                             ;   in Loop: Header=BB4_3205 Depth=1
	s_or_b64 exec, exec, s[42:43]
	;;#ASMSTART
	s_wakeup
	;;#ASMEND
.LBB4_3361:                             ;   in Loop: Header=BB4_3205 Depth=1
	s_or_b64 exec, exec, s[40:41]
.LBB4_3362:                             ;   in Loop: Header=BB4_3205 Depth=1
	s_andn2_saveexec_b64 vcc, s[36:37]
	s_cbranch_execz .LBB4_3364
; %bb.3363:                             ;   in Loop: Header=BB4_3205 Depth=1
	s_waitcnt vmcnt(0) lgkmcnt(0)
	buffer_wbinvl1_vol
	s_barrier
.LBB4_3364:                             ;   in Loop: Header=BB4_3205 Depth=1
	s_or_b64 exec, exec, vcc
.LBB4_3365:                             ;   in Loop: Header=BB4_3205 Depth=1
	s_or_b64 exec, exec, s[20:21]
	s_trap 2
	ds_read_b32 v3, v0
	v_cmp_lt_i32_e32 vcc, 0, v20
	v_and_b32_e32 v2, 16, v62
	s_waitcnt lgkmcnt(0)
	v_readfirstlane_b32 s20, v3
	s_cmp_eq_u32 s20, 0
	s_cselect_b64 s[20:21], -1, 0
	s_and_b64 s[20:21], vcc, s[20:21]
	v_cmp_ne_u32_e32 vcc, 0, v2
	s_and_b64 vcc, vcc, s[20:21]
	s_and_saveexec_b64 s[20:21], vcc
	s_cbranch_execz .LBB4_3367
; %bb.3366:                             ;   in Loop: Header=BB4_3205 Depth=1
	s_waitcnt vmcnt(0)
	buffer_wbinvl1_vol
.LBB4_3367:                             ;   in Loop: Header=BB4_3205 Depth=1
	s_or_b64 exec, exec, s[20:21]
	v_cmp_ne_u32_e32 vcc, 0, v2
	s_and_saveexec_b64 s[20:21], vcc
	s_cbranch_execz .LBB4_3203
; %bb.3368:                             ;   in Loop: Header=BB4_3205 Depth=1
	s_and_saveexec_b64 vcc, s[18:19]
	s_cbranch_execz .LBB4_3202
; %bb.3369:                             ;   in Loop: Header=BB4_3205 Depth=1
	v_accvgpr_read_b32 v2, a22
	v_accvgpr_read_b32 v3, a23
	flat_store_dword v[2:3], v30
	s_branch .LBB4_3202
.LBB4_3370:
	s_or_b64 exec, exec, s[28:29]
.LBB4_3371:
	s_or_b64 exec, exec, s[24:25]
.LBB4_3372:
	s_or_b64 exec, exec, s[22:23]
	v_and_b32_e32 v0, 0x800, v62
	v_cmp_eq_u32_e32 vcc, 0, v0
	s_and_saveexec_b64 s[4:5], vcc
	s_cbranch_execz .LBB4_3407
; %bb.3373:
	v_and_b32_e32 v0, 48, v62
	v_cmp_ne_u32_e32 vcc, 0, v0
	s_and_saveexec_b64 s[6:7], vcc
	s_cbranch_execz .LBB4_3375
; %bb.3374:
	v_accvgpr_read_b32 v0, a10
	v_accvgpr_read_b32 v1, a11
	s_waitcnt vmcnt(0) lgkmcnt(0)
	flat_store_dwordx2 v[0:1], v[44:45] offset:104
.LBB4_3375:
	s_or_b64 exec, exec, s[6:7]
	s_movk_i32 s6, 0x88
	v_and_b32_e32 v0, 0x88, v62
	v_cmp_eq_u32_e32 vcc, s6, v0
	s_and_saveexec_b64 s[6:7], vcc
	s_cbranch_execz .LBB4_3387
; %bb.3376:
	s_waitcnt vmcnt(0) lgkmcnt(0)
	v_add_u32_e32 v0, -1, v44
	v_and_b32_e32 v0, 7, v0
	v_mad_u64_u32 v[0:1], s[10:11], v0, 24, v[42:43]
	v_add_co_u32_e32 v4, vcc, 8, v0
	v_addc_co_u32_e32 v5, vcc, 0, v1, vcc
	s_mov_b64 s[10:11], 0
	v_mov_b32_e32 v0, 0
	s_movk_i32 s24, 0x270e
                                        ; implicit-def: $sgpr12_sgpr13
	s_branch .LBB4_3381
.LBB4_3377:                             ;   in Loop: Header=BB4_3381 Depth=1
	s_or_b64 exec, exec, s[22:23]
	v_mov_b32_e32 v1, 0
	s_orn2_b64 s[20:21], s[20:21], exec
.LBB4_3378:                             ;   in Loop: Header=BB4_3381 Depth=1
	s_or_b64 exec, exec, s[18:19]
	s_and_b64 s[18:19], s[20:21], exec
	v_mov_b32_e32 v0, v1
.LBB4_3379:                             ;   in Loop: Header=BB4_3381 Depth=1
	s_or_b64 exec, exec, s[16:17]
	s_xor_b64 s[16:17], s[18:19], -1
	s_andn2_b64 s[12:13], s[12:13], exec
	s_and_b64 s[16:17], s[16:17], exec
	s_or_b64 s[12:13], s[12:13], s[16:17]
.LBB4_3380:                             ;   in Loop: Header=BB4_3381 Depth=1
	s_or_b64 exec, exec, s[14:15]
	s_and_b64 s[14:15], exec, s[12:13]
	s_or_b64 s[10:11], s[14:15], s[10:11]
	s_andn2_b64 exec, exec, s[10:11]
	s_cbranch_execz .LBB4_3386
.LBB4_3381:                             ; =>This Inner Loop Header: Depth=1
	flat_load_dwordx2 v[2:3], v[4:5] glc
	s_waitcnt vmcnt(0)
	s_or_b64 s[12:13], s[12:13], exec
	s_waitcnt lgkmcnt(0)
	v_cmp_ne_u64_e32 vcc, -1, v[2:3]
	s_and_saveexec_b64 s[14:15], vcc
	s_cbranch_execz .LBB4_3380
; %bb.3382:                             ;   in Loop: Header=BB4_3381 Depth=1
	v_and_b32_e32 v1, 64, v62
	v_cmp_eq_u32_e32 vcc, 0, v1
	s_mov_b64 s[18:19], 0
	s_and_saveexec_b64 s[16:17], vcc
	s_cbranch_execz .LBB4_3379
; %bb.3383:                             ;   in Loop: Header=BB4_3381 Depth=1
	v_add_u32_e32 v1, 1, v0
	v_cmp_lt_i32_e32 vcc, s24, v0
	s_mov_b64 s[20:21], -1
	s_and_saveexec_b64 s[18:19], vcc
	s_cbranch_execz .LBB4_3378
; %bb.3384:                             ;   in Loop: Header=BB4_3381 Depth=1
	s_trap 2
	ds_read_b64 v[0:1], v0
	s_waitcnt lgkmcnt(0)
	flat_load_dword v0, v[0:1] glc
	s_waitcnt vmcnt(0) lgkmcnt(0)
	buffer_invl2
	buffer_wbinvl1_vol
	v_cmp_ne_u32_e32 vcc, 0, v0
	s_and_saveexec_b64 s[22:23], vcc
	s_cbranch_execz .LBB4_3377
; %bb.3385:                             ;   in Loop: Header=BB4_3381 Depth=1
	v_or_b32_e32 v62, 64, v62
	s_xor_b64 s[20:21], exec, -1
	ds_write_b32 v0, v0
	s_trap 2
	s_branch .LBB4_3377
.LBB4_3386:
	s_or_b64 exec, exec, s[10:11]
.LBB4_3387:
	s_or_b64 exec, exec, s[6:7]
	v_and_b32_e32 v0, 0x2000, v62
	v_cmp_ne_u32_e32 vcc, 0, v0
	s_and_saveexec_b64 s[6:7], vcc
	s_cbranch_execz .LBB4_3389
; %bb.3388:
	s_trap 2
	ds_read_b64 v[0:1], v0
	v_accvgpr_read_b32 v2, a8
	v_accvgpr_read_b32 v3, a9
	s_waitcnt lgkmcnt(0)
	flat_store_dwordx2 v[2:3], v[0:1] offset:16
.LBB4_3389:
	s_or_b64 exec, exec, s[6:7]
	v_cmp_ne_u32_e32 vcc, 64, v47
	s_and_b64 exec, exec, vcc
	s_cbranch_execz .LBB4_3407
; %bb.3390:
	s_waitcnt vmcnt(0)
	v_cmp_ne_u32_sdwa s[6:7], v57, v47 src0_sel:WORD_0 src1_sel:DWORD
	s_and_saveexec_b64 s[10:11], s[6:7]
	s_xor_b64 s[6:7], exec, s[10:11]
	s_cbranch_execz .LBB4_3405
; %bb.3391:
	v_and_b32_e32 v0, 63, v56
	v_cmp_eq_u32_e32 vcc, 0, v0
	s_and_saveexec_b64 s[10:11], vcc
	s_cbranch_execz .LBB4_3404
; %bb.3392:
	s_mov_b64 s[14:15], exec
	v_mbcnt_lo_u32_b32 v0, s14, 0
	v_mbcnt_hi_u32_b32 v0, s15, v0
	v_cmp_eq_u32_e32 vcc, 0, v0
	s_waitcnt lgkmcnt(0)
	buffer_wbinvl1_vol
	s_and_saveexec_b64 s[12:13], vcc
	s_cbranch_execz .LBB4_3394
; %bb.3393:
	s_bcnt1_i32_b64 s14, s[14:15]
	v_mov_b32_e32 v0, s14
	v_mov_b32_e32 v1, 0
	ds_add_u64 v0, v[0:1]
	s_trap 2
.LBB4_3394:
	s_or_b64 exec, exec, s[12:13]
	v_ashrrev_i32_e32 v0, 31, v47
	v_lshrrev_b32_e32 v0, 26, v0
	v_add_u32_e32 v0, v47, v0
	v_ashrrev_i32_e32 v0, 6, v0
	s_trap 2
	ds_read_b64 v[2:3], v0
	v_ashrrev_i32_e32 v1, 31, v0
	v_add_co_u32_e32 v0, vcc, v38, v0
	v_addc_co_u32_e32 v1, vcc, v39, v1, vcc
	s_waitcnt lgkmcnt(0)
	v_cmp_lt_u64_e32 vcc, v[2:3], v[0:1]
	s_and_saveexec_b64 s[12:13], vcc
	s_cbranch_execz .LBB4_3403
; %bb.3395:
	s_mov_b32 s28, 0
	s_mov_b64 s[14:15], 0
                                        ; implicit-def: $sgpr16_sgpr17
                                        ; implicit-def: $sgpr18_sgpr19
	s_branch .LBB4_3397
.LBB4_3396:                             ;   in Loop: Header=BB4_3397 Depth=1
	s_or_b64 exec, exec, s[24:25]
	s_and_b64 s[20:21], exec, s[22:23]
	s_or_b64 s[14:15], s[20:21], s[14:15]
	s_andn2_b64 s[16:17], s[16:17], exec
	s_and_b64 s[20:21], s[18:19], exec
	s_or_b64 s[16:17], s[16:17], s[20:21]
	s_andn2_b64 exec, exec, s[14:15]
	s_cbranch_execz .LBB4_3401
.LBB4_3397:                             ; =>This Inner Loop Header: Depth=1
	s_add_i32 s28, s28, 1
	s_cmpk_lg_i32 s28, 0x2710
	s_cselect_b64 s[20:21], -1, 0
	s_and_b64 vcc, exec, s[20:21]
                                        ; implicit-def: $sgpr24_sgpr25
	s_cbranch_vccnz .LBB4_3399
; %bb.3398:                             ;   in Loop: Header=BB4_3397 Depth=1
	s_trap 2
	ds_read_b64 v[2:3], v0
	s_andn2_b64 s[20:21], s[20:21], exec
	s_mov_b32 s28, 0
	s_mov_b64 s[24:25], -1
	s_waitcnt lgkmcnt(0)
	flat_load_dword v2, v[2:3] glc
	s_waitcnt vmcnt(0) lgkmcnt(0)
	buffer_invl2
	buffer_wbinvl1_vol
	v_cmp_eq_u32_e32 vcc, 0, v2
	s_and_b64 s[22:23], vcc, exec
	s_or_b64 s[20:21], s[20:21], s[22:23]
.LBB4_3399:                             ;   in Loop: Header=BB4_3397 Depth=1
	s_andn2_b64 s[18:19], s[18:19], exec
	s_and_b64 s[24:25], s[24:25], exec
	s_mov_b64 s[22:23], -1
	s_or_b64 s[18:19], s[18:19], s[24:25]
	s_and_saveexec_b64 s[24:25], s[20:21]
	s_cbranch_execz .LBB4_3396
; %bb.3400:                             ;   in Loop: Header=BB4_3397 Depth=1
	s_sleep 1
	s_trap 2
	ds_read_b64 v[2:3], v0
	s_andn2_b64 s[18:19], s[18:19], exec
	s_waitcnt lgkmcnt(0)
	v_cmp_ge_u64_e32 vcc, v[2:3], v[0:1]
	s_orn2_b64 s[22:23], vcc, exec
	s_branch .LBB4_3396
.LBB4_3401:
	s_or_b64 exec, exec, s[14:15]
	s_and_saveexec_b64 s[14:15], s[16:17]
	s_xor_b64 s[14:15], exec, s[14:15]
	s_cbranch_execz .LBB4_3403
; %bb.3402:
	v_mov_b32_e32 v0, 1
	ds_write_b32 v0, v0
	s_trap 2
.LBB4_3403:
	s_or_b64 exec, exec, s[12:13]
	;;#ASMSTART
	s_wakeup
	;;#ASMEND
.LBB4_3404:
	s_or_b64 exec, exec, s[10:11]
.LBB4_3405:
	s_andn2_saveexec_b64 s[6:7], s[6:7]
	s_cbranch_execz .LBB4_3407
; %bb.3406:
	s_waitcnt lgkmcnt(0)
	buffer_wbinvl1_vol
	s_barrier
.LBB4_3407:
	s_or_b64 exec, exec, s[4:5]
.LBB4_3408:
	s_andn2_saveexec_b64 s[26:27], s[26:27]
	s_cbranch_execz .LBB4_3410
; %bb.3409:
	s_getpc_b64 s[4:5]
	s_add_u32 s4, s4, __PRETTY_FUNCTION__._ZN10PrimitivesI14__hip_fp8_e4m37FuncSumIS0_E12FanSymmetricILi1EELi0E11ProtoSimpleILi1ELi1ELi0ELi2ELi0ELi0EELi0ELb0ELi0ELi0ELi0EEC2EiiPKiS9_PKvPvmhhhP15ncclDevWorkCollP14ncclDevWorkP2pii@rel32@lo+4
	s_addc_u32 s5, s5, __PRETTY_FUNCTION__._ZN10PrimitivesI14__hip_fp8_e4m37FuncSumIS0_E12FanSymmetricILi1EELi0E11ProtoSimpleILi1ELi1ELi0ELi2ELi0ELi0EELi0ELb0ELi0ELi0ELi0EEC2EiiPKiS9_PKvPvmhhhP15ncclDevWorkCollP14ncclDevWorkP2pii@rel32@hi+12
	v_mov_b32_e32 v0, s4
	v_mov_b32_e32 v1, s5
	s_getpc_b64 s[6:7]
	s_add_u32 s6, s6, __assert_fail@rel32@lo+4
	s_addc_u32 s7, s7, __assert_fail@rel32@hi+12
	s_swappc_b64 s[30:31], s[6:7]
	; divergent unreachable
.LBB4_3410:
	s_or_b64 exec, exec, s[26:27]
	buffer_load_dword a40, off, s[0:3], s33 ; 4-byte Folded Reload
	buffer_load_dword a38, off, s[0:3], s33 offset:4 ; 4-byte Folded Reload
	buffer_load_dword a37, off, s[0:3], s33 offset:8 ; 4-byte Folded Reload
	;; [unrolled: 1-line block ×16, first 2 shown]
	s_waitcnt lgkmcnt(0)
	buffer_load_dword v45, off, s[0:3], s33 offset:68 ; 4-byte Folded Reload
	buffer_load_dword v44, off, s[0:3], s33 offset:72 ; 4-byte Folded Reload
	;; [unrolled: 1-line block ×6, first 2 shown]
	v_readlane_b32 s30, v63, 46
	v_readlane_b32 s31, v63, 47
	v_readlane_b32 s79, v63, 45
	v_readlane_b32 s78, v63, 44
	v_readlane_b32 s77, v63, 43
	v_readlane_b32 s76, v63, 42
	v_readlane_b32 s75, v63, 41
	v_readlane_b32 s74, v63, 40
	v_readlane_b32 s73, v63, 39
	v_readlane_b32 s72, v63, 38
	v_readlane_b32 s71, v63, 37
	v_readlane_b32 s70, v63, 36
	v_readlane_b32 s69, v63, 35
	v_readlane_b32 s68, v63, 34
	v_readlane_b32 s67, v63, 33
	v_readlane_b32 s66, v63, 32
	v_readlane_b32 s65, v63, 31
	v_readlane_b32 s64, v63, 30
	v_readlane_b32 s63, v63, 29
	v_readlane_b32 s62, v63, 28
	v_readlane_b32 s61, v63, 27
	v_readlane_b32 s60, v63, 26
	v_readlane_b32 s59, v63, 25
	v_readlane_b32 s58, v63, 24
	v_readlane_b32 s57, v63, 23
	v_readlane_b32 s56, v63, 22
	v_readlane_b32 s55, v63, 21
	v_readlane_b32 s54, v63, 20
	v_readlane_b32 s53, v63, 19
	v_readlane_b32 s52, v63, 18
	v_readlane_b32 s51, v63, 17
	v_readlane_b32 s50, v63, 16
	v_readlane_b32 s49, v63, 15
	v_readlane_b32 s48, v63, 14
	v_readlane_b32 s47, v63, 13
	v_readlane_b32 s46, v63, 12
	v_readlane_b32 s45, v63, 11
	v_readlane_b32 s44, v63, 10
	v_readlane_b32 s43, v63, 9
	v_readlane_b32 s42, v63, 8
	v_readlane_b32 s41, v63, 7
	v_readlane_b32 s40, v63, 6
	v_readlane_b32 s39, v63, 5
	v_readlane_b32 s38, v63, 4
	v_readlane_b32 s37, v63, 3
	v_readlane_b32 s36, v63, 2
	v_readlane_b32 s35, v63, 1
	v_readlane_b32 s34, v63, 0
	v_readlane_b32 s4, v63, 48
	s_or_saveexec_b64 s[6:7], -1
	buffer_load_dword v63, off, s[0:3], s33 offset:92 ; 4-byte Folded Reload
	s_mov_b64 exec, s[6:7]
	s_addk_i32 s32, 0xe400
	s_mov_b32 s33, s4
	s_waitcnt vmcnt(0)
	s_setpc_b64 s[30:31]
.Lfunc_end4:
	.size	_ZN12_GLOBAL__N_17runRingI14__hip_fp8_e4m37FuncSumIS1_E11ProtoSimpleILi1ELi1ELi0ELi2ELi0ELi0EELi0ELi2ELi0EEEviiP15ncclDevWorkColl, .Lfunc_end4-_ZN12_GLOBAL__N_17runRingI14__hip_fp8_e4m37FuncSumIS1_E11ProtoSimpleILi1ELi1ELi0ELi2ELi0ELi0EELi0ELi2ELi0EEEviiP15ncclDevWorkColl
                                        ; -- End function
	.section	.AMDGPU.csdata,"",@progbits
; Function info:
; codeLenInByte = 111792
; NumSgprs: 84
; NumVgprs: 64
; NumAgprs: 41
; TotalNumVgprs: 105
; ScratchSize: 176
; MemoryBound: 1
	.text
	.p2align	2                               ; -- Begin function _Z47ncclDevFunc_Reduce_RING_SIMPLE_Sum_f8e4m3_0_0_2v
	.type	_Z47ncclDevFunc_Reduce_RING_SIMPLE_Sum_f8e4m3_0_0_2v,@function
_Z47ncclDevFunc_Reduce_RING_SIMPLE_Sum_f8e4m3_0_0_2v: ; @_Z47ncclDevFunc_Reduce_RING_SIMPLE_Sum_f8e4m3_0_0_2v
; %bb.0:
	s_waitcnt vmcnt(0) expcnt(0) lgkmcnt(0)
	s_mov_b32 s4, s33
	s_mov_b32 s33, s32
	s_or_saveexec_b64 s[6:7], -1
	buffer_store_dword v43, off, s[0:3], s33 offset:16 ; 4-byte Folded Spill
	s_mov_b64 exec, s[6:7]
	v_writelane_b32 v43, s4, 56
	s_addk_i32 s32, 0x800
	buffer_store_dword v40, off, s[0:3], s33 offset:12 ; 4-byte Folded Spill
	buffer_store_dword v41, off, s[0:3], s33 offset:8 ; 4-byte Folded Spill
	;; [unrolled: 1-line block ×3, first 2 shown]
	buffer_store_dword v63, off, s[0:3], s33 ; 4-byte Folded Spill
	v_writelane_b32 v43, s34, 0
	v_writelane_b32 v43, s35, 1
	;; [unrolled: 1-line block ×56, first 2 shown]
	s_trap 2
	ds_read_b32 v0, v0
	v_mov_b32_e32 v40, v31
	s_mov_b32 s82, s12
	s_mov_b64 s[80:81], s[8:9]
	s_waitcnt lgkmcnt(0)
	v_cmp_gt_i32_e32 vcc, 1, v0
	s_cbranch_vccnz .LBB5_8
; %bb.1:
	s_mov_b32 s83, 0
	v_and_b32_e32 v41, 0x3ff, v40
	s_mov_b64 s[84:85], src_shared_base
	v_mov_b32_e32 v42, 6
	s_branch .LBB5_3
.LBB5_2:                                ;   in Loop: Header=BB5_3 Depth=1
	s_or_b64 exec, exec, s[86:87]
	s_trap 2
	ds_read_b32 v0, v0
	s_add_i32 s83, s83, 1
	s_waitcnt lgkmcnt(0)
	v_cmp_lt_i32_e32 vcc, s83, v0
	s_cbranch_vccz .LBB5_8
.LBB5_3:                                ; =>This Inner Loop Header: Depth=1
	s_trap 2
	ds_read_b32 v0, v0
	s_cmp_eq_u32 s83, 0
	s_cbranch_scc1 .LBB5_6
; %bb.4:                                ;   in Loop: Header=BB5_3 Depth=1
	s_trap 2
	s_waitcnt lgkmcnt(0)
	ds_read_b32 v1, v0
	s_waitcnt lgkmcnt(0)
	v_xor_b32_e32 v1, v1, v0
	v_and_b32_e32 v1, 0xff0000, v1
	v_cmp_eq_u32_e32 vcc, 0, v1
	s_cbranch_vccnz .LBB5_6
; %bb.5:                                ;   in Loop: Header=BB5_3 Depth=1
	s_barrier
	ds_read_b32 v0, v0
.LBB5_6:                                ;   in Loop: Header=BB5_3 Depth=1
	s_waitcnt lgkmcnt(0)
	v_lshlrev_b32_sdwa v1, v42, v0 dst_sel:DWORD dst_unused:UNUSED_PAD src0_sel:DWORD src1_sel:BYTE_2
	v_cmp_lt_u32_e32 vcc, v41, v1
	s_and_saveexec_b64 s[86:87], vcc
	s_cbranch_execz .LBB5_2
; %bb.7:                                ;   in Loop: Header=BB5_3 Depth=1
	s_mov_b64 s[8:9], s[80:81]
	s_mov_b32 s12, s82
	v_mov_b32_e32 v31, v40
	v_mov_b32_e32 v0, v41
	;; [unrolled: 1-line block ×3, first 2 shown]
	s_getpc_b64 s[4:5]
	s_add_u32 s4, s4, _ZN12_GLOBAL__N_17runRingI14__hip_fp8_e4m37FuncSumIS1_E11ProtoSimpleILi1ELi1ELi0ELi2ELi0ELi0EELi0ELi2ELi0EEEviiP15ncclDevWorkColl@rel32@lo+4
	s_addc_u32 s5, s5, _ZN12_GLOBAL__N_17runRingI14__hip_fp8_e4m37FuncSumIS1_E11ProtoSimpleILi1ELi1ELi0ELi2ELi0ELi0EELi0ELi2ELi0EEEviiP15ncclDevWorkColl@rel32@hi+12
	s_swappc_b64 s[30:31], s[4:5]
	s_branch .LBB5_2
.LBB5_8:
	buffer_load_dword v63, off, s[0:3], s33 ; 4-byte Folded Reload
	buffer_load_dword v42, off, s[0:3], s33 offset:4 ; 4-byte Folded Reload
	buffer_load_dword v41, off, s[0:3], s33 offset:8 ; 4-byte Folded Reload
	;; [unrolled: 1-line block ×3, first 2 shown]
	v_readlane_b32 s30, v43, 54
	v_readlane_b32 s31, v43, 55
	;; [unrolled: 1-line block ×57, first 2 shown]
	s_or_saveexec_b64 s[6:7], -1
	buffer_load_dword v43, off, s[0:3], s33 offset:16 ; 4-byte Folded Reload
	s_mov_b64 exec, s[6:7]
	s_addk_i32 s32, 0xf800
	s_mov_b32 s33, s4
	s_waitcnt vmcnt(0)
	s_setpc_b64 s[30:31]
.Lfunc_end5:
	.size	_Z47ncclDevFunc_Reduce_RING_SIMPLE_Sum_f8e4m3_0_0_2v, .Lfunc_end5-_Z47ncclDevFunc_Reduce_RING_SIMPLE_Sum_f8e4m3_0_0_2v
                                        ; -- End function
	.section	.AMDGPU.csdata,"",@progbits
; Function info:
; codeLenInByte = 1276
; NumSgprs: 92
; NumVgprs: 64
; NumAgprs: 41
; TotalNumVgprs: 105
; ScratchSize: 208
; MemoryBound: 0
	.text
	.p2align	2                               ; -- Begin function _ZN12_GLOBAL__N_17runRingI14__hip_fp8_e4m37FuncSumIS1_E11ProtoSimpleILi1ELi1ELi0ELi4ELi0ELi0EELi0ELi4ELi0EEEviiP15ncclDevWorkColl
	.type	_ZN12_GLOBAL__N_17runRingI14__hip_fp8_e4m37FuncSumIS1_E11ProtoSimpleILi1ELi1ELi0ELi4ELi0ELi0EELi0ELi4ELi0EEEviiP15ncclDevWorkColl,@function
_ZN12_GLOBAL__N_17runRingI14__hip_fp8_e4m37FuncSumIS1_E11ProtoSimpleILi1ELi1ELi0ELi4ELi0ELi0EELi0ELi4ELi0EEEviiP15ncclDevWorkColl: ; @_ZN12_GLOBAL__N_17runRingI14__hip_fp8_e4m37FuncSumIS1_E11ProtoSimpleILi1ELi1ELi0ELi4ELi0ELi0EELi0ELi4ELi0EEEviiP15ncclDevWorkColl
; %bb.0:
	s_waitcnt vmcnt(0) expcnt(0) lgkmcnt(0)
	s_mov_b32 s4, s33
	s_mov_b32 s33, s32
	s_or_saveexec_b64 s[6:7], -1
	buffer_store_dword v63, off, s[0:3], s33 offset:100 ; 4-byte Folded Spill
	s_mov_b64 exec, s[6:7]
	v_writelane_b32 v63, s4, 48
	s_addk_i32 s32, 0x1c00
	buffer_store_dword v40, off, s[0:3], s33 offset:96 ; 4-byte Folded Spill
	buffer_store_dword v41, off, s[0:3], s33 offset:92 ; 4-byte Folded Spill
	;; [unrolled: 1-line block ×24, first 2 shown]
	buffer_store_dword a41, off, s[0:3], s33 ; 4-byte Folded Spill
	v_writelane_b32 v63, s34, 0
	v_writelane_b32 v63, s35, 1
	;; [unrolled: 1-line block ×48, first 2 shown]
	s_trap 2
	ds_read_b64 v[14:15], v0
	ds_read_b32 v4, v0
	v_mov_b32_e32 v27, v1
	v_mov_b32_e32 v46, v0
	flat_load_ushort v17, v[2:3] offset:8
	flat_load_dwordx2 v[8:9], v[2:3]
	s_waitcnt lgkmcnt(0)
	v_ashrrev_i32_e32 v1, 31, v15
	v_mov_b32_e32 v0, v15
	v_lshlrev_b64 v[0:1], 2, v[0:1]
	v_add_co_u32_e32 v0, vcc, v14, v0
	v_addc_co_u32_e32 v1, vcc, v15, v1, vcc
	v_add_co_u32_e32 v0, vcc, -4, v0
	v_addc_co_u32_e32 v1, vcc, -1, v1, vcc
	flat_load_dword v0, v[0:1]
                                        ; implicit-def: $vgpr18_vgpr19
                                        ; implicit-def: $vgpr40_vgpr41
                                        ; implicit-def: $vgpr58_vgpr59
	s_waitcnt vmcnt(0)
	v_mov_b32_e32 v16, v9
	v_cmp_ne_u32_sdwa s[4:5], v8, v4 src0_sel:BYTE_0 src1_sel:DWORD
	s_and_saveexec_b64 s[6:7], s[4:5]
	s_xor_b64 s[4:5], exec, s[6:7]
	s_cbranch_execz .LBB6_6
; %bb.1:
	v_not_b32_sdwa v1, v8 dst_sel:DWORD dst_unused:UNUSED_PAD src0_sel:BYTE_0
	v_cmp_ne_u32_sdwa s[6:7], v8, v4 src0_sel:BYTE_1 src1_sel:DWORD
                                        ; implicit-def: $vgpr18_vgpr19
                                        ; implicit-def: $vgpr40_vgpr41
                                        ; implicit-def: $vgpr58_vgpr59
	s_and_saveexec_b64 s[10:11], s[6:7]
	s_xor_b64 s[6:7], exec, s[10:11]
	s_cbranch_execz .LBB6_3
; %bb.2:
	flat_load_dwordx4 v[6:9], v[2:3] offset:72
	flat_load_dwordx2 v[10:11], v[2:3] offset:96
	v_add_u32_e32 v1, v4, v1
	v_ashrrev_i32_e32 v4, 31, v1
	s_waitcnt vmcnt(0) lgkmcnt(0)
	v_mul_lo_u32 v4, v8, v4
	v_mad_u64_u32 v[58:59], s[10:11], v8, v1, v[6:7]
	v_mul_lo_u32 v1, v9, v1
	v_lshrrev_b64 v[18:19], 12, v[10:11]
	v_add3_u32 v59, v1, v59, v4
	v_pk_mov_b32 v[40:41], v[8:9], v[8:9] op_sel:[0,1]
                                        ; implicit-def: $vgpr8
                                        ; implicit-def: $vgpr1
.LBB6_3:
	s_andn2_saveexec_b64 s[6:7], s[6:7]
	s_cbranch_execz .LBB6_5
; %bb.4:
	flat_load_dwordx4 v[4:7], v[2:3] offset:72
	flat_load_dwordx4 v[40:43], v[2:3] offset:88
	v_add_u32_sdwa v1, v8, v1 dst_sel:DWORD dst_unused:UNUSED_PAD src0_sel:BYTE_1 src1_sel:DWORD
	v_ashrrev_i32_e32 v8, 31, v1
	s_waitcnt vmcnt(0) lgkmcnt(0)
	v_mul_lo_u32 v8, v6, v8
	v_mad_u64_u32 v[58:59], s[10:11], v6, v1, v[4:5]
	v_mul_lo_u32 v1, v7, v1
	v_add3_u32 v59, v1, v59, v8
	v_lshrrev_b32_e32 v18, 1, v43
.LBB6_5:
	s_or_b64 exec, exec, s[6:7]
.LBB6_6:
	s_andn2_saveexec_b64 s[4:5], s[4:5]
	s_cbranch_execz .LBB6_8
; %bb.7:
	flat_load_dwordx2 v[4:5], v[2:3] offset:96
	flat_load_dwordx2 v[40:41], v[2:3] offset:72
	v_pk_mov_b32 v[58:59], 0, 0
	s_waitcnt vmcnt(0) lgkmcnt(0)
	v_lshlrev_b64 v[18:19], 9, v[4:5]
.LBB6_8:
	s_or_b64 exec, exec, s[4:5]
	s_trap 2
	s_waitcnt lgkmcnt(0)
	ds_read_b64 v[4:5], v0
	s_waitcnt lgkmcnt(0)
	v_cmp_ne_u32_e32 vcc, -1, v4
	v_cndmask_b32_e64 v1, 0, 1, vcc
	v_cmp_ne_u32_e32 vcc, -1, v5
	v_addc_co_u32_e64 v4, s[4:5], 0, v1, vcc
	v_lshlrev_b32_e32 v5, 1, v4
	v_cmp_le_i32_e64 s[4:5], v5, v27
	s_and_saveexec_b64 s[6:7], s[4:5]
	s_xor_b64 s[26:27], exec, s[6:7]
	s_cbranch_execz .LBB6_3856
; %bb.9:
	flat_load_dwordx4 v[10:13], v[2:3] offset:16
	flat_load_dwordx2 v[20:21], v[2:3] offset:104
	s_trap 2
	s_load_dword s4, s[8:9], 0x0
	v_mov_b32_e32 v2, 0
	v_mov_b32_e32 v62, 4
	s_waitcnt lgkmcnt(0)
	s_cmp_lt_u32 s12, s4
	s_cselect_b32 s4, 12, 18
	s_add_u32 s4, s8, s4
	s_addc_u32 s5, s9, 0
	global_load_ushort v8, v2, s[4:5]
	ds_read_b32 v2, v0
	v_cmp_ge_i32_e64 s[4:5], v46, v1
	s_waitcnt lgkmcnt(0)
	v_readfirstlane_b32 s70, v2
	s_and_saveexec_b64 s[6:7], s[4:5]
	s_cbranch_execz .LBB6_19
; %bb.10:
	v_cmp_le_u32_e64 s[4:5], v4, v46
                                        ; implicit-def: $vgpr62
	s_and_saveexec_b64 s[10:11], s[4:5]
	s_xor_b64 s[4:5], exec, s[10:11]
	s_cbranch_execz .LBB6_16
; %bb.11:
	v_cndmask_b32_e64 v2, 0, 1, vcc
	v_sub_u32_e32 v2, v27, v2
	v_cmp_ge_u32_e32 vcc, v46, v2
                                        ; implicit-def: $sgpr12
	s_and_saveexec_b64 s[10:11], vcc
	s_xor_b64 s[10:11], exec, s[10:11]
; %bb.12:
	s_mov_b32 s12, 16
                                        ; implicit-def: $vgpr4
; %bb.13:
	s_or_saveexec_b64 s[10:11], s[10:11]
	v_mov_b32_e32 v62, s12
	s_xor_b64 exec, exec, s[10:11]
; %bb.14:
	v_sub_u32_e32 v2, v27, v4
	v_cmp_ge_i32_e32 vcc, v46, v2
	v_cndmask_b32_e64 v2, 0, 1, vcc
	v_lshlrev_b32_e32 v62, 5, v2
; %bb.15:
	s_or_b64 exec, exec, s[10:11]
.LBB6_16:
	s_andn2_saveexec_b64 s[4:5], s[4:5]
; %bb.17:
	v_mov_b32_e32 v62, 8
; %bb.18:
	s_or_b64 exec, exec, s[4:5]
.LBB6_19:
	s_or_b64 exec, exec, s[6:7]
	v_and_b32_e32 v2, 36, v62
	v_cmp_ne_u32_e32 vcc, 0, v2
	v_mov_b32_e32 v22, -1
	s_and_saveexec_b64 s[4:5], vcc
	s_cbranch_execz .LBB6_21
; %bb.20:
	s_trap 2
	ds_read_b32 v22, v0
.LBB6_21:
	s_or_b64 exec, exec, s[4:5]
	v_and_b32_e32 v2, 24, v62
	v_cmp_ne_u32_e64 s[4:5], 0, v2
	s_and_saveexec_b64 s[6:7], s[4:5]
	s_cbranch_execz .LBB6_23
; %bb.22:
	s_trap 2
	s_waitcnt lgkmcnt(0)
	ds_read_b32 v22, v0
.LBB6_23:
	s_or_b64 exec, exec, s[6:7]
	v_lshrrev_b64 v[2:3], 31, v[16:17]
	v_pk_mov_b32 v[28:29], 0, 0
	v_and_b32_e32 v2, 3, v2
	s_waitcnt lgkmcnt(0)
	v_ashrrev_i32_e32 v23, 31, v22
	v_pk_mov_b32 v[42:43], v[28:29], v[28:29] op_sel:[0,1]
                                        ; implicit-def: $agpr8_agpr9
                                        ; implicit-def: $agpr18
                                        ; implicit-def: $vgpr36_vgpr37
                                        ; implicit-def: $agpr20_agpr21
                                        ; implicit-def: $vgpr60_vgpr61
	s_and_saveexec_b64 s[4:5], vcc
	s_cbranch_execz .LBB6_33
; %bb.24:
	s_trap 2
	ds_read_b64 v[4:5], v0
	v_lshlrev_b64 v[6:7], 3, v[22:23]
	v_and_b32_e32 v3, 0xffff, v2
	s_movk_i32 s6, 0xa8
                                        ; implicit-def: $agpr8_agpr9
	s_waitcnt lgkmcnt(0)
	v_add_co_u32_e32 v4, vcc, v4, v6
	v_addc_co_u32_e32 v5, vcc, v5, v7, vcc
	flat_load_dwordx2 v[4:5], v[4:5]
	s_waitcnt vmcnt(0) lgkmcnt(0)
	v_mad_u64_u32 v[4:5], s[6:7], v3, s6, v[4:5]
	flat_load_dword v3, v[4:5] offset:640
	v_add_co_u32_e32 v28, vcc, 0x1f8, v4
	v_addc_co_u32_e32 v29, vcc, 0, v5, vcc
	s_waitcnt vmcnt(0) lgkmcnt(0)
	v_cmp_eq_u32_e32 vcc, 1, v3
	s_and_saveexec_b64 s[6:7], vcc
	s_cbranch_execz .LBB6_26
; %bb.25:
	flat_load_dwordx2 v[6:7], v[28:29] offset:144
	v_or_b32_e32 v62, 0x2000, v62
	s_waitcnt vmcnt(0) lgkmcnt(0)
	flat_load_dwordx2 v[4:5], v[6:7]
	s_trap 2
	v_accvgpr_write_b32 a9, v7
	v_accvgpr_write_b32 a8, v6
	s_waitcnt vmcnt(0) lgkmcnt(0)
	ds_write_b64 v0, v[4:5]
	flat_load_dwordx2 v[4:5], v[6:7] offset:8
	s_waitcnt vmcnt(0) lgkmcnt(0)
	ds_write_b64 v0, v[4:5]
	flat_load_dwordx2 v[4:5], v[6:7] offset:16
	s_waitcnt vmcnt(0) lgkmcnt(0)
	ds_write_b64 v0, v[4:5]
.LBB6_26:
	s_or_b64 exec, exec, s[6:7]
	flat_load_dwordx2 v[44:45], v[28:29] offset:104
	v_and_b32_e32 v3, 32, v62
	v_cmp_ne_u32_e32 vcc, 0, v3
                                        ; implicit-def: $vgpr60_vgpr61
	s_and_saveexec_b64 s[6:7], vcc
	s_cbranch_execz .LBB6_28
; %bb.27:
	flat_load_dwordx2 v[60:61], v[28:29] offset:56
	s_waitcnt vmcnt(0) lgkmcnt(0)
	flat_store_dwordx2 v[60:61], v[44:45]
.LBB6_28:
	s_or_b64 exec, exec, s[6:7]
	v_and_b32_e32 v3, 4, v62
	v_cmp_ne_u32_e32 vcc, 0, v3
	v_pk_mov_b32 v[42:43], 0, 0
                                        ; implicit-def: $agpr18
                                        ; implicit-def: $vgpr36_vgpr37
                                        ; implicit-def: $agpr20_agpr21
	s_and_saveexec_b64 s[6:7], vcc
	s_cbranch_execz .LBB6_32
; %bb.29:
	v_and_b32_e32 v3, 0x800, v62
	v_cmp_eq_u32_e32 vcc, 0, v3
	s_and_saveexec_b64 s[10:11], vcc
	s_cbranch_execz .LBB6_31
; %bb.30:
	s_trap 2
	ds_write_b64 v0, v[28:29]
.LBB6_31:
	s_or_b64 exec, exec, s[10:11]
	flat_load_dwordx2 v[60:61], v[28:29] offset:48
	v_or_b32_e32 v3, 0x100, v62
	s_waitcnt vmcnt(0) lgkmcnt(0)
	flat_load_dwordx2 v[36:37], v[60:61] glc
	flat_load_dwordx2 v[42:43], v[28:29] offset:96
	flat_load_dword a18, v[28:29] offset:72
	flat_load_dwordx2 a[20:21], v[28:29] offset:16
	s_waitcnt vmcnt(0) lgkmcnt(0)
	v_cmp_eq_u64_e32 vcc, 0, v[42:43]
	v_cndmask_b32_e32 v62, v3, v62, vcc
.LBB6_32:
	s_or_b64 exec, exec, s[6:7]
.LBB6_33:
	s_or_b64 exec, exec, s[4:5]
	v_and_b32_e32 v3, 24, v62
	v_cmp_ne_u32_e32 vcc, 0, v3
                                        ; implicit-def: $agpr26_agpr27
	s_and_saveexec_b64 s[4:5], vcc
	s_cbranch_execz .LBB6_41
; %bb.34:
	s_trap 2
	ds_read_b64 v[4:5], v0
	v_lshlrev_b64 v[6:7], 3, v[22:23]
	v_and_b32_e32 v2, 0xffff, v2
	s_movk_i32 s6, 0xa8
                                        ; implicit-def: $agpr26_agpr27
	s_waitcnt lgkmcnt(0)
	v_add_co_u32_e32 v4, vcc, v4, v6
	v_addc_co_u32_e32 v5, vcc, v5, v7, vcc
	flat_load_dwordx2 v[4:5], v[4:5]
	s_waitcnt vmcnt(0) lgkmcnt(0)
	v_mad_u64_u32 v[28:29], s[6:7], v2, s6, v[4:5]
	flat_load_dwordx4 v[42:45], v[28:29] offset:96
	v_or_b32_e32 v2, 0x100, v62
	s_waitcnt vmcnt(0) lgkmcnt(0)
	v_cmp_eq_u64_e32 vcc, 0, v[42:43]
	v_cndmask_b32_e32 v62, v2, v62, vcc
	v_and_b32_e32 v2, 16, v62
	v_cmp_ne_u32_e32 vcc, 0, v2
	s_and_saveexec_b64 s[6:7], vcc
	s_cbranch_execz .LBB6_36
; %bb.35:
	flat_load_dwordx2 a[26:27], v[28:29] offset:120
	flat_load_dwordx2 v[60:61], v[28:29] offset:48
	;; [unrolled: 1-line block ×3, first 2 shown]
.LBB6_36:
	s_or_b64 exec, exec, s[6:7]
	v_and_b32_e32 v2, 8, v62
	v_cmp_ne_u32_e32 vcc, 0, v2
	s_and_saveexec_b64 s[6:7], vcc
	s_cbranch_execz .LBB6_40
; %bb.37:
	v_and_b32_e32 v2, 0x800, v62
	v_cmp_eq_u32_e32 vcc, 0, v2
	s_and_saveexec_b64 s[10:11], vcc
	s_cbranch_execz .LBB6_39
; %bb.38:
	s_trap 2
	ds_write_b64 v0, v[28:29]
.LBB6_39:
	s_or_b64 exec, exec, s[10:11]
	s_waitcnt vmcnt(0) lgkmcnt(0)
	flat_load_dwordx2 v[60:61], v[28:29] offset:56
	s_waitcnt vmcnt(0) lgkmcnt(0)
	flat_load_dwordx2 v[36:37], v[60:61] glc
	flat_load_dword a18, v[28:29] offset:72
	flat_load_dwordx2 a[20:21], v[28:29] offset:16
.LBB6_40:
	s_or_b64 exec, exec, s[6:7]
.LBB6_41:
	s_or_b64 exec, exec, s[4:5]
	v_cmp_eq_u32_e64 s[4:5], 0, v46
	s_and_saveexec_b64 s[6:7], s[4:5]
	s_cbranch_execz .LBB6_43
; %bb.42:
	s_waitcnt vmcnt(0)
	v_mov_b32_e32 v2, v12
	v_mov_b32_e32 v3, v13
	;; [unrolled: 1-line block ×4, first 2 shown]
	ds_write2_b64 v0, v[2:3], v[4:5] offset1:1
	v_mov_b32_e32 v2, 0
	v_mov_b32_e32 v3, v2
	s_trap 2
	ds_write_b64 v0, v[2:3]
	ds_write_b64 v0, v[20:21]
.LBB6_43:
	s_or_b64 exec, exec, s[6:7]
	v_bfe_u32 v2, v16, 1, 30
	v_and_b32_e32 v32, 0x3ffffe00, v18
	v_mov_b32_e32 v33, 0
	v_cmp_ne_u32_e32 vcc, v0, v2
                                        ; implicit-def: $agpr22_agpr23
	s_and_saveexec_b64 s[6:7], vcc
	s_xor_b64 s[28:29], exec, s[6:7]
	s_cbranch_execz .LBB6_3647
; %bb.44:
	v_cmp_ne_u32_e32 vcc, v14, v2
	v_cmp_ne_u64_e64 s[6:7], 0, v[40:41]
                                        ; implicit-def: $agpr22_agpr23
	s_and_saveexec_b64 s[10:11], vcc
	s_xor_b64 s[30:31], exec, s[10:11]
	s_cbranch_execz .LBB6_1849
; %bb.45:
	v_pk_mov_b32 v[2:3], 0, 0
	v_accvgpr_write_b32 a23, v3
	v_accvgpr_write_b32 a22, v2
	s_and_saveexec_b64 s[34:35], s[6:7]
	s_cbranch_execz .LBB6_1848
; %bb.46:
	s_waitcnt vmcnt(0) lgkmcnt(0)
	v_accvgpr_read_b32 v0, a18
	v_ashrrev_i32_e32 v3, 31, v0
	v_and_b32_e32 v0, 63, v31
	v_cmp_eq_u32_e64 s[14:15], 0, v0
	v_ashrrev_i32_e32 v0, 31, v46
	v_lshrrev_b32_e32 v0, 26, v0
	v_add_u32_e32 v0, v46, v0
	v_and_b32_e32 v2, 0xffffffc0, v0
	v_ashrrev_i32_e32 v19, 6, v0
	v_sub_u32_e32 v2, v46, v2
	v_lshlrev_b32_e32 v0, 11, v19
	v_lshl_add_u32 v0, v2, 4, v0
	v_lshrrev_b32_e32 v4, 6, v27
	v_cmp_le_i32_e64 s[16:17], v2, v1
	v_cmp_lt_i32_e64 s[18:19], v2, v1
	v_accvgpr_write_b32 a30, v0
	v_ashrrev_i32_e32 v1, 31, v0
	v_mov_b32_e32 v0, 0xfffff800
	v_lshl_add_u32 v0, v4, 11, v0
	s_movk_i32 s20, 0x800
	v_accvgpr_write_b32 a31, v1
	v_ashrrev_i32_e32 v1, 31, v0
	v_add_co_u32_e64 v0, s[20:21], s20, v0
	v_accvgpr_write_b32 a19, v2
	v_accvgpr_write_b32 a32, v0
	v_addc_co_u32_e64 v0, s[20:21], 0, v1, s[20:21]
	v_lshlrev_b32_e32 v2, 10, v4
	v_accvgpr_write_b32 a33, v0
	v_add_u32_e32 v0, 0xfffffc00, v2
	s_movk_i32 s20, 0x400
	v_accvgpr_write_b32 a10, v28
	v_accvgpr_write_b32 a0, v31
	v_ashrrev_i32_e32 v1, 31, v0
	v_add_co_u32_e64 v31, s[20:21], s20, v0
	v_and_b32_e32 v0, 0xffffffc0, v27
	v_accvgpr_write_b32 a12, v42
	v_accvgpr_write_b32 a11, v29
	s_ashr_i32 s10, s70, 31
	v_addc_co_u32_e64 v28, s[20:21], 0, v1, s[20:21]
	v_ashrrev_i32_e32 v1, 31, v0
	v_accvgpr_write_b32 a13, v43
	v_accvgpr_write_b32 a14, v44
	;; [unrolled: 1-line block ×3, first 2 shown]
	s_lshr_b32 s10, s10, 24
	v_accvgpr_write_b32 a36, v0
	v_accvgpr_write_b32 a35, v1
	v_accvgpr_read_b32 v0, a26
	v_pk_mov_b32 v[44:45], 0, 0
	s_add_i32 s10, s70, s10
	v_cmp_eq_u32_e32 vcc, 64, v27
	v_accvgpr_read_b32 v1, a27
	s_mov_b32 s46, -1
	v_accvgpr_write_b32 a22, v44
	v_accvgpr_write_b32 a4, v40
	;; [unrolled: 1-line block ×4, first 2 shown]
	s_ashr_i32 s71, s10, 8
	v_cmp_ge_i32_e64 s[10:11], v46, v27
	v_accvgpr_write_b32 a3, v3
	v_cmp_ne_u32_e64 s[12:13], 64, v27
	v_accvgpr_write_b32 a1, v8
	v_cmp_ne_u32_sdwa s[36:37], v8, v27 src0_sel:WORD_0 src1_sel:DWORD
	v_mov_b32_e32 v57, 0
	s_movk_i32 s72, 0xffc0
	v_accvgpr_write_b32 a28, v4
	v_mov_b32_e32 v39, v27
	s_mov_b64 s[38:39], 0
	v_cmp_eq_u64_e64 s[20:21], 0, v[0:1]
	s_movk_i32 s73, 0x270e
	s_movk_i32 s74, 0x108
	v_mov_b32_e32 v20, 1
	s_xor_b64 s[40:41], vcc, -1
	s_movk_i32 s75, 0x80
	s_movk_i32 s76, 0x7f
	s_mov_b64 s[42:43], 0x7f800000
	s_mov_b64 s[44:45], 0x43e00001
	s_movk_i32 s77, 0x7a
	s_mov_b32 s47, 0xffffff
	s_mov_b64 s[48:49], 0xffffff
	s_mov_b32 s78, 0xc0c0500
	v_bfrev_b32_e32 v29, 60
	v_accvgpr_write_b32 a23, v45
	v_accvgpr_write_b32 a2, v46
	;; [unrolled: 1-line block ×7, first 2 shown]
	s_trap 2
	s_branch .LBB6_49
.LBB6_47:                               ;   in Loop: Header=BB6_49 Depth=1
	s_or_b64 exec, exec, s[22:23]
.LBB6_48:                               ;   in Loop: Header=BB6_49 Depth=1
	s_or_b64 exec, exec, s[24:25]
	v_accvgpr_read_b32 v33, a25
	v_accvgpr_read_b32 v32, a24
	v_add_co_u32_e32 v44, vcc, v44, v32
	v_addc_co_u32_e32 v45, vcc, 0, v45, vcc
	v_cmp_ge_u64_e32 vcc, v[44:45], v[40:41]
	s_or_b64 s[38:39], vcc, s[38:39]
	s_andn2_b64 exec, exec, s[38:39]
	s_cbranch_execz .LBB6_1847
.LBB6_49:                               ; =>This Loop Header: Depth=1
                                        ;     Child Loop BB6_58 Depth 2
                                        ;     Child Loop BB6_84 Depth 2
	;; [unrolled: 1-line block ×10, first 2 shown]
	v_sub_co_u32_e32 v0, vcc, v40, v44
	v_subb_co_u32_e32 v1, vcc, v41, v45, vcc
	v_cmp_lt_u64_e32 vcc, v[32:33], v[0:1]
	v_cndmask_b32_e32 v42, v0, v32, vcc
	v_cndmask_b32_e64 v43, v1, 0, vcc
	v_add_u32_e32 v0, 15, v42
	v_accvgpr_write_b32 a24, v32
	v_and_b32_e32 v0, 0x7ffffff0, v0
	v_cmp_eq_u64_e32 vcc, 0, v[42:43]
	v_accvgpr_write_b32 a25, v33
	v_max_i32_e32 v6, s71, v0
	s_or_b64 s[50:51], s[10:11], vcc
	v_mov_b32_e32 v0, v57
	s_xor_b64 s[22:23], s[50:51], -1
	s_mov_b64 s[52:53], exec
	s_and_b64 s[22:23], s[52:53], s[22:23]
	v_mov_b32_e32 v33, 0xffffff82
	s_mov_b64 exec, s[22:23]
	s_cbranch_execz .LBB6_1797
; %bb.50:                               ;   in Loop: Header=BB6_49 Depth=1
	s_and_saveexec_b64 s[22:23], s[4:5]
	s_cbranch_execz .LBB6_52
; %bb.51:                               ;   in Loop: Header=BB6_49 Depth=1
	s_trap 2
	ds_read_b64 v[0:1], v0
	v_mov_b32_e32 v56, v57
	s_waitcnt lgkmcnt(0)
	v_add_co_u32_e32 v0, vcc, v0, v58
	v_addc_co_u32_e32 v1, vcc, v1, v59, vcc
	v_add_co_u32_e32 v0, vcc, v0, v44
	v_addc_co_u32_e32 v1, vcc, v1, v45, vcc
	ds_write_b64 v0, v[0:1]
	ds_write_b64 v0, v[56:57]
.LBB6_52:                               ;   in Loop: Header=BB6_49 Depth=1
	s_or_b64 exec, exec, s[22:23]
	v_and_b32_e32 v0, 12, v62
	v_cmp_ne_u32_e32 vcc, 0, v0
	s_mov_b64 s[24:25], -1
	s_and_saveexec_b64 s[22:23], vcc
	s_cbranch_execz .LBB6_64
; %bb.53:                               ;   in Loop: Header=BB6_49 Depth=1
	v_and_b32_e32 v10, 8, v62
	v_add_co_u32_e32 v0, vcc, v36, v10
	v_accvgpr_read_b32 v2, a12
	v_addc_co_u32_e32 v1, vcc, 0, v37, vcc
	v_accvgpr_read_b32 v4, a14
	v_accvgpr_read_b32 v5, a15
	v_add_co_u32_e32 v12, vcc, 1, v4
	v_addc_co_u32_e32 v13, vcc, 0, v5, vcc
	v_cmp_lt_u64_e32 vcc, v[0:1], v[12:13]
	v_mov_b32_e32 v0, 1
	v_accvgpr_read_b32 v3, a13
	s_and_saveexec_b64 s[24:25], vcc
	s_cbranch_execz .LBB6_63
; %bb.54:                               ;   in Loop: Header=BB6_49 Depth=1
	s_mov_b64 s[54:55], 0
	v_mov_b32_e32 v0, 0
                                        ; implicit-def: $sgpr56_sgpr57
	s_branch .LBB6_58
.LBB6_55:                               ;   in Loop: Header=BB6_58 Depth=2
	s_or_b64 exec, exec, s[64:65]
	v_mov_b32_e32 v1, 0
	s_orn2_b64 s[62:63], s[62:63], exec
.LBB6_56:                               ;   in Loop: Header=BB6_58 Depth=2
	s_or_b64 exec, exec, s[60:61]
	s_andn2_b64 vcc, s[56:57], exec
	s_and_b64 s[56:57], s[62:63], exec
	s_or_b64 s[56:57], vcc, s[56:57]
	v_mov_b32_e32 v0, v1
.LBB6_57:                               ;   in Loop: Header=BB6_58 Depth=2
	s_or_b64 exec, exec, s[58:59]
	s_waitcnt vmcnt(0) lgkmcnt(0)
	v_add_co_u32_e32 v2, vcc, v36, v10
	v_addc_co_u32_e32 v3, vcc, 0, v37, vcc
	v_cmp_ge_u64_e32 vcc, v[2:3], v[12:13]
	s_xor_b64 s[58:59], s[56:57], -1
	s_or_b64 vcc, s[58:59], vcc
	s_and_b64 vcc, exec, vcc
	s_or_b64 s[54:55], vcc, s[54:55]
	s_andn2_b64 exec, exec, s[54:55]
	s_cbranch_execz .LBB6_62
.LBB6_58:                               ;   Parent Loop BB6_49 Depth=1
                                        ; =>  This Inner Loop Header: Depth=2
	s_sleep 1
	flat_load_dwordx2 v[36:37], v[60:61] glc
	v_and_b32_e32 v1, 64, v62
	v_cmp_eq_u32_e32 vcc, 0, v1
	s_andn2_b64 s[56:57], s[56:57], exec
	s_and_saveexec_b64 s[58:59], vcc
	s_cbranch_execz .LBB6_57
; %bb.59:                               ;   in Loop: Header=BB6_58 Depth=2
	v_add_u32_e32 v1, 1, v0
	v_cmp_lt_i32_e32 vcc, s73, v0
	s_mov_b64 s[62:63], -1
	s_and_saveexec_b64 s[60:61], vcc
	s_cbranch_execz .LBB6_56
; %bb.60:                               ;   in Loop: Header=BB6_58 Depth=2
	s_trap 2
	ds_read_b64 v[0:1], v0
	s_waitcnt vmcnt(0) lgkmcnt(0)
	flat_load_dword v0, v[0:1] glc
	s_waitcnt vmcnt(0) lgkmcnt(0)
	buffer_invl2
	buffer_wbinvl1_vol
	v_cmp_ne_u32_e32 vcc, 0, v0
	s_and_saveexec_b64 s[64:65], vcc
	s_cbranch_execz .LBB6_55
; %bb.61:                               ;   in Loop: Header=BB6_58 Depth=2
	v_or_b32_e32 v62, 64, v62
	s_xor_b64 s[62:63], exec, -1
	ds_write_b32 v0, v0
	s_trap 2
	s_branch .LBB6_55
.LBB6_62:                               ;   in Loop: Header=BB6_49 Depth=1
	s_or_b64 exec, exec, s[54:55]
	v_and_b32_e32 v0, 12, v62
.LBB6_63:                               ;   in Loop: Header=BB6_49 Depth=1
	s_or_b64 exec, exec, s[24:25]
	v_cmp_eq_u32_e32 vcc, 0, v0
	s_orn2_b64 s[24:25], vcc, exec
	;;#ASMSTART
	s_wakeup
	;;#ASMEND
.LBB6_64:                               ;   in Loop: Header=BB6_49 Depth=1
	s_or_b64 exec, exec, s[22:23]
	s_xor_b64 s[22:23], s[24:25], -1
	v_min_u32_e32 v6, v6, v42
	s_and_saveexec_b64 s[24:25], s[22:23]
	s_cbranch_execz .LBB6_76
; %bb.65:                               ;   in Loop: Header=BB6_49 Depth=1
	v_and_b32_e32 v0, 0x108, v62
	v_cmp_ne_u32_e32 vcc, s74, v0
	v_accvgpr_read_b32 v0, a12
	v_accvgpr_read_b32 v2, a14
	v_and_b32_e32 v10, 7, v2
	v_accvgpr_read_b32 v1, a13
	v_accvgpr_read_b32 v3, a15
	s_and_saveexec_b64 s[22:23], vcc
	s_xor_b64 s[22:23], exec, s[22:23]
	s_andn2_saveexec_b64 s[22:23], s[22:23]
	s_cbranch_execz .LBB6_67
; %bb.66:                               ;   in Loop: Header=BB6_49 Depth=1
	v_accvgpr_read_b32 v0, a12
	v_accvgpr_read_b32 v1, a13
	v_mad_u64_u32 v[0:1], vcc, v10, 24, v[0:1]
	v_mov_b32_e32 v7, v57
	v_accvgpr_read_b32 v2, a14
	v_accvgpr_read_b32 v3, a15
	flat_store_dwordx2 v[0:1], v[6:7] offset:8
.LBB6_67:                               ;   in Loop: Header=BB6_49 Depth=1
	s_or_b64 exec, exec, s[22:23]
	v_and_b32_e32 v0, 0x100, v62
	v_cmp_ne_u32_e32 vcc, 0, v0
	s_mov_b64 s[22:23], -1
                                        ; implicit-def: $vgpr12_vgpr13
	s_and_saveexec_b64 s[54:55], vcc
	s_cbranch_execz .LBB6_71
; %bb.68:                               ;   in Loop: Header=BB6_49 Depth=1
	v_accvgpr_read_b32 v0, a12
	v_accvgpr_read_b32 v1, a13
	v_mad_u64_u32 v[14:15], s[22:23], v10, 24, v[0:1]
	v_mov_b32_e32 v0, v15
	v_mad_u64_u32 v[0:1], s[22:23], v57, 24, v[0:1]
	v_mov_b32_e32 v15, v0
	flat_load_dword v0, v[14:15]
	v_accvgpr_read_b32 v2, a14
	v_accvgpr_read_b32 v3, a15
                                        ; implicit-def: $vgpr12_vgpr13
	s_waitcnt vmcnt(0) lgkmcnt(0)
	v_cmp_ne_u32_e32 vcc, 1, v0
	v_cmp_eq_u32_e64 s[22:23], 1, v0
	s_and_saveexec_b64 s[56:57], s[22:23]
	s_cbranch_execz .LBB6_70
; %bb.69:                               ;   in Loop: Header=BB6_49 Depth=1
	flat_load_dword v12, v[14:15] offset:4 glc
	s_waitcnt vmcnt(0) lgkmcnt(0)
	v_ashrrev_i32_e32 v13, 31, v12
.LBB6_70:                               ;   in Loop: Header=BB6_49 Depth=1
	s_or_b64 exec, exec, s[56:57]
	s_orn2_b64 s[22:23], vcc, exec
.LBB6_71:                               ;   in Loop: Header=BB6_49 Depth=1
	s_or_b64 exec, exec, s[54:55]
	s_and_saveexec_b64 vcc, s[22:23]
; %bb.72:                               ;   in Loop: Header=BB6_49 Depth=1
	v_accvgpr_read_b32 v2, a18
	v_accvgpr_read_b32 v1, a3
	v_mul_lo_u32 v0, v57, v2
	v_mul_lo_u32 v1, v10, v1
	v_mad_u64_u32 v[12:13], s[22:23], v10, v2, 0
	v_add3_u32 v13, v13, v1, v0
; %bb.73:                               ;   in Loop: Header=BB6_49 Depth=1
	s_or_b64 exec, exec, vcc
	v_accvgpr_read_b32 v0, a20
	v_accvgpr_read_b32 v1, a21
	v_add_co_u32_e32 v0, vcc, v0, v12
	v_addc_co_u32_e32 v1, vcc, v1, v13, vcc
	s_trap 2
	ds_write_b64 v0, v[0:1]
	v_and_b32_e32 v0, 0x2000, v62
	v_cmp_ne_u32_e32 vcc, 0, v0
	s_and_saveexec_b64 s[22:23], vcc
	s_cbranch_execz .LBB6_75
; %bb.74:                               ;   in Loop: Header=BB6_49 Depth=1
	ds_read_b64 v[0:1], v0 offset:584
	s_waitcnt lgkmcnt(0)
	v_add_co_u32_e32 v0, vcc, 1, v0
	v_addc_co_u32_e32 v1, vcc, 0, v1, vcc
	ds_write_b64 v0, v[0:1] offset:584
.LBB6_75:                               ;   in Loop: Header=BB6_49 Depth=1
	s_or_b64 exec, exec, s[22:23]
	v_accvgpr_read_b32 v0, a12
	v_accvgpr_read_b32 v2, a14
	;; [unrolled: 1-line block ×3, first 2 shown]
	v_add_co_u32_e32 v2, vcc, 1, v2
	v_addc_co_u32_e32 v3, vcc, 0, v3, vcc
	v_accvgpr_read_b32 v1, a13
	v_accvgpr_write_b32 a15, v3
	v_accvgpr_write_b32 a14, v2
	;; [unrolled: 1-line block ×4, first 2 shown]
.LBB6_76:                               ;   in Loop: Header=BB6_49 Depth=1
	s_or_b64 exec, exec, s[24:25]
	s_and_saveexec_b64 s[22:23], s[12:13]
	s_cbranch_execz .LBB6_95
; %bb.77:                               ;   in Loop: Header=BB6_49 Depth=1
	s_and_saveexec_b64 s[24:25], s[36:37]
	s_xor_b64 s[24:25], exec, s[24:25]
	s_cbranch_execz .LBB6_92
; %bb.78:                               ;   in Loop: Header=BB6_49 Depth=1
	s_and_saveexec_b64 s[54:55], s[14:15]
	s_cbranch_execz .LBB6_91
; %bb.79:                               ;   in Loop: Header=BB6_49 Depth=1
	s_mov_b64 s[58:59], exec
	v_mbcnt_lo_u32_b32 v0, s58, 0
	v_mbcnt_hi_u32_b32 v0, s59, v0
	v_cmp_eq_u32_e32 vcc, 0, v0
	s_waitcnt vmcnt(0) lgkmcnt(0)
	buffer_wbinvl1_vol
	s_and_saveexec_b64 s[56:57], vcc
	s_cbranch_execz .LBB6_81
; %bb.80:                               ;   in Loop: Header=BB6_49 Depth=1
	s_bcnt1_i32_b64 vcc_lo, s[58:59]
	v_mov_b32_e32 v56, vcc_lo
	ds_add_u64 v0, v[56:57]
	s_trap 2
.LBB6_81:                               ;   in Loop: Header=BB6_49 Depth=1
	s_or_b64 exec, exec, s[56:57]
	s_trap 2
	ds_read_b64 v[0:1], v0
	v_accvgpr_read_b32 v2, a22
	v_accvgpr_read_b32 v4, a28
	;; [unrolled: 1-line block ×3, first 2 shown]
	v_add_co_u32_e32 v2, vcc, v2, v4
	v_addc_co_u32_e32 v3, vcc, 0, v3, vcc
	v_accvgpr_write_b32 a23, v3
	v_accvgpr_write_b32 a22, v2
	s_waitcnt lgkmcnt(0)
	v_cmp_lt_u64_e32 vcc, v[0:1], v[2:3]
	s_and_saveexec_b64 s[56:57], vcc
	s_cbranch_execz .LBB6_90
; %bb.82:                               ;   in Loop: Header=BB6_49 Depth=1
	s_mov_b32 s68, 0
	s_mov_b64 s[58:59], 0
                                        ; implicit-def: $sgpr60_sgpr61
                                        ; implicit-def: $sgpr62_sgpr63
	s_branch .LBB6_84
.LBB6_83:                               ;   in Loop: Header=BB6_84 Depth=2
	s_or_b64 exec, exec, s[66:67]
	s_and_b64 vcc, exec, vcc
	s_or_b64 s[58:59], vcc, s[58:59]
	s_andn2_b64 vcc, s[60:61], exec
	s_and_b64 s[60:61], s[62:63], exec
	s_or_b64 s[60:61], vcc, s[60:61]
	s_andn2_b64 exec, exec, s[58:59]
	s_cbranch_execz .LBB6_88
.LBB6_84:                               ;   Parent Loop BB6_49 Depth=1
                                        ; =>  This Inner Loop Header: Depth=2
	s_add_i32 s68, s68, 1
	s_cmpk_lg_i32 s68, 0x2710
	s_cselect_b64 s[64:65], -1, 0
	s_and_b64 vcc, exec, s[64:65]
                                        ; implicit-def: $sgpr66_sgpr67
	s_cbranch_vccnz .LBB6_86
; %bb.85:                               ;   in Loop: Header=BB6_84 Depth=2
	s_trap 2
	ds_read_b64 v[0:1], v0
	s_andn2_b64 s[64:65], s[64:65], exec
	s_mov_b32 s68, 0
	s_mov_b64 s[66:67], -1
	s_waitcnt lgkmcnt(0)
	flat_load_dword v0, v[0:1] glc
	s_waitcnt vmcnt(0) lgkmcnt(0)
	buffer_invl2
	buffer_wbinvl1_vol
	v_cmp_eq_u32_e32 vcc, 0, v0
	s_and_b64 vcc, vcc, exec
	s_or_b64 s[64:65], s[64:65], vcc
.LBB6_86:                               ;   in Loop: Header=BB6_84 Depth=2
	s_andn2_b64 s[62:63], s[62:63], exec
	s_and_b64 s[66:67], s[66:67], exec
	s_mov_b64 vcc, -1
	s_or_b64 s[62:63], s[62:63], s[66:67]
	s_and_saveexec_b64 s[66:67], s[64:65]
	s_cbranch_execz .LBB6_83
; %bb.87:                               ;   in Loop: Header=BB6_84 Depth=2
	s_sleep 1
	s_trap 2
	ds_read_b64 v[0:1], v0
	v_accvgpr_read_b32 v2, a22
	v_accvgpr_read_b32 v3, a23
	s_andn2_b64 s[62:63], s[62:63], exec
	s_waitcnt lgkmcnt(0)
	v_cmp_ge_u64_e32 vcc, v[0:1], v[2:3]
	s_orn2_b64 vcc, vcc, exec
	s_branch .LBB6_83
.LBB6_88:                               ;   in Loop: Header=BB6_49 Depth=1
	s_or_b64 exec, exec, s[58:59]
	s_and_saveexec_b64 vcc, s[60:61]
	s_xor_b64 vcc, exec, vcc
	s_cbranch_execz .LBB6_90
; %bb.89:                               ;   in Loop: Header=BB6_49 Depth=1
	ds_write_b32 v0, v20
	s_trap 2
.LBB6_90:                               ;   in Loop: Header=BB6_49 Depth=1
	s_or_b64 exec, exec, s[56:57]
	;;#ASMSTART
	s_wakeup
	;;#ASMEND
.LBB6_91:                               ;   in Loop: Header=BB6_49 Depth=1
	s_or_b64 exec, exec, s[54:55]
.LBB6_92:                               ;   in Loop: Header=BB6_49 Depth=1
	s_andn2_saveexec_b64 s[24:25], s[24:25]
	s_cbranch_execz .LBB6_94
; %bb.93:                               ;   in Loop: Header=BB6_49 Depth=1
	s_waitcnt vmcnt(0) lgkmcnt(0)
	buffer_wbinvl1_vol
	s_barrier
.LBB6_94:                               ;   in Loop: Header=BB6_49 Depth=1
	s_or_b64 exec, exec, s[24:25]
.LBB6_95:                               ;   in Loop: Header=BB6_49 Depth=1
	s_or_b64 exec, exec, s[22:23]
	s_trap 2
	ds_read_b32 v1, v0
	v_and_b32_e32 v0, 0x4000, v62
	v_cmp_ne_u32_e32 vcc, 0, v0
	s_and_b64 s[24:25], s[40:41], vcc
	s_and_saveexec_b64 s[22:23], s[24:25]
	s_cbranch_execz .LBB6_114
; %bb.96:                               ;   in Loop: Header=BB6_49 Depth=1
	s_and_saveexec_b64 s[24:25], s[36:37]
	s_xor_b64 s[24:25], exec, s[24:25]
	s_cbranch_execz .LBB6_111
; %bb.97:                               ;   in Loop: Header=BB6_49 Depth=1
	s_and_saveexec_b64 s[54:55], s[14:15]
	s_cbranch_execz .LBB6_110
; %bb.98:                               ;   in Loop: Header=BB6_49 Depth=1
	s_mov_b64 s[58:59], exec
	v_mbcnt_lo_u32_b32 v0, s58, 0
	v_mbcnt_hi_u32_b32 v0, s59, v0
	v_cmp_eq_u32_e32 vcc, 0, v0
	s_waitcnt vmcnt(0) lgkmcnt(0)
	buffer_wbinvl1_vol
	s_and_saveexec_b64 s[56:57], vcc
	s_cbranch_execz .LBB6_100
; %bb.99:                               ;   in Loop: Header=BB6_49 Depth=1
	s_bcnt1_i32_b64 vcc_lo, s[58:59]
	v_mov_b32_e32 v56, vcc_lo
	ds_add_u64 v0, v[56:57]
	s_trap 2
.LBB6_100:                              ;   in Loop: Header=BB6_49 Depth=1
	s_or_b64 exec, exec, s[56:57]
	s_trap 2
	ds_read_b64 v[2:3], v0
	v_accvgpr_read_b32 v4, a22
	v_accvgpr_read_b32 v0, a28
	;; [unrolled: 1-line block ×3, first 2 shown]
	v_add_co_u32_e32 v4, vcc, v4, v0
	v_addc_co_u32_e32 v5, vcc, 0, v5, vcc
	v_accvgpr_write_b32 a23, v5
	v_accvgpr_write_b32 a22, v4
	s_waitcnt lgkmcnt(0)
	v_cmp_lt_u64_e32 vcc, v[2:3], v[4:5]
	s_and_saveexec_b64 s[56:57], vcc
	s_cbranch_execz .LBB6_109
; %bb.101:                              ;   in Loop: Header=BB6_49 Depth=1
	s_mov_b32 s68, 0
	s_mov_b64 s[58:59], 0
                                        ; implicit-def: $sgpr60_sgpr61
                                        ; implicit-def: $sgpr62_sgpr63
	s_branch .LBB6_103
.LBB6_102:                              ;   in Loop: Header=BB6_103 Depth=2
	s_or_b64 exec, exec, s[66:67]
	s_and_b64 vcc, exec, vcc
	s_or_b64 s[58:59], vcc, s[58:59]
	s_andn2_b64 vcc, s[60:61], exec
	s_and_b64 s[60:61], s[62:63], exec
	s_or_b64 s[60:61], vcc, s[60:61]
	s_andn2_b64 exec, exec, s[58:59]
	s_cbranch_execz .LBB6_107
.LBB6_103:                              ;   Parent Loop BB6_49 Depth=1
                                        ; =>  This Inner Loop Header: Depth=2
	s_add_i32 s68, s68, 1
	s_cmpk_lg_i32 s68, 0x2710
	s_cselect_b64 s[64:65], -1, 0
	s_and_b64 vcc, exec, s[64:65]
                                        ; implicit-def: $sgpr66_sgpr67
	s_cbranch_vccnz .LBB6_105
; %bb.104:                              ;   in Loop: Header=BB6_103 Depth=2
	s_trap 2
	ds_read_b64 v[2:3], v0
	s_andn2_b64 s[64:65], s[64:65], exec
	s_mov_b32 s68, 0
	s_mov_b64 s[66:67], -1
	s_waitcnt lgkmcnt(0)
	flat_load_dword v0, v[2:3] glc
	s_waitcnt vmcnt(0) lgkmcnt(0)
	buffer_invl2
	buffer_wbinvl1_vol
	v_cmp_eq_u32_e32 vcc, 0, v0
	s_and_b64 vcc, vcc, exec
	s_or_b64 s[64:65], s[64:65], vcc
.LBB6_105:                              ;   in Loop: Header=BB6_103 Depth=2
	s_andn2_b64 s[62:63], s[62:63], exec
	s_and_b64 s[66:67], s[66:67], exec
	s_mov_b64 vcc, -1
	s_or_b64 s[62:63], s[62:63], s[66:67]
	s_and_saveexec_b64 s[66:67], s[64:65]
	s_cbranch_execz .LBB6_102
; %bb.106:                              ;   in Loop: Header=BB6_103 Depth=2
	s_sleep 1
	s_trap 2
	ds_read_b64 v[2:3], v0
	v_accvgpr_read_b32 v4, a22
	v_accvgpr_read_b32 v5, a23
	s_andn2_b64 s[62:63], s[62:63], exec
	s_waitcnt lgkmcnt(0)
	v_cmp_ge_u64_e32 vcc, v[2:3], v[4:5]
	s_orn2_b64 vcc, vcc, exec
	s_branch .LBB6_102
.LBB6_107:                              ;   in Loop: Header=BB6_49 Depth=1
	s_or_b64 exec, exec, s[58:59]
	s_and_saveexec_b64 vcc, s[60:61]
	s_xor_b64 vcc, exec, vcc
	s_cbranch_execz .LBB6_109
; %bb.108:                              ;   in Loop: Header=BB6_49 Depth=1
	ds_write_b32 v0, v20
	s_trap 2
.LBB6_109:                              ;   in Loop: Header=BB6_49 Depth=1
	s_or_b64 exec, exec, s[56:57]
	;;#ASMSTART
	s_wakeup
	;;#ASMEND
.LBB6_110:                              ;   in Loop: Header=BB6_49 Depth=1
	s_or_b64 exec, exec, s[54:55]
.LBB6_111:                              ;   in Loop: Header=BB6_49 Depth=1
	s_andn2_saveexec_b64 s[24:25], s[24:25]
	s_cbranch_execz .LBB6_113
; %bb.112:                              ;   in Loop: Header=BB6_49 Depth=1
	s_waitcnt vmcnt(0) lgkmcnt(0)
	buffer_wbinvl1_vol
	s_barrier
.LBB6_113:                              ;   in Loop: Header=BB6_49 Depth=1
	s_or_b64 exec, exec, s[24:25]
.LBB6_114:                              ;   in Loop: Header=BB6_49 Depth=1
	s_or_b64 exec, exec, s[22:23]
	s_trap 2
	ds_read_b64 v[2:3], v0
	s_waitcnt lgkmcnt(0)
	v_readfirstlane_b32 s22, v2
	v_readfirstlane_b32 s23, v3
	s_cmp_eq_u64 s[22:23], 0
	s_cselect_b64 s[22:23], -1, 0
	s_or_b64 s[24:25], s[22:23], s[22:23]
	s_mov_b64 s[22:23], 0
	s_and_b64 vcc, exec, s[24:25]
	s_cbranch_vccnz .LBB6_1771
; %bb.115:                              ;   in Loop: Header=BB6_49 Depth=1
	s_mov_b64 s[24:25], -1
	s_and_saveexec_b64 s[22:23], s[16:17]
	s_cbranch_execz .LBB6_117
; %bb.116:                              ;   in Loop: Header=BB6_49 Depth=1
	ds_read_b32 v0, v0 offset:720
	s_waitcnt lgkmcnt(0)
	v_and_b32_e32 v0, 15, v0
	v_cmp_eq_u32_e32 vcc, 0, v0
	s_orn2_b64 s[24:25], vcc, exec
.LBB6_117:                              ;   in Loop: Header=BB6_49 Depth=1
	s_or_b64 exec, exec, s[22:23]
	s_and_saveexec_b64 s[22:23], s[18:19]
	s_cbranch_execz .LBB6_119
; %bb.118:                              ;   in Loop: Header=BB6_49 Depth=1
	ds_read_b32 v0, v0 offset:784
	s_waitcnt lgkmcnt(0)
	v_and_b32_e32 v0, 15, v0
	v_cmp_eq_u32_e32 vcc, 0, v0
	s_and_b64 vcc, s[24:25], vcc
	s_andn2_b64 s[24:25], s[24:25], exec
	s_and_b64 vcc, vcc, exec
	s_or_b64 s[24:25], s[24:25], vcc
.LBB6_119:                              ;   in Loop: Header=BB6_49 Depth=1
	s_or_b64 exec, exec, s[22:23]
	s_xor_b64 s[24:25], s[24:25], -1
	v_cmp_eq_u32_e32 vcc, 0, v1
	v_cndmask_b32_e64 v1, 0, 1, s[24:25]
	v_cndmask_b32_e32 v21, 0, v6, vcc
	;;#ASMSTART
	;;#ASMEND
	v_mov_b32_e32 v0, 0
	s_mov_b64 s[22:23], -1
	v_cmp_ne_u32_e32 vcc, 0, v1
	v_mov_b32_e32 v1, v21
	v_mov_b32_e32 v3, v46
	;; [unrolled: 1-line block ×3, first 2 shown]
	v_accvgpr_write_b32 a40, v6
	s_cbranch_vccz .LBB6_121
; %bb.120:                              ;   in Loop: Header=BB6_49 Depth=1
	s_and_saveexec_b64 s[24:25], s[22:23]
	s_cbranch_execnz .LBB6_1286
	s_branch .LBB6_1770
.LBB6_121:                              ;   in Loop: Header=BB6_49 Depth=1
	v_lshrrev_b32_e32 v0, 11, v21
	v_sub_u32_e32 v47, v0, v19
	v_accvgpr_write_b32 a37, v21
	v_cmp_lt_i32_e32 vcc, 0, v47
	s_and_saveexec_b64 s[24:25], vcc
	s_cbranch_execz .LBB6_893
; %bb.122:                              ;   in Loop: Header=BB6_49 Depth=1
	s_trap 2
	ds_read_b128 v[0:3], v0
	v_accvgpr_read_b32 v6, a30
	v_accvgpr_read_b32 v7, a31
	v_accvgpr_write_b32 a38, v42
	s_mov_b64 s[54:55], 0
	s_waitcnt lgkmcnt(0)
	ds_read_b64 v[4:5], v0
	v_add_co_u32_e32 v58, vcc, v0, v6
	v_addc_co_u32_e32 v59, vcc, v1, v7, vcc
	v_add_co_u32_e32 v60, vcc, v2, v6
	v_addc_co_u32_e32 v61, vcc, v3, v7, vcc
	s_waitcnt lgkmcnt(0)
	v_add_co_u32_e32 v40, vcc, v4, v6
	v_addc_co_u32_e32 v41, vcc, v5, v7, vcc
	s_branch .LBB6_124
.LBB6_123:                              ;   in Loop: Header=BB6_124 Depth=2
	s_or_b64 exec, exec, s[22:23]
	v_lshlrev_b32_e32 v6, 8, v43
	v_perm_b32 v1, v6, v1, s78
	v_lshl_or_b32 v1, v34, 16, v1
	v_lshl_or_b32 v7, v23, 24, v1
	v_and_b32_e32 v1, 0xff, v27
	v_lshlrev_b32_e32 v6, 8, v26
	v_lshlrev_b32_e32 v0, 24, v0
	;; [unrolled: 1-line block ×3, first 2 shown]
	v_perm_b32 v3, v6, v3, s78
	v_or3_b32 v6, v0, v1, v3
	v_and_b32_e32 v0, 0xff, v55
	v_lshlrev_b32_e32 v3, 8, v54
	v_lshlrev_b32_e32 v1, 24, v42
	;; [unrolled: 1-line block ×3, first 2 shown]
	v_perm_b32 v3, v3, v35, s78
	v_or3_b32 v8, v1, v0, v3
	v_lshlrev_b32_e32 v0, 8, v22
	v_perm_b32 v0, v0, v52, s78
	v_lshl_or_b32 v0, v46, 16, v0
	v_lshl_or_b32 v9, v21, 24, v0
	v_lshlrev_b32_e32 v0, 8, v20
	v_perm_b32 v0, v0, v30, s78
	v_lshl_or_b32 v0, v18, 16, v0
	v_lshl_or_b32 v1, v15, 24, v0
	v_and_b32_e32 v0, 0xff, v2
	v_lshlrev_b32_e32 v3, 8, v25
	v_lshlrev_b32_e32 v2, 24, v53
	;; [unrolled: 1-line block ×3, first 2 shown]
	v_perm_b32 v3, v3, v24, s78
	v_or3_b32 v0, v2, v0, v3
	v_and_b32_e32 v2, 0xff, v51
	v_lshlrev_b32_e32 v3, 24, v4
	v_lshlrev_b32_e32 v4, 8, v50
	v_lshlrev_b32_e32 v2, 16, v2
	v_perm_b32 v4, v4, v19, s78
	v_or3_b32 v2, v3, v2, v4
	v_lshlrev_b32_e32 v3, 8, v14
	v_perm_b32 v3, v3, v5, s78
	v_lshl_or_b32 v3, v48, 16, v3
	v_lshl_or_b32 v3, v10, 24, v3
	global_store_dwordx4 v[40:41], v[6:9], off glc slc
	global_store_dwordx4 v[40:41], v[0:3], off offset:1024 glc slc
	s_nop 0
	v_accvgpr_read_b32 v1, a32
	v_add_co_u32_e32 v58, vcc, v58, v1
	v_accvgpr_read_b32 v2, a33
	v_addc_co_u32_e32 v59, vcc, v59, v2, vcc
	v_add_co_u32_e32 v60, vcc, v60, v1
	v_accvgpr_read_b32 v0, a28
	v_addc_co_u32_e32 v61, vcc, v61, v2, vcc
	v_sub_u32_e32 v47, v47, v0
	v_cmp_gt_i32_e32 vcc, 1, v47
	s_or_b64 s[54:55], vcc, s[54:55]
	v_add_co_u32_e32 v40, vcc, v40, v1
	v_addc_co_u32_e32 v41, vcc, v41, v2, vcc
	s_andn2_b64 exec, exec, s[54:55]
	s_cbranch_execz .LBB6_892
.LBB6_124:                              ;   Parent Loop BB6_49 Depth=1
                                        ; =>  This Inner Loop Header: Depth=2
	global_load_dwordx4 v[22:25], v[58:59], off glc slc
	global_load_dwordx4 v[14:17], v[58:59], off offset:1024 glc slc
	global_load_dwordx4 v[18:21], v[60:61], off glc slc
	global_load_dwordx4 v[10:13], v[60:61], off offset:1024 glc slc
	v_mov_b32_e32 v0, 0
	v_mov_b32_e32 v1, 0
	s_waitcnt vmcnt(0)
	v_cmp_ne_u16_sdwa vcc, v22, v57 src0_sel:BYTE_0 src1_sel:DWORD
	s_and_saveexec_b64 s[22:23], vcc
	s_cbranch_execz .LBB6_130
; %bb.125:                              ;   in Loop: Header=BB6_124 Depth=2
	v_cmp_ne_u16_sdwa vcc, v22, s75 src0_sel:BYTE_0 src1_sel:DWORD
	v_bfrev_b32_e32 v1, 1
	s_and_saveexec_b64 s[56:57], vcc
	s_cbranch_execz .LBB6_129
; %bb.126:                              ;   in Loop: Header=BB6_124 Depth=2
	v_and_b32_e32 v2, 0x7f, v22
	v_cmp_ne_u32_e32 vcc, s76, v2
	v_mov_b32_e32 v1, 0x7f800001
	s_and_saveexec_b64 s[58:59], vcc
	s_cbranch_execz .LBB6_128
; %bb.127:                              ;   in Loop: Header=BB6_124 Depth=2
	v_and_b32_e32 v1, 7, v22
	v_ffbh_u32_e32 v1, v1
	v_min_u32_e32 v1, 32, v1
	v_subrev_u32_e32 v4, 28, v1
	v_cmp_gt_u32_e32 vcc, 8, v2
	v_lshrrev_b32_e32 v3, 3, v2
	v_sub_u32_e32 v1, 29, v1
	v_cndmask_b32_e32 v2, 0, v4, vcc
	v_cndmask_b32_e32 v1, v3, v1, vcc
	v_lshlrev_b64 v[2:3], v2, v[22:23]
	v_lshlrev_b32_e32 v2, 20, v2
	v_lshlrev_b32_e32 v3, 24, v22
	v_and_b32_e32 v2, 0x700000, v2
	v_and_b32_e32 v3, 0x80000000, v3
	v_lshl_add_u32 v1, v1, 23, v29
	v_or3_b32 v1, v3, v1, v2
.LBB6_128:                              ;   in Loop: Header=BB6_124 Depth=2
	s_or_b64 exec, exec, s[58:59]
.LBB6_129:                              ;   in Loop: Header=BB6_124 Depth=2
	s_or_b64 exec, exec, s[56:57]
.LBB6_130:                              ;   in Loop: Header=BB6_124 Depth=2
	s_or_b64 exec, exec, s[22:23]
	v_cmp_ne_u16_sdwa vcc, v18, v57 src0_sel:BYTE_0 src1_sel:DWORD
	s_and_saveexec_b64 s[22:23], vcc
	s_cbranch_execz .LBB6_136
; %bb.131:                              ;   in Loop: Header=BB6_124 Depth=2
	v_cmp_ne_u16_sdwa vcc, v18, s75 src0_sel:BYTE_0 src1_sel:DWORD
	v_bfrev_b32_e32 v0, 1
	s_and_saveexec_b64 s[56:57], vcc
	s_cbranch_execz .LBB6_135
; %bb.132:                              ;   in Loop: Header=BB6_124 Depth=2
	v_and_b32_e32 v2, 0x7f, v18
	v_cmp_ne_u32_e32 vcc, s76, v2
	v_mov_b32_e32 v0, 0x7f800001
	s_and_saveexec_b64 s[58:59], vcc
	s_cbranch_execz .LBB6_134
; %bb.133:                              ;   in Loop: Header=BB6_124 Depth=2
	v_and_b32_e32 v0, 7, v18
	v_ffbh_u32_e32 v0, v0
	v_min_u32_e32 v0, 32, v0
	v_subrev_u32_e32 v4, 28, v0
	v_cmp_gt_u32_e32 vcc, 8, v2
	v_lshrrev_b32_e32 v3, 3, v2
	v_sub_u32_e32 v0, 29, v0
	v_cndmask_b32_e32 v2, 0, v4, vcc
	v_cndmask_b32_e32 v0, v3, v0, vcc
	v_lshlrev_b64 v[2:3], v2, v[18:19]
	v_lshlrev_b32_e32 v2, 20, v2
	v_lshlrev_b32_e32 v3, 24, v18
	v_and_b32_e32 v2, 0x700000, v2
	v_and_b32_e32 v3, 0x80000000, v3
	v_lshl_add_u32 v0, v0, 23, v29
	v_or3_b32 v0, v3, v0, v2
.LBB6_134:                              ;   in Loop: Header=BB6_124 Depth=2
	s_or_b64 exec, exec, s[58:59]
.LBB6_135:                              ;   in Loop: Header=BB6_124 Depth=2
	s_or_b64 exec, exec, s[56:57]
.LBB6_136:                              ;   in Loop: Header=BB6_124 Depth=2
	s_or_b64 exec, exec, s[22:23]
	v_add_f32_e32 v1, v1, v0
	v_and_b32_sdwa v0, v1, s75 dst_sel:DWORD dst_unused:UNUSED_PAD src0_sel:BYTE_3 src1_sel:DWORD
	v_and_b32_e32 v4, 0x7f800000, v1
	v_mov_b32_e32 v5, v57
	v_and_b32_e32 v56, 0x7fffff, v1
	v_or_b32_e32 v3, 0x7e, v0
	v_cmp_ne_u64_e32 vcc, s[42:43], v[4:5]
	s_and_saveexec_b64 s[22:23], vcc
	s_xor_b64 s[56:57], exec, s[22:23]
	s_cbranch_execz .LBB6_146
; %bb.137:                              ;   in Loop: Header=BB6_124 Depth=2
	v_and_b32_e32 v4, 0x7fffffff, v1
	v_mov_b32_e32 v5, v57
	v_cmp_gt_u64_e32 vcc, s[44:45], v[4:5]
	s_and_saveexec_b64 s[58:59], vcc
	s_cbranch_execz .LBB6_145
; %bb.138:                              ;   in Loop: Header=BB6_124 Depth=2
	v_cmp_ne_u32_e32 vcc, 0, v1
	v_mov_b32_e32 v3, 0
	s_and_saveexec_b64 s[60:61], vcc
	s_cbranch_execz .LBB6_144
; %bb.139:                              ;   in Loop: Header=BB6_124 Depth=2
	v_bfe_u32 v1, v1, 23, 8
	v_sub_u32_e32 v3, 0x79, v1
	v_cmp_gt_u32_e32 vcc, s77, v1
	v_add_u32_e32 v2, 0xffffff81, v1
	v_cndmask_b32_e32 v3, 0, v3, vcc
	v_cmp_eq_u32_e32 vcc, 0, v1
	v_cndmask_b32_e32 v1, v2, v33, vcc
	v_mov_b32_e32 v2, 0x78
	v_cndmask_b32_e32 v26, v3, v2, vcc
	v_add_u32_e32 v2, 20, v26
	v_or_b32_e32 v4, 0x800000, v56
	v_lshlrev_b64 v[2:3], v2, -1
	v_cndmask_b32_e32 v56, v4, v56, vcc
	v_not_b32_e32 v2, v2
	v_and_b32_e32 v4, v56, v2
	v_add_u32_e32 v2, 19, v26
	v_lshrrev_b64 v[8:9], v26, v[56:57]
	v_not_b32_e32 v3, v3
	v_lshlrev_b64 v[6:7], v2, 1
	v_lshrrev_b32_e32 v2, 23, v8
	v_and_b32_e32 v5, 0, v3
	v_add3_u32 v3, v26, v1, v2
	v_bfe_u32 v1, v8, 20, 1
	v_add_u32_e32 v1, -1, v1
	v_cmp_eq_u64_e32 vcc, v[4:5], v[6:7]
	v_cndmask_b32_e32 v1, 0, v1, vcc
	v_add_u32_e32 v1, v1, v8
	v_and_b32_e32 v1, 0xfffff, v1
	v_add_co_u32_e32 v54, vcc, v1, v8
	v_add_u32_e32 v2, 6, v3
	v_addc_co_u32_e32 v55, vcc, 0, v9, vcc
	v_cmp_ne_u32_e32 vcc, 0, v2
                                        ; implicit-def: $vgpr1
	s_and_saveexec_b64 s[22:23], vcc
	s_xor_b64 s[22:23], exec, s[22:23]
; %bb.140:                              ;   in Loop: Header=BB6_124 Depth=2
	v_add_u32_e32 v1, 7, v3
	v_cmp_lt_u64_e32 vcc, s[48:49], v[54:55]
	v_cndmask_b32_e32 v1, v2, v1, vcc
	v_cndmask_b32_e64 v2, 0, 1, vcc
	v_lshrrev_b64 v[54:55], v2, v[54:55]
; %bb.141:                              ;   in Loop: Header=BB6_124 Depth=2
	s_andn2_saveexec_b64 s[22:23], s[22:23]
; %bb.142:                              ;   in Loop: Header=BB6_124 Depth=2
	v_bfe_u32 v1, v54, 23, 1
; %bb.143:                              ;   in Loop: Header=BB6_124 Depth=2
	s_or_b64 exec, exec, s[22:23]
	v_lshrrev_b64 v[2:3], 20, v[54:55]
	v_cmp_gt_i32_e32 vcc, 16, v1
	v_cndmask_b32_e32 v3, 0, v3, vcc
	v_cndmask_b32_e32 v2, 7, v2, vcc
	v_cmp_eq_u32_e32 vcc, 0, v1
	v_min_i32_e32 v1, 15, v1
	v_cmp_eq_u64_e64 s[22:23], 0, v[2:3]
	v_lshlrev_b32_e32 v1, 3, v1
	v_and_or_b32 v1, v2, 7, v1
	s_and_b64 s[22:23], vcc, s[22:23]
	v_cndmask_b32_e64 v1, v1, 0, s[22:23]
	v_or_b32_e32 v3, v1, v0
.LBB6_144:                              ;   in Loop: Header=BB6_124 Depth=2
	s_or_b64 exec, exec, s[60:61]
.LBB6_145:                              ;   in Loop: Header=BB6_124 Depth=2
	s_or_b64 exec, exec, s[58:59]
                                        ; implicit-def: $vgpr1
.LBB6_146:                              ;   in Loop: Header=BB6_124 Depth=2
	s_andn2_saveexec_b64 s[22:23], s[56:57]
; %bb.147:                              ;   in Loop: Header=BB6_124 Depth=2
	v_or_b32_sdwa v0, v1, s76 dst_sel:DWORD dst_unused:UNUSED_PAD src0_sel:BYTE_3 src1_sel:DWORD
	v_cmp_eq_u64_e32 vcc, 0, v[56:57]
	v_cndmask_b32_e32 v3, v0, v3, vcc
; %bb.148:                              ;   in Loop: Header=BB6_124 Depth=2
	s_or_b64 exec, exec, s[22:23]
	v_lshrrev_b16_e32 v54, 8, v22
	v_cmp_ne_u16_e32 vcc, 0, v54
	v_mov_b32_e32 v0, 0
	v_mov_b32_e32 v1, 0
	s_and_saveexec_b64 s[22:23], vcc
	s_cbranch_execz .LBB6_154
; %bb.149:                              ;   in Loop: Header=BB6_124 Depth=2
	v_cmp_ne_u16_e32 vcc, s75, v54
	v_bfrev_b32_e32 v1, 1
	s_and_saveexec_b64 s[56:57], vcc
	s_cbranch_execz .LBB6_153
; %bb.150:                              ;   in Loop: Header=BB6_124 Depth=2
	v_and_b32_e32 v2, 0x7f, v54
	v_cmp_ne_u32_e32 vcc, s76, v2
	v_mov_b32_e32 v1, 0x7f800001
	s_and_saveexec_b64 s[58:59], vcc
	s_cbranch_execz .LBB6_152
; %bb.151:                              ;   in Loop: Header=BB6_124 Depth=2
	v_and_b32_e32 v1, 7, v54
	v_ffbh_u32_e32 v4, v1
	v_min_u32_e32 v7, 32, v4
	v_subrev_u32_e32 v4, 28, v7
	v_lshlrev_b64 v[4:5], v4, v[54:55]
	v_lshrrev_b32_e32 v6, 3, v2
	v_sub_u32_e32 v5, 29, v7
	v_and_b32_e32 v4, 7, v4
	v_cmp_gt_u32_e32 vcc, 8, v2
	v_cndmask_b32_e32 v2, v6, v5, vcc
	v_cndmask_b32_e32 v1, v1, v4, vcc
	v_lshlrev_b32_e32 v4, 16, v22
	v_lshlrev_b32_e32 v1, 20, v1
	v_and_b32_e32 v4, 0x80000000, v4
	v_lshl_add_u32 v2, v2, 23, v29
	v_or3_b32 v1, v4, v2, v1
.LBB6_152:                              ;   in Loop: Header=BB6_124 Depth=2
	s_or_b64 exec, exec, s[58:59]
.LBB6_153:                              ;   in Loop: Header=BB6_124 Depth=2
	s_or_b64 exec, exec, s[56:57]
.LBB6_154:                              ;   in Loop: Header=BB6_124 Depth=2
	s_or_b64 exec, exec, s[22:23]
	v_lshrrev_b16_e32 v54, 8, v18
	v_cmp_ne_u16_e32 vcc, 0, v54
	s_and_saveexec_b64 s[22:23], vcc
	s_cbranch_execz .LBB6_160
; %bb.155:                              ;   in Loop: Header=BB6_124 Depth=2
	v_cmp_ne_u16_e32 vcc, s75, v54
	v_bfrev_b32_e32 v0, 1
	s_and_saveexec_b64 s[56:57], vcc
	s_cbranch_execz .LBB6_159
; %bb.156:                              ;   in Loop: Header=BB6_124 Depth=2
	v_and_b32_e32 v2, 0x7f, v54
	v_cmp_ne_u32_e32 vcc, s76, v2
	v_mov_b32_e32 v0, 0x7f800001
	s_and_saveexec_b64 s[58:59], vcc
	s_cbranch_execz .LBB6_158
; %bb.157:                              ;   in Loop: Header=BB6_124 Depth=2
	v_and_b32_e32 v0, 7, v54
	v_ffbh_u32_e32 v4, v0
	v_min_u32_e32 v7, 32, v4
	v_subrev_u32_e32 v4, 28, v7
	v_lshlrev_b64 v[4:5], v4, v[54:55]
	v_lshrrev_b32_e32 v6, 3, v2
	v_sub_u32_e32 v5, 29, v7
	v_and_b32_e32 v4, 7, v4
	v_cmp_gt_u32_e32 vcc, 8, v2
	v_cndmask_b32_e32 v2, v6, v5, vcc
	v_cndmask_b32_e32 v0, v0, v4, vcc
	v_lshlrev_b32_e32 v4, 16, v18
	v_lshlrev_b32_e32 v0, 20, v0
	v_and_b32_e32 v4, 0x80000000, v4
	v_lshl_add_u32 v2, v2, 23, v29
	v_or3_b32 v0, v4, v2, v0
.LBB6_158:                              ;   in Loop: Header=BB6_124 Depth=2
	s_or_b64 exec, exec, s[58:59]
.LBB6_159:                              ;   in Loop: Header=BB6_124 Depth=2
	s_or_b64 exec, exec, s[56:57]
.LBB6_160:                              ;   in Loop: Header=BB6_124 Depth=2
	s_or_b64 exec, exec, s[22:23]
	v_add_f32_e32 v1, v1, v0
	v_and_b32_sdwa v0, v1, s75 dst_sel:DWORD dst_unused:UNUSED_PAD src0_sel:BYTE_3 src1_sel:DWORD
	v_and_b32_e32 v4, 0x7f800000, v1
	v_mov_b32_e32 v5, v57
	v_and_b32_e32 v56, 0x7fffff, v1
	v_or_b32_e32 v26, 0x7e, v0
	v_cmp_ne_u64_e32 vcc, s[42:43], v[4:5]
	s_and_saveexec_b64 s[22:23], vcc
	s_xor_b64 s[56:57], exec, s[22:23]
	s_cbranch_execz .LBB6_170
; %bb.161:                              ;   in Loop: Header=BB6_124 Depth=2
	v_and_b32_e32 v4, 0x7fffffff, v1
	v_mov_b32_e32 v5, v57
	v_cmp_gt_u64_e32 vcc, s[44:45], v[4:5]
	s_and_saveexec_b64 s[58:59], vcc
	s_cbranch_execz .LBB6_169
; %bb.162:                              ;   in Loop: Header=BB6_124 Depth=2
	v_cmp_ne_u32_e32 vcc, 0, v1
	v_mov_b32_e32 v26, 0
	s_and_saveexec_b64 s[60:61], vcc
	s_cbranch_execz .LBB6_168
; %bb.163:                              ;   in Loop: Header=BB6_124 Depth=2
	v_bfe_u32 v1, v1, 23, 8
	v_sub_u32_e32 v4, 0x79, v1
	v_cmp_gt_u32_e32 vcc, s77, v1
	v_add_u32_e32 v2, 0xffffff81, v1
	v_cndmask_b32_e32 v4, 0, v4, vcc
	v_cmp_eq_u32_e32 vcc, 0, v1
	v_cndmask_b32_e32 v1, v2, v33, vcc
	v_mov_b32_e32 v2, 0x78
	v_cndmask_b32_e32 v2, v4, v2, vcc
	v_or_b32_e32 v5, 0x800000, v56
	v_add_u32_e32 v4, 20, v2
	v_cndmask_b32_e32 v56, v5, v56, vcc
	v_lshlrev_b64 v[4:5], v4, -1
	v_not_b32_e32 v4, v4
	v_and_b32_e32 v6, v56, v4
	v_add_u32_e32 v4, 19, v2
	v_lshrrev_b64 v[26:27], v2, v[56:57]
	v_not_b32_e32 v5, v5
	v_lshlrev_b64 v[8:9], v4, 1
	v_lshrrev_b32_e32 v4, 23, v26
	v_and_b32_e32 v7, 0, v5
	v_add3_u32 v4, v2, v1, v4
	v_bfe_u32 v1, v26, 20, 1
	v_add_u32_e32 v1, -1, v1
	v_cmp_eq_u64_e32 vcc, v[6:7], v[8:9]
	v_cndmask_b32_e32 v1, 0, v1, vcc
	v_add_u32_e32 v1, v1, v26
	v_and_b32_e32 v1, 0xfffff, v1
	v_add_co_u32_e32 v54, vcc, v1, v26
	v_add_u32_e32 v2, 6, v4
	v_addc_co_u32_e32 v55, vcc, 0, v27, vcc
	v_cmp_ne_u32_e32 vcc, 0, v2
                                        ; implicit-def: $vgpr1
	s_and_saveexec_b64 s[22:23], vcc
	s_xor_b64 s[22:23], exec, s[22:23]
; %bb.164:                              ;   in Loop: Header=BB6_124 Depth=2
	v_add_u32_e32 v1, 7, v4
	v_cmp_lt_u64_e32 vcc, s[48:49], v[54:55]
	v_cndmask_b32_e32 v1, v2, v1, vcc
	v_cndmask_b32_e64 v2, 0, 1, vcc
	v_lshrrev_b64 v[54:55], v2, v[54:55]
; %bb.165:                              ;   in Loop: Header=BB6_124 Depth=2
	s_andn2_saveexec_b64 s[22:23], s[22:23]
; %bb.166:                              ;   in Loop: Header=BB6_124 Depth=2
	v_bfe_u32 v1, v54, 23, 1
; %bb.167:                              ;   in Loop: Header=BB6_124 Depth=2
	s_or_b64 exec, exec, s[22:23]
	v_lshrrev_b64 v[4:5], 20, v[54:55]
	v_cmp_gt_i32_e32 vcc, 16, v1
	v_cndmask_b32_e32 v5, 0, v5, vcc
	v_cndmask_b32_e32 v4, 7, v4, vcc
	v_cmp_eq_u32_e32 vcc, 0, v1
	v_min_i32_e32 v1, 15, v1
	v_cmp_eq_u64_e64 s[22:23], 0, v[4:5]
	v_lshlrev_b32_e32 v1, 3, v1
	v_and_or_b32 v1, v4, 7, v1
	s_and_b64 s[22:23], vcc, s[22:23]
	v_cndmask_b32_e64 v1, v1, 0, s[22:23]
	v_or_b32_e32 v26, v1, v0
.LBB6_168:                              ;   in Loop: Header=BB6_124 Depth=2
	s_or_b64 exec, exec, s[60:61]
.LBB6_169:                              ;   in Loop: Header=BB6_124 Depth=2
	s_or_b64 exec, exec, s[58:59]
                                        ; implicit-def: $vgpr1
.LBB6_170:                              ;   in Loop: Header=BB6_124 Depth=2
	s_andn2_saveexec_b64 s[22:23], s[56:57]
; %bb.171:                              ;   in Loop: Header=BB6_124 Depth=2
	v_or_b32_sdwa v0, v1, s76 dst_sel:DWORD dst_unused:UNUSED_PAD src0_sel:BYTE_3 src1_sel:DWORD
	v_cmp_eq_u64_e32 vcc, 0, v[56:57]
	v_cndmask_b32_e32 v26, v0, v26, vcc
; %bb.172:                              ;   in Loop: Header=BB6_124 Depth=2
	s_or_b64 exec, exec, s[22:23]
	v_lshrrev_b32_e32 v54, 16, v22
	v_cmp_ne_u16_sdwa vcc, v54, v57 src0_sel:BYTE_0 src1_sel:DWORD
	v_mov_b32_e32 v0, 0
	v_mov_b32_e32 v1, 0
	s_and_saveexec_b64 s[22:23], vcc
	s_cbranch_execz .LBB6_178
; %bb.173:                              ;   in Loop: Header=BB6_124 Depth=2
	v_cmp_ne_u16_sdwa vcc, v54, s75 src0_sel:BYTE_0 src1_sel:DWORD
	v_bfrev_b32_e32 v1, 1
	s_and_saveexec_b64 s[56:57], vcc
	s_cbranch_execz .LBB6_177
; %bb.174:                              ;   in Loop: Header=BB6_124 Depth=2
	v_bfe_u32 v2, v22, 16, 7
	v_cmp_ne_u32_e32 vcc, s76, v2
	v_mov_b32_e32 v1, 0x7f800001
	s_and_saveexec_b64 s[58:59], vcc
	s_cbranch_execz .LBB6_176
; %bb.175:                              ;   in Loop: Header=BB6_124 Depth=2
	v_and_b32_e32 v1, 7, v54
	v_ffbh_u32_e32 v4, v1
	v_min_u32_e32 v7, 32, v4
	v_subrev_u32_e32 v4, 28, v7
	v_lshlrev_b64 v[4:5], v4, v[54:55]
	v_lshrrev_b32_e32 v6, 3, v2
	v_sub_u32_e32 v5, 29, v7
	v_and_b32_e32 v4, 7, v4
	v_cmp_gt_u32_e32 vcc, 8, v2
	v_cndmask_b32_e32 v2, v6, v5, vcc
	v_cndmask_b32_e32 v1, v1, v4, vcc
	v_lshlrev_b32_e32 v4, 24, v54
	v_lshlrev_b32_e32 v1, 20, v1
	v_and_b32_e32 v4, 0x80000000, v4
	v_lshl_add_u32 v2, v2, 23, v29
	v_or3_b32 v1, v4, v2, v1
.LBB6_176:                              ;   in Loop: Header=BB6_124 Depth=2
	s_or_b64 exec, exec, s[58:59]
.LBB6_177:                              ;   in Loop: Header=BB6_124 Depth=2
	s_or_b64 exec, exec, s[56:57]
.LBB6_178:                              ;   in Loop: Header=BB6_124 Depth=2
	s_or_b64 exec, exec, s[22:23]
	v_lshrrev_b32_e32 v54, 16, v18
	v_cmp_ne_u16_sdwa vcc, v54, v57 src0_sel:BYTE_0 src1_sel:DWORD
	s_and_saveexec_b64 s[22:23], vcc
	s_cbranch_execz .LBB6_184
; %bb.179:                              ;   in Loop: Header=BB6_124 Depth=2
	v_cmp_ne_u16_sdwa vcc, v54, s75 src0_sel:BYTE_0 src1_sel:DWORD
	v_bfrev_b32_e32 v0, 1
	s_and_saveexec_b64 s[56:57], vcc
	s_cbranch_execz .LBB6_183
; %bb.180:                              ;   in Loop: Header=BB6_124 Depth=2
	v_bfe_u32 v2, v18, 16, 7
	v_cmp_ne_u32_e32 vcc, s76, v2
	v_mov_b32_e32 v0, 0x7f800001
	s_and_saveexec_b64 s[58:59], vcc
	s_cbranch_execz .LBB6_182
; %bb.181:                              ;   in Loop: Header=BB6_124 Depth=2
	v_and_b32_e32 v0, 7, v54
	v_ffbh_u32_e32 v4, v0
	v_min_u32_e32 v7, 32, v4
	v_subrev_u32_e32 v4, 28, v7
	v_lshlrev_b64 v[4:5], v4, v[54:55]
	v_lshrrev_b32_e32 v6, 3, v2
	v_sub_u32_e32 v5, 29, v7
	v_and_b32_e32 v4, 7, v4
	v_cmp_gt_u32_e32 vcc, 8, v2
	v_cndmask_b32_e32 v2, v6, v5, vcc
	v_cndmask_b32_e32 v0, v0, v4, vcc
	v_lshlrev_b32_e32 v4, 8, v18
	v_lshlrev_b32_e32 v0, 20, v0
	v_and_b32_e32 v4, 0x80000000, v4
	v_lshl_add_u32 v2, v2, 23, v29
	v_or3_b32 v0, v4, v2, v0
.LBB6_182:                              ;   in Loop: Header=BB6_124 Depth=2
	s_or_b64 exec, exec, s[58:59]
.LBB6_183:                              ;   in Loop: Header=BB6_124 Depth=2
	s_or_b64 exec, exec, s[56:57]
.LBB6_184:                              ;   in Loop: Header=BB6_124 Depth=2
	s_or_b64 exec, exec, s[22:23]
	v_add_f32_e32 v1, v1, v0
	v_and_b32_sdwa v0, v1, s75 dst_sel:DWORD dst_unused:UNUSED_PAD src0_sel:BYTE_3 src1_sel:DWORD
	v_and_b32_e32 v4, 0x7f800000, v1
	v_mov_b32_e32 v5, v57
	v_and_b32_e32 v56, 0x7fffff, v1
	v_or_b32_e32 v27, 0x7e, v0
	v_cmp_ne_u64_e32 vcc, s[42:43], v[4:5]
	s_and_saveexec_b64 s[22:23], vcc
	s_xor_b64 s[56:57], exec, s[22:23]
	s_cbranch_execz .LBB6_194
; %bb.185:                              ;   in Loop: Header=BB6_124 Depth=2
	v_and_b32_e32 v4, 0x7fffffff, v1
	v_mov_b32_e32 v5, v57
	v_cmp_gt_u64_e32 vcc, s[44:45], v[4:5]
	s_and_saveexec_b64 s[58:59], vcc
	s_cbranch_execz .LBB6_193
; %bb.186:                              ;   in Loop: Header=BB6_124 Depth=2
	v_cmp_ne_u32_e32 vcc, 0, v1
	v_mov_b32_e32 v27, 0
	s_and_saveexec_b64 s[60:61], vcc
	s_cbranch_execz .LBB6_192
; %bb.187:                              ;   in Loop: Header=BB6_124 Depth=2
	v_bfe_u32 v1, v1, 23, 8
	v_sub_u32_e32 v4, 0x79, v1
	v_cmp_gt_u32_e32 vcc, s77, v1
	v_add_u32_e32 v2, 0xffffff81, v1
	v_cndmask_b32_e32 v4, 0, v4, vcc
	v_cmp_eq_u32_e32 vcc, 0, v1
	v_cndmask_b32_e32 v1, v2, v33, vcc
	v_mov_b32_e32 v2, 0x78
	v_cndmask_b32_e32 v2, v4, v2, vcc
	v_or_b32_e32 v5, 0x800000, v56
	v_add_u32_e32 v4, 20, v2
	v_cndmask_b32_e32 v56, v5, v56, vcc
	v_lshlrev_b64 v[4:5], v4, -1
	v_not_b32_e32 v4, v4
	v_and_b32_e32 v6, v56, v4
	v_add_u32_e32 v4, 19, v2
	v_lshrrev_b64 v[34:35], v2, v[56:57]
	v_not_b32_e32 v5, v5
	v_lshlrev_b64 v[8:9], v4, 1
	v_lshrrev_b32_e32 v4, 23, v34
	v_and_b32_e32 v7, 0, v5
	v_add3_u32 v4, v2, v1, v4
	v_bfe_u32 v1, v34, 20, 1
	v_add_u32_e32 v1, -1, v1
	v_cmp_eq_u64_e32 vcc, v[6:7], v[8:9]
	v_cndmask_b32_e32 v1, 0, v1, vcc
	v_add_u32_e32 v1, v1, v34
	v_and_b32_e32 v1, 0xfffff, v1
	v_add_co_u32_e32 v54, vcc, v1, v34
	v_add_u32_e32 v2, 6, v4
	v_addc_co_u32_e32 v55, vcc, 0, v35, vcc
	v_cmp_ne_u32_e32 vcc, 0, v2
                                        ; implicit-def: $vgpr1
	s_and_saveexec_b64 s[22:23], vcc
	s_xor_b64 s[22:23], exec, s[22:23]
; %bb.188:                              ;   in Loop: Header=BB6_124 Depth=2
	v_add_u32_e32 v1, 7, v4
	v_cmp_lt_u64_e32 vcc, s[48:49], v[54:55]
	v_cndmask_b32_e32 v1, v2, v1, vcc
	v_cndmask_b32_e64 v2, 0, 1, vcc
	v_lshrrev_b64 v[54:55], v2, v[54:55]
; %bb.189:                              ;   in Loop: Header=BB6_124 Depth=2
	s_andn2_saveexec_b64 s[22:23], s[22:23]
; %bb.190:                              ;   in Loop: Header=BB6_124 Depth=2
	v_bfe_u32 v1, v54, 23, 1
; %bb.191:                              ;   in Loop: Header=BB6_124 Depth=2
	s_or_b64 exec, exec, s[22:23]
	v_lshrrev_b64 v[4:5], 20, v[54:55]
	v_cmp_gt_i32_e32 vcc, 16, v1
	v_cndmask_b32_e32 v5, 0, v5, vcc
	v_cndmask_b32_e32 v4, 7, v4, vcc
	v_cmp_eq_u32_e32 vcc, 0, v1
	v_min_i32_e32 v1, 15, v1
	v_cmp_eq_u64_e64 s[22:23], 0, v[4:5]
	v_lshlrev_b32_e32 v1, 3, v1
	v_and_or_b32 v1, v4, 7, v1
	s_and_b64 s[22:23], vcc, s[22:23]
	v_cndmask_b32_e64 v1, v1, 0, s[22:23]
	v_or_b32_e32 v27, v1, v0
.LBB6_192:                              ;   in Loop: Header=BB6_124 Depth=2
	s_or_b64 exec, exec, s[60:61]
.LBB6_193:                              ;   in Loop: Header=BB6_124 Depth=2
	s_or_b64 exec, exec, s[58:59]
                                        ; implicit-def: $vgpr1
.LBB6_194:                              ;   in Loop: Header=BB6_124 Depth=2
	s_andn2_saveexec_b64 s[22:23], s[56:57]
; %bb.195:                              ;   in Loop: Header=BB6_124 Depth=2
	v_or_b32_sdwa v0, v1, s76 dst_sel:DWORD dst_unused:UNUSED_PAD src0_sel:BYTE_3 src1_sel:DWORD
	v_cmp_eq_u64_e32 vcc, 0, v[56:57]
	v_cndmask_b32_e32 v27, v0, v27, vcc
; %bb.196:                              ;   in Loop: Header=BB6_124 Depth=2
	s_or_b64 exec, exec, s[22:23]
	v_cmp_lt_u32_e32 vcc, s47, v22
	v_mov_b32_e32 v0, 0
	v_mov_b32_e32 v1, 0
	s_and_saveexec_b64 s[22:23], vcc
	s_cbranch_execz .LBB6_202
; %bb.197:                              ;   in Loop: Header=BB6_124 Depth=2
	v_lshrrev_b32_e32 v54, 24, v22
	v_cmp_ne_u32_e32 vcc, s75, v54
	v_bfrev_b32_e32 v1, 1
	s_and_saveexec_b64 s[56:57], vcc
	s_cbranch_execz .LBB6_201
; %bb.198:                              ;   in Loop: Header=BB6_124 Depth=2
	v_bfe_u32 v2, v22, 24, 7
	v_cmp_ne_u32_e32 vcc, s76, v2
	v_mov_b32_e32 v1, 0x7f800001
	s_and_saveexec_b64 s[58:59], vcc
	s_cbranch_execz .LBB6_200
; %bb.199:                              ;   in Loop: Header=BB6_124 Depth=2
	v_and_b32_e32 v1, 7, v54
	v_ffbh_u32_e32 v4, v1
	v_min_u32_e32 v7, 32, v4
	v_subrev_u32_e32 v4, 28, v7
	v_lshlrev_b64 v[4:5], v4, v[54:55]
	v_lshrrev_b32_e32 v6, 3, v2
	v_sub_u32_e32 v5, 29, v7
	v_and_b32_e32 v4, 7, v4
	v_cmp_gt_u32_e32 vcc, 8, v2
	v_cndmask_b32_e32 v2, v6, v5, vcc
	v_cndmask_b32_e32 v1, v1, v4, vcc
	v_lshlrev_b32_e32 v4, 24, v54
	v_lshlrev_b32_e32 v1, 20, v1
	v_and_b32_e32 v4, 0x80000000, v4
	v_lshl_add_u32 v2, v2, 23, v29
	v_or3_b32 v1, v4, v2, v1
.LBB6_200:                              ;   in Loop: Header=BB6_124 Depth=2
	s_or_b64 exec, exec, s[58:59]
.LBB6_201:                              ;   in Loop: Header=BB6_124 Depth=2
	s_or_b64 exec, exec, s[56:57]
.LBB6_202:                              ;   in Loop: Header=BB6_124 Depth=2
	s_or_b64 exec, exec, s[22:23]
	v_cmp_lt_u32_e32 vcc, s47, v18
	s_and_saveexec_b64 s[22:23], vcc
	s_cbranch_execz .LBB6_208
; %bb.203:                              ;   in Loop: Header=BB6_124 Depth=2
	v_lshrrev_b32_e32 v54, 24, v18
	v_cmp_ne_u32_e32 vcc, s75, v54
	v_bfrev_b32_e32 v0, 1
	s_and_saveexec_b64 s[56:57], vcc
	s_cbranch_execz .LBB6_207
; %bb.204:                              ;   in Loop: Header=BB6_124 Depth=2
	v_bfe_u32 v2, v18, 24, 7
	v_cmp_ne_u32_e32 vcc, s76, v2
	v_mov_b32_e32 v0, 0x7f800001
	s_and_saveexec_b64 s[58:59], vcc
	s_cbranch_execz .LBB6_206
; %bb.205:                              ;   in Loop: Header=BB6_124 Depth=2
	v_and_b32_e32 v0, 7, v54
	v_ffbh_u32_e32 v4, v0
	v_min_u32_e32 v7, 32, v4
	v_subrev_u32_e32 v4, 28, v7
	v_lshlrev_b64 v[4:5], v4, v[54:55]
	v_lshrrev_b32_e32 v6, 3, v2
	v_sub_u32_e32 v5, 29, v7
	v_and_b32_e32 v4, 7, v4
	v_cmp_gt_u32_e32 vcc, 8, v2
	v_cndmask_b32_e32 v2, v6, v5, vcc
	v_cndmask_b32_e32 v0, v0, v4, vcc
	v_lshlrev_b32_e32 v4, 24, v54
	v_lshlrev_b32_e32 v0, 20, v0
	v_and_b32_e32 v4, 0x80000000, v4
	v_lshl_add_u32 v2, v2, 23, v29
	v_or3_b32 v0, v4, v2, v0
.LBB6_206:                              ;   in Loop: Header=BB6_124 Depth=2
	s_or_b64 exec, exec, s[58:59]
.LBB6_207:                              ;   in Loop: Header=BB6_124 Depth=2
	s_or_b64 exec, exec, s[56:57]
.LBB6_208:                              ;   in Loop: Header=BB6_124 Depth=2
	s_or_b64 exec, exec, s[22:23]
	v_add_f32_e32 v2, v1, v0
	v_and_b32_sdwa v1, v2, s75 dst_sel:DWORD dst_unused:UNUSED_PAD src0_sel:BYTE_3 src1_sel:DWORD
	v_and_b32_e32 v4, 0x7f800000, v2
	v_mov_b32_e32 v5, v57
	v_and_b32_e32 v56, 0x7fffff, v2
	v_or_b32_e32 v0, 0x7e, v1
	v_cmp_ne_u64_e32 vcc, s[42:43], v[4:5]
	s_and_saveexec_b64 s[22:23], vcc
	s_xor_b64 s[56:57], exec, s[22:23]
	s_cbranch_execz .LBB6_218
; %bb.209:                              ;   in Loop: Header=BB6_124 Depth=2
	v_and_b32_e32 v4, 0x7fffffff, v2
	v_mov_b32_e32 v5, v57
	v_cmp_gt_u64_e32 vcc, s[44:45], v[4:5]
	s_and_saveexec_b64 s[58:59], vcc
	s_cbranch_execz .LBB6_217
; %bb.210:                              ;   in Loop: Header=BB6_124 Depth=2
	v_cmp_ne_u32_e32 vcc, 0, v2
	v_mov_b32_e32 v0, 0
	s_and_saveexec_b64 s[60:61], vcc
	s_cbranch_execz .LBB6_216
; %bb.211:                              ;   in Loop: Header=BB6_124 Depth=2
	v_bfe_u32 v0, v2, 23, 8
	v_sub_u32_e32 v4, 0x79, v0
	v_cmp_gt_u32_e32 vcc, s77, v0
	v_add_u32_e32 v2, 0xffffff81, v0
	v_cndmask_b32_e32 v4, 0, v4, vcc
	v_cmp_eq_u32_e32 vcc, 0, v0
	v_cndmask_b32_e32 v0, v2, v33, vcc
	v_mov_b32_e32 v2, 0x78
	v_cndmask_b32_e32 v2, v4, v2, vcc
	v_or_b32_e32 v5, 0x800000, v56
	v_add_u32_e32 v4, 20, v2
	v_cndmask_b32_e32 v56, v5, v56, vcc
	v_lshlrev_b64 v[4:5], v4, -1
	v_not_b32_e32 v4, v4
	v_and_b32_e32 v6, v56, v4
	v_add_u32_e32 v4, 19, v2
	v_lshrrev_b64 v[34:35], v2, v[56:57]
	v_not_b32_e32 v5, v5
	v_lshlrev_b64 v[8:9], v4, 1
	v_lshrrev_b32_e32 v4, 23, v34
	v_and_b32_e32 v7, 0, v5
	v_add3_u32 v4, v2, v0, v4
	v_bfe_u32 v0, v34, 20, 1
	v_add_u32_e32 v0, -1, v0
	v_cmp_eq_u64_e32 vcc, v[6:7], v[8:9]
	v_cndmask_b32_e32 v0, 0, v0, vcc
	v_add_u32_e32 v0, v0, v34
	v_and_b32_e32 v0, 0xfffff, v0
	v_add_co_u32_e32 v54, vcc, v0, v34
	v_add_u32_e32 v2, 6, v4
	v_addc_co_u32_e32 v55, vcc, 0, v35, vcc
	v_cmp_ne_u32_e32 vcc, 0, v2
                                        ; implicit-def: $vgpr0
	s_and_saveexec_b64 s[22:23], vcc
	s_xor_b64 s[22:23], exec, s[22:23]
; %bb.212:                              ;   in Loop: Header=BB6_124 Depth=2
	v_add_u32_e32 v0, 7, v4
	v_cmp_lt_u64_e32 vcc, s[48:49], v[54:55]
	v_cndmask_b32_e32 v0, v2, v0, vcc
	v_cndmask_b32_e64 v2, 0, 1, vcc
	v_lshrrev_b64 v[54:55], v2, v[54:55]
; %bb.213:                              ;   in Loop: Header=BB6_124 Depth=2
	s_andn2_saveexec_b64 s[22:23], s[22:23]
; %bb.214:                              ;   in Loop: Header=BB6_124 Depth=2
	v_bfe_u32 v0, v54, 23, 1
; %bb.215:                              ;   in Loop: Header=BB6_124 Depth=2
	s_or_b64 exec, exec, s[22:23]
	v_lshrrev_b64 v[4:5], 20, v[54:55]
	v_cmp_gt_i32_e32 vcc, 16, v0
	v_cndmask_b32_e32 v5, 0, v5, vcc
	v_cndmask_b32_e32 v4, 7, v4, vcc
	v_cmp_eq_u32_e32 vcc, 0, v0
	v_min_i32_e32 v0, 15, v0
	v_cmp_eq_u64_e64 s[22:23], 0, v[4:5]
	v_lshlrev_b32_e32 v0, 3, v0
	v_and_or_b32 v0, v4, 7, v0
	s_and_b64 s[22:23], vcc, s[22:23]
	v_cndmask_b32_e64 v0, v0, 0, s[22:23]
	v_or_b32_e32 v0, v0, v1
.LBB6_216:                              ;   in Loop: Header=BB6_124 Depth=2
	s_or_b64 exec, exec, s[60:61]
.LBB6_217:                              ;   in Loop: Header=BB6_124 Depth=2
	s_or_b64 exec, exec, s[58:59]
                                        ; implicit-def: $vgpr2
.LBB6_218:                              ;   in Loop: Header=BB6_124 Depth=2
	s_andn2_saveexec_b64 s[22:23], s[56:57]
; %bb.219:                              ;   in Loop: Header=BB6_124 Depth=2
	v_or_b32_sdwa v1, v2, s76 dst_sel:DWORD dst_unused:UNUSED_PAD src0_sel:BYTE_3 src1_sel:DWORD
	v_cmp_eq_u64_e32 vcc, 0, v[56:57]
	v_cndmask_b32_e32 v0, v1, v0, vcc
; %bb.220:                              ;   in Loop: Header=BB6_124 Depth=2
	s_or_b64 exec, exec, s[22:23]
	v_mov_b32_e32 v56, v23
	v_cmp_ne_u16_sdwa vcc, v23, v57 src0_sel:BYTE_0 src1_sel:DWORD
	v_mov_b32_e32 v2, 0
	v_mov_b32_e32 v1, 0
	s_and_saveexec_b64 s[22:23], vcc
	s_cbranch_execz .LBB6_226
; %bb.221:                              ;   in Loop: Header=BB6_124 Depth=2
	v_cmp_ne_u16_sdwa vcc, v23, s75 src0_sel:BYTE_0 src1_sel:DWORD
	v_bfrev_b32_e32 v1, 1
	s_and_saveexec_b64 s[56:57], vcc
	s_cbranch_execz .LBB6_225
; %bb.222:                              ;   in Loop: Header=BB6_124 Depth=2
	v_and_b32_e32 v4, 0x7f, v23
	v_cmp_ne_u32_e32 vcc, s76, v4
	v_mov_b32_e32 v1, 0x7f800001
	s_and_saveexec_b64 s[58:59], vcc
	s_cbranch_execz .LBB6_224
; %bb.223:                              ;   in Loop: Header=BB6_124 Depth=2
	v_and_b32_e32 v1, 7, v23
	v_ffbh_u32_e32 v1, v1
	v_min_u32_e32 v1, 32, v1
	v_subrev_u32_e32 v6, 28, v1
	v_cmp_gt_u32_e32 vcc, 8, v4
	v_lshrrev_b32_e32 v5, 3, v4
	v_sub_u32_e32 v1, 29, v1
	v_cndmask_b32_e32 v4, 0, v6, vcc
	v_cndmask_b32_e32 v1, v5, v1, vcc
	v_lshlrev_b64 v[4:5], v4, v[56:57]
	v_lshlrev_b32_e32 v4, 20, v4
	v_lshlrev_b32_e32 v5, 24, v56
	v_and_b32_e32 v4, 0x700000, v4
	v_and_b32_e32 v5, 0x80000000, v5
	v_lshl_add_u32 v1, v1, 23, v29
	v_or3_b32 v1, v5, v1, v4
.LBB6_224:                              ;   in Loop: Header=BB6_124 Depth=2
	s_or_b64 exec, exec, s[58:59]
.LBB6_225:                              ;   in Loop: Header=BB6_124 Depth=2
	s_or_b64 exec, exec, s[56:57]
.LBB6_226:                              ;   in Loop: Header=BB6_124 Depth=2
	s_or_b64 exec, exec, s[22:23]
	v_cmp_ne_u16_sdwa vcc, v19, v57 src0_sel:BYTE_0 src1_sel:DWORD
	s_and_saveexec_b64 s[22:23], vcc
	s_cbranch_execz .LBB6_232
; %bb.227:                              ;   in Loop: Header=BB6_124 Depth=2
	v_cmp_ne_u16_sdwa vcc, v19, s75 src0_sel:BYTE_0 src1_sel:DWORD
	v_bfrev_b32_e32 v2, 1
	s_and_saveexec_b64 s[56:57], vcc
	s_cbranch_execz .LBB6_231
; %bb.228:                              ;   in Loop: Header=BB6_124 Depth=2
	v_and_b32_e32 v4, 0x7f, v19
	v_cmp_ne_u32_e32 vcc, s76, v4
	v_mov_b32_e32 v2, 0x7f800001
	s_and_saveexec_b64 s[58:59], vcc
	s_cbranch_execz .LBB6_230
; %bb.229:                              ;   in Loop: Header=BB6_124 Depth=2
	v_and_b32_e32 v2, 7, v19
	v_ffbh_u32_e32 v2, v2
	v_min_u32_e32 v2, 32, v2
	v_subrev_u32_e32 v8, 28, v2
	v_cmp_gt_u32_e32 vcc, 8, v4
	v_mov_b32_e32 v6, v19
	v_mov_b32_e32 v7, v57
	v_lshrrev_b32_e32 v5, 3, v4
	v_sub_u32_e32 v2, 29, v2
	v_cndmask_b32_e32 v4, 0, v8, vcc
	v_cndmask_b32_e32 v2, v5, v2, vcc
	v_lshlrev_b64 v[4:5], v4, v[6:7]
	v_lshlrev_b32_e32 v4, 20, v4
	v_lshlrev_b32_e32 v5, 24, v6
	v_and_b32_e32 v4, 0x700000, v4
	v_and_b32_e32 v5, 0x80000000, v5
	v_lshl_add_u32 v2, v2, 23, v29
	v_or3_b32 v2, v5, v2, v4
.LBB6_230:                              ;   in Loop: Header=BB6_124 Depth=2
	s_or_b64 exec, exec, s[58:59]
.LBB6_231:                              ;   in Loop: Header=BB6_124 Depth=2
	s_or_b64 exec, exec, s[56:57]
.LBB6_232:                              ;   in Loop: Header=BB6_124 Depth=2
	s_or_b64 exec, exec, s[22:23]
	v_add_f32_e32 v4, v1, v2
	v_and_b32_sdwa v2, v4, s75 dst_sel:DWORD dst_unused:UNUSED_PAD src0_sel:BYTE_3 src1_sel:DWORD
	v_and_b32_e32 v6, 0x7f800000, v4
	v_mov_b32_e32 v7, v57
	v_and_b32_e32 v54, 0x7fffff, v4
	v_mov_b32_e32 v55, v57
	v_or_b32_e32 v1, 0x7e, v2
	v_cmp_ne_u64_e32 vcc, s[42:43], v[6:7]
	s_and_saveexec_b64 s[22:23], vcc
	s_xor_b64 s[56:57], exec, s[22:23]
	s_cbranch_execz .LBB6_242
; %bb.233:                              ;   in Loop: Header=BB6_124 Depth=2
	v_and_b32_e32 v6, 0x7fffffff, v4
	v_mov_b32_e32 v7, v57
	v_cmp_gt_u64_e32 vcc, s[44:45], v[6:7]
	s_and_saveexec_b64 s[58:59], vcc
	s_cbranch_execz .LBB6_241
; %bb.234:                              ;   in Loop: Header=BB6_124 Depth=2
	v_cmp_ne_u32_e32 vcc, 0, v4
	v_mov_b32_e32 v1, 0
	s_and_saveexec_b64 s[60:61], vcc
	s_cbranch_execz .LBB6_240
; %bb.235:                              ;   in Loop: Header=BB6_124 Depth=2
	v_bfe_u32 v1, v4, 23, 8
	v_sub_u32_e32 v5, 0x79, v1
	v_cmp_gt_u32_e32 vcc, s77, v1
	v_add_u32_e32 v4, 0xffffff81, v1
	v_cndmask_b32_e32 v5, 0, v5, vcc
	v_cmp_eq_u32_e32 vcc, 0, v1
	v_cndmask_b32_e32 v1, v4, v33, vcc
	v_mov_b32_e32 v4, 0x78
	v_cndmask_b32_e32 v30, v5, v4, vcc
	v_add_u32_e32 v4, 20, v30
	v_or_b32_e32 v6, 0x800000, v54
	v_lshlrev_b64 v[4:5], v4, -1
	v_cndmask_b32_e32 v54, v6, v54, vcc
	v_not_b32_e32 v4, v4
	v_and_b32_e32 v6, v54, v4
	v_add_u32_e32 v4, 19, v30
	v_lshrrev_b64 v[34:35], v30, v[54:55]
	v_not_b32_e32 v5, v5
	v_lshlrev_b64 v[8:9], v4, 1
	v_lshrrev_b32_e32 v4, 23, v34
	v_and_b32_e32 v7, 0, v5
	v_add3_u32 v5, v30, v1, v4
	v_bfe_u32 v1, v34, 20, 1
	v_add_u32_e32 v1, -1, v1
	v_cmp_eq_u64_e32 vcc, v[6:7], v[8:9]
	v_cndmask_b32_e32 v1, 0, v1, vcc
	v_add_u32_e32 v1, v1, v34
	v_and_b32_e32 v1, 0xfffff, v1
	v_add_co_u32_e32 v54, vcc, v1, v34
	v_add_u32_e32 v4, 6, v5
	v_addc_co_u32_e32 v55, vcc, 0, v35, vcc
	v_cmp_ne_u32_e32 vcc, 0, v4
                                        ; implicit-def: $vgpr1
	s_and_saveexec_b64 s[22:23], vcc
	s_xor_b64 s[22:23], exec, s[22:23]
; %bb.236:                              ;   in Loop: Header=BB6_124 Depth=2
	v_add_u32_e32 v1, 7, v5
	v_cmp_lt_u64_e32 vcc, s[48:49], v[54:55]
	v_cndmask_b32_e32 v1, v4, v1, vcc
	v_cndmask_b32_e64 v4, 0, 1, vcc
	v_lshrrev_b64 v[54:55], v4, v[54:55]
; %bb.237:                              ;   in Loop: Header=BB6_124 Depth=2
	s_andn2_saveexec_b64 s[22:23], s[22:23]
; %bb.238:                              ;   in Loop: Header=BB6_124 Depth=2
	v_bfe_u32 v1, v54, 23, 1
; %bb.239:                              ;   in Loop: Header=BB6_124 Depth=2
	s_or_b64 exec, exec, s[22:23]
	v_lshrrev_b64 v[4:5], 20, v[54:55]
	v_cmp_gt_i32_e32 vcc, 16, v1
	v_cndmask_b32_e32 v5, 0, v5, vcc
	v_cndmask_b32_e32 v4, 7, v4, vcc
	v_cmp_eq_u32_e32 vcc, 0, v1
	v_min_i32_e32 v1, 15, v1
	v_cmp_eq_u64_e64 s[22:23], 0, v[4:5]
	v_lshlrev_b32_e32 v1, 3, v1
	v_and_or_b32 v1, v4, 7, v1
	s_and_b64 s[22:23], vcc, s[22:23]
	v_cndmask_b32_e64 v1, v1, 0, s[22:23]
	v_or_b32_e32 v1, v1, v2
.LBB6_240:                              ;   in Loop: Header=BB6_124 Depth=2
	s_or_b64 exec, exec, s[60:61]
.LBB6_241:                              ;   in Loop: Header=BB6_124 Depth=2
	s_or_b64 exec, exec, s[58:59]
                                        ; implicit-def: $vgpr4
                                        ; implicit-def: $vgpr54_vgpr55
.LBB6_242:                              ;   in Loop: Header=BB6_124 Depth=2
	s_andn2_saveexec_b64 s[22:23], s[56:57]
; %bb.243:                              ;   in Loop: Header=BB6_124 Depth=2
	v_or_b32_sdwa v2, v4, s76 dst_sel:DWORD dst_unused:UNUSED_PAD src0_sel:BYTE_3 src1_sel:DWORD
	v_cmp_eq_u64_e32 vcc, 0, v[54:55]
	v_cndmask_b32_e32 v1, v2, v1, vcc
; %bb.244:                              ;   in Loop: Header=BB6_124 Depth=2
	s_or_b64 exec, exec, s[22:23]
	v_lshrrev_b16_e32 v54, 8, v56
	v_cmp_ne_u16_e32 vcc, 0, v54
	v_mov_b32_e32 v2, 0
	v_mov_b32_e32 v4, 0
	s_and_saveexec_b64 s[22:23], vcc
	s_cbranch_execz .LBB6_250
; %bb.245:                              ;   in Loop: Header=BB6_124 Depth=2
	v_cmp_ne_u16_e32 vcc, s75, v54
	v_bfrev_b32_e32 v4, 1
	s_and_saveexec_b64 s[56:57], vcc
	s_cbranch_execz .LBB6_249
; %bb.246:                              ;   in Loop: Header=BB6_124 Depth=2
	v_and_b32_e32 v5, 0x7f, v54
	v_cmp_ne_u32_e32 vcc, s76, v5
	v_mov_b32_e32 v4, 0x7f800001
	s_and_saveexec_b64 s[58:59], vcc
	s_cbranch_execz .LBB6_248
; %bb.247:                              ;   in Loop: Header=BB6_124 Depth=2
	v_and_b32_e32 v4, 7, v54
	v_ffbh_u32_e32 v6, v4
	v_min_u32_e32 v9, 32, v6
	v_subrev_u32_e32 v6, 28, v9
	v_lshlrev_b64 v[6:7], v6, v[54:55]
	v_lshrrev_b32_e32 v8, 3, v5
	v_sub_u32_e32 v7, 29, v9
	v_and_b32_e32 v6, 7, v6
	v_cmp_gt_u32_e32 vcc, 8, v5
	v_cndmask_b32_e32 v5, v8, v7, vcc
	v_cndmask_b32_e32 v4, v4, v6, vcc
	v_lshlrev_b32_e32 v6, 16, v56
	v_lshlrev_b32_e32 v4, 20, v4
	v_and_b32_e32 v6, 0x80000000, v6
	v_lshl_add_u32 v5, v5, 23, v29
	v_or3_b32 v4, v6, v5, v4
.LBB6_248:                              ;   in Loop: Header=BB6_124 Depth=2
	s_or_b64 exec, exec, s[58:59]
.LBB6_249:                              ;   in Loop: Header=BB6_124 Depth=2
	s_or_b64 exec, exec, s[56:57]
.LBB6_250:                              ;   in Loop: Header=BB6_124 Depth=2
	s_or_b64 exec, exec, s[22:23]
	v_mov_b32_e32 v54, v19
	v_lshrrev_b16_e32 v56, 8, v54
	v_cmp_ne_u16_e32 vcc, 0, v56
	s_and_saveexec_b64 s[22:23], vcc
	s_cbranch_execz .LBB6_256
; %bb.251:                              ;   in Loop: Header=BB6_124 Depth=2
	v_cmp_ne_u16_e32 vcc, s75, v56
	v_bfrev_b32_e32 v2, 1
	s_and_saveexec_b64 s[56:57], vcc
	s_cbranch_execz .LBB6_255
; %bb.252:                              ;   in Loop: Header=BB6_124 Depth=2
	v_and_b32_e32 v5, 0x7f, v56
	v_cmp_ne_u32_e32 vcc, s76, v5
	v_mov_b32_e32 v2, 0x7f800001
	s_and_saveexec_b64 s[58:59], vcc
	s_cbranch_execz .LBB6_254
; %bb.253:                              ;   in Loop: Header=BB6_124 Depth=2
	v_and_b32_e32 v2, 7, v56
	v_ffbh_u32_e32 v6, v2
	v_min_u32_e32 v9, 32, v6
	v_subrev_u32_e32 v6, 28, v9
	v_lshlrev_b64 v[6:7], v6, v[56:57]
	v_lshrrev_b32_e32 v8, 3, v5
	v_sub_u32_e32 v7, 29, v9
	v_and_b32_e32 v6, 7, v6
	v_cmp_gt_u32_e32 vcc, 8, v5
	v_cndmask_b32_e32 v5, v8, v7, vcc
	v_cndmask_b32_e32 v2, v2, v6, vcc
	v_lshlrev_b32_e32 v6, 16, v54
	v_lshlrev_b32_e32 v2, 20, v2
	v_and_b32_e32 v6, 0x80000000, v6
	v_lshl_add_u32 v5, v5, 23, v29
	v_or3_b32 v2, v6, v5, v2
.LBB6_254:                              ;   in Loop: Header=BB6_124 Depth=2
	s_or_b64 exec, exec, s[58:59]
.LBB6_255:                              ;   in Loop: Header=BB6_124 Depth=2
	s_or_b64 exec, exec, s[56:57]
.LBB6_256:                              ;   in Loop: Header=BB6_124 Depth=2
	s_or_b64 exec, exec, s[22:23]
	v_add_f32_e32 v4, v4, v2
	v_and_b32_sdwa v2, v4, s75 dst_sel:DWORD dst_unused:UNUSED_PAD src0_sel:BYTE_3 src1_sel:DWORD
	v_and_b32_e32 v6, 0x7f800000, v4
	v_mov_b32_e32 v7, v57
	v_and_b32_e32 v56, 0x7fffff, v4
	v_or_b32_e32 v43, 0x7e, v2
	v_cmp_ne_u64_e32 vcc, s[42:43], v[6:7]
	s_and_saveexec_b64 s[22:23], vcc
	s_xor_b64 s[56:57], exec, s[22:23]
	s_cbranch_execz .LBB6_266
; %bb.257:                              ;   in Loop: Header=BB6_124 Depth=2
	v_and_b32_e32 v6, 0x7fffffff, v4
	v_mov_b32_e32 v7, v57
	v_cmp_gt_u64_e32 vcc, s[44:45], v[6:7]
	s_and_saveexec_b64 s[58:59], vcc
	s_cbranch_execz .LBB6_265
; %bb.258:                              ;   in Loop: Header=BB6_124 Depth=2
	v_cmp_ne_u32_e32 vcc, 0, v4
	v_mov_b32_e32 v43, 0
	s_and_saveexec_b64 s[60:61], vcc
	s_cbranch_execz .LBB6_264
; %bb.259:                              ;   in Loop: Header=BB6_124 Depth=2
	v_bfe_u32 v4, v4, 23, 8
	v_sub_u32_e32 v6, 0x79, v4
	v_cmp_gt_u32_e32 vcc, s77, v4
	v_add_u32_e32 v5, 0xffffff81, v4
	v_cndmask_b32_e32 v6, 0, v6, vcc
	v_cmp_eq_u32_e32 vcc, 0, v4
	v_mov_b32_e32 v4, 0x78
	v_cndmask_b32_e32 v32, v6, v4, vcc
	v_add_u32_e32 v4, 20, v32
	v_or_b32_e32 v7, 0x800000, v56
	v_cndmask_b32_e32 v30, v5, v33, vcc
	v_lshlrev_b64 v[4:5], v4, -1
	v_cndmask_b32_e32 v56, v7, v56, vcc
	v_not_b32_e32 v4, v4
	v_and_b32_e32 v6, v56, v4
	v_add_u32_e32 v4, 19, v32
	v_lshrrev_b64 v[34:35], v32, v[56:57]
	v_not_b32_e32 v5, v5
	v_lshlrev_b64 v[8:9], v4, 1
	v_lshrrev_b32_e32 v4, 23, v34
	v_and_b32_e32 v7, 0, v5
	v_add3_u32 v30, v32, v30, v4
	v_bfe_u32 v4, v34, 20, 1
	v_add_u32_e32 v4, -1, v4
	v_cmp_eq_u64_e32 vcc, v[6:7], v[8:9]
	v_cndmask_b32_e32 v4, 0, v4, vcc
	v_add_u32_e32 v4, v4, v34
	v_and_b32_e32 v4, 0xfffff, v4
	v_add_co_u32_e32 v54, vcc, v4, v34
	v_add_u32_e32 v5, 6, v30
	v_addc_co_u32_e32 v55, vcc, 0, v35, vcc
	v_cmp_ne_u32_e32 vcc, 0, v5
                                        ; implicit-def: $vgpr4
	s_and_saveexec_b64 s[22:23], vcc
	s_xor_b64 s[22:23], exec, s[22:23]
; %bb.260:                              ;   in Loop: Header=BB6_124 Depth=2
	v_add_u32_e32 v4, 7, v30
	v_cmp_lt_u64_e32 vcc, s[48:49], v[54:55]
	v_cndmask_b32_e32 v4, v5, v4, vcc
	v_cndmask_b32_e64 v5, 0, 1, vcc
	v_lshrrev_b64 v[54:55], v5, v[54:55]
; %bb.261:                              ;   in Loop: Header=BB6_124 Depth=2
	s_andn2_saveexec_b64 s[22:23], s[22:23]
; %bb.262:                              ;   in Loop: Header=BB6_124 Depth=2
	v_bfe_u32 v4, v54, 23, 1
; %bb.263:                              ;   in Loop: Header=BB6_124 Depth=2
	s_or_b64 exec, exec, s[22:23]
	v_lshrrev_b64 v[6:7], 20, v[54:55]
	v_cmp_gt_i32_e32 vcc, 16, v4
	v_cndmask_b32_e32 v7, 0, v7, vcc
	v_cndmask_b32_e32 v6, 7, v6, vcc
	v_cmp_eq_u32_e32 vcc, 0, v4
	v_min_i32_e32 v4, 15, v4
	v_cmp_eq_u64_e64 s[22:23], 0, v[6:7]
	v_lshlrev_b32_e32 v4, 3, v4
	v_and_or_b32 v4, v6, 7, v4
	s_and_b64 s[22:23], vcc, s[22:23]
	v_cndmask_b32_e64 v4, v4, 0, s[22:23]
	v_or_b32_e32 v43, v4, v2
.LBB6_264:                              ;   in Loop: Header=BB6_124 Depth=2
	s_or_b64 exec, exec, s[60:61]
.LBB6_265:                              ;   in Loop: Header=BB6_124 Depth=2
	s_or_b64 exec, exec, s[58:59]
                                        ; implicit-def: $vgpr4
.LBB6_266:                              ;   in Loop: Header=BB6_124 Depth=2
	s_andn2_saveexec_b64 s[22:23], s[56:57]
; %bb.267:                              ;   in Loop: Header=BB6_124 Depth=2
	v_or_b32_sdwa v2, v4, s76 dst_sel:DWORD dst_unused:UNUSED_PAD src0_sel:BYTE_3 src1_sel:DWORD
	v_cmp_eq_u64_e32 vcc, 0, v[56:57]
	v_cndmask_b32_e32 v43, v2, v43, vcc
; %bb.268:                              ;   in Loop: Header=BB6_124 Depth=2
	s_or_b64 exec, exec, s[22:23]
	v_lshrrev_b32_e32 v54, 16, v23
	v_cmp_ne_u16_sdwa vcc, v54, v57 src0_sel:BYTE_0 src1_sel:DWORD
	v_mov_b32_e32 v2, 0
	v_mov_b32_e32 v4, 0
	s_and_saveexec_b64 s[22:23], vcc
	s_cbranch_execz .LBB6_274
; %bb.269:                              ;   in Loop: Header=BB6_124 Depth=2
	v_cmp_ne_u16_sdwa vcc, v54, s75 src0_sel:BYTE_0 src1_sel:DWORD
	v_bfrev_b32_e32 v4, 1
	s_and_saveexec_b64 s[56:57], vcc
	s_cbranch_execz .LBB6_273
; %bb.270:                              ;   in Loop: Header=BB6_124 Depth=2
	v_bfe_u32 v5, v23, 16, 7
	v_cmp_ne_u32_e32 vcc, s76, v5
	v_mov_b32_e32 v4, 0x7f800001
	s_and_saveexec_b64 s[58:59], vcc
	s_cbranch_execz .LBB6_272
; %bb.271:                              ;   in Loop: Header=BB6_124 Depth=2
	v_and_b32_e32 v4, 7, v54
	v_ffbh_u32_e32 v6, v4
	v_min_u32_e32 v9, 32, v6
	v_subrev_u32_e32 v6, 28, v9
	v_lshlrev_b64 v[6:7], v6, v[54:55]
	v_lshrrev_b32_e32 v8, 3, v5
	v_sub_u32_e32 v7, 29, v9
	v_and_b32_e32 v6, 7, v6
	v_cmp_gt_u32_e32 vcc, 8, v5
	v_cndmask_b32_e32 v5, v8, v7, vcc
	v_cndmask_b32_e32 v4, v4, v6, vcc
	v_lshlrev_b32_e32 v6, 24, v54
	v_lshlrev_b32_e32 v4, 20, v4
	v_and_b32_e32 v6, 0x80000000, v6
	v_lshl_add_u32 v5, v5, 23, v29
	v_or3_b32 v4, v6, v5, v4
.LBB6_272:                              ;   in Loop: Header=BB6_124 Depth=2
	s_or_b64 exec, exec, s[58:59]
.LBB6_273:                              ;   in Loop: Header=BB6_124 Depth=2
	s_or_b64 exec, exec, s[56:57]
.LBB6_274:                              ;   in Loop: Header=BB6_124 Depth=2
	s_or_b64 exec, exec, s[22:23]
	v_lshrrev_b32_e32 v54, 16, v19
	v_cmp_ne_u16_sdwa vcc, v54, v57 src0_sel:BYTE_0 src1_sel:DWORD
	s_and_saveexec_b64 s[22:23], vcc
	s_cbranch_execz .LBB6_280
; %bb.275:                              ;   in Loop: Header=BB6_124 Depth=2
	v_cmp_ne_u16_sdwa vcc, v54, s75 src0_sel:BYTE_0 src1_sel:DWORD
	v_bfrev_b32_e32 v2, 1
	s_and_saveexec_b64 s[56:57], vcc
	s_cbranch_execz .LBB6_279
; %bb.276:                              ;   in Loop: Header=BB6_124 Depth=2
	v_bfe_u32 v5, v19, 16, 7
	v_cmp_ne_u32_e32 vcc, s76, v5
	v_mov_b32_e32 v2, 0x7f800001
	s_and_saveexec_b64 s[58:59], vcc
	s_cbranch_execz .LBB6_278
; %bb.277:                              ;   in Loop: Header=BB6_124 Depth=2
	v_and_b32_e32 v2, 7, v54
	v_ffbh_u32_e32 v6, v2
	v_min_u32_e32 v9, 32, v6
	v_subrev_u32_e32 v6, 28, v9
	v_lshlrev_b64 v[6:7], v6, v[54:55]
	v_lshrrev_b32_e32 v8, 3, v5
	v_sub_u32_e32 v7, 29, v9
	v_and_b32_e32 v6, 7, v6
	v_cmp_gt_u32_e32 vcc, 8, v5
	v_cndmask_b32_e32 v5, v8, v7, vcc
	v_cndmask_b32_e32 v2, v2, v6, vcc
	v_lshlrev_b32_e32 v6, 8, v19
	v_lshlrev_b32_e32 v2, 20, v2
	v_and_b32_e32 v6, 0x80000000, v6
	v_lshl_add_u32 v5, v5, 23, v29
	v_or3_b32 v2, v6, v5, v2
.LBB6_278:                              ;   in Loop: Header=BB6_124 Depth=2
	s_or_b64 exec, exec, s[58:59]
.LBB6_279:                              ;   in Loop: Header=BB6_124 Depth=2
	s_or_b64 exec, exec, s[56:57]
.LBB6_280:                              ;   in Loop: Header=BB6_124 Depth=2
	s_or_b64 exec, exec, s[22:23]
	v_add_f32_e32 v4, v4, v2
	v_and_b32_sdwa v2, v4, s75 dst_sel:DWORD dst_unused:UNUSED_PAD src0_sel:BYTE_3 src1_sel:DWORD
	v_and_b32_e32 v6, 0x7f800000, v4
	v_mov_b32_e32 v7, v57
	v_and_b32_e32 v56, 0x7fffff, v4
	v_or_b32_e32 v34, 0x7e, v2
	v_cmp_ne_u64_e32 vcc, s[42:43], v[6:7]
	s_and_saveexec_b64 s[22:23], vcc
	s_xor_b64 s[56:57], exec, s[22:23]
	s_cbranch_execz .LBB6_290
; %bb.281:                              ;   in Loop: Header=BB6_124 Depth=2
	v_and_b32_e32 v6, 0x7fffffff, v4
	v_mov_b32_e32 v7, v57
	v_cmp_gt_u64_e32 vcc, s[44:45], v[6:7]
	s_and_saveexec_b64 s[58:59], vcc
	s_cbranch_execz .LBB6_289
; %bb.282:                              ;   in Loop: Header=BB6_124 Depth=2
	v_cmp_ne_u32_e32 vcc, 0, v4
	v_mov_b32_e32 v34, 0
	s_and_saveexec_b64 s[60:61], vcc
	s_cbranch_execz .LBB6_288
; %bb.283:                              ;   in Loop: Header=BB6_124 Depth=2
	v_bfe_u32 v4, v4, 23, 8
	v_sub_u32_e32 v6, 0x79, v4
	v_cmp_gt_u32_e32 vcc, s77, v4
	v_add_u32_e32 v5, 0xffffff81, v4
	v_cndmask_b32_e32 v6, 0, v6, vcc
	v_cmp_eq_u32_e32 vcc, 0, v4
	v_mov_b32_e32 v4, 0x78
	v_cndmask_b32_e32 v32, v6, v4, vcc
	v_add_u32_e32 v4, 20, v32
	v_or_b32_e32 v7, 0x800000, v56
	v_cndmask_b32_e32 v30, v5, v33, vcc
	v_lshlrev_b64 v[4:5], v4, -1
	v_cndmask_b32_e32 v56, v7, v56, vcc
	v_not_b32_e32 v4, v4
	v_and_b32_e32 v6, v56, v4
	v_add_u32_e32 v4, 19, v32
	v_lshrrev_b64 v[34:35], v32, v[56:57]
	v_not_b32_e32 v5, v5
	v_lshlrev_b64 v[8:9], v4, 1
	v_lshrrev_b32_e32 v4, 23, v34
	v_and_b32_e32 v7, 0, v5
	v_add3_u32 v30, v32, v30, v4
	v_bfe_u32 v4, v34, 20, 1
	v_add_u32_e32 v4, -1, v4
	v_cmp_eq_u64_e32 vcc, v[6:7], v[8:9]
	v_cndmask_b32_e32 v4, 0, v4, vcc
	v_add_u32_e32 v4, v4, v34
	v_and_b32_e32 v4, 0xfffff, v4
	v_add_co_u32_e32 v54, vcc, v4, v34
	v_add_u32_e32 v5, 6, v30
	v_addc_co_u32_e32 v55, vcc, 0, v35, vcc
	v_cmp_ne_u32_e32 vcc, 0, v5
                                        ; implicit-def: $vgpr4
	s_and_saveexec_b64 s[22:23], vcc
	s_xor_b64 s[22:23], exec, s[22:23]
; %bb.284:                              ;   in Loop: Header=BB6_124 Depth=2
	v_add_u32_e32 v4, 7, v30
	v_cmp_lt_u64_e32 vcc, s[48:49], v[54:55]
	v_cndmask_b32_e32 v4, v5, v4, vcc
	v_cndmask_b32_e64 v5, 0, 1, vcc
	v_lshrrev_b64 v[54:55], v5, v[54:55]
; %bb.285:                              ;   in Loop: Header=BB6_124 Depth=2
	s_andn2_saveexec_b64 s[22:23], s[22:23]
; %bb.286:                              ;   in Loop: Header=BB6_124 Depth=2
	v_bfe_u32 v4, v54, 23, 1
; %bb.287:                              ;   in Loop: Header=BB6_124 Depth=2
	s_or_b64 exec, exec, s[22:23]
	v_lshrrev_b64 v[6:7], 20, v[54:55]
	v_cmp_gt_i32_e32 vcc, 16, v4
	v_cndmask_b32_e32 v7, 0, v7, vcc
	v_cndmask_b32_e32 v6, 7, v6, vcc
	v_cmp_eq_u32_e32 vcc, 0, v4
	v_min_i32_e32 v4, 15, v4
	v_lshlrev_b32_e32 v4, 3, v4
	v_cmp_eq_u64_e64 s[22:23], 0, v[6:7]
	v_and_b32_e32 v4, 0xf8, v4
	v_and_or_b32 v4, v6, 7, v4
	s_and_b64 s[22:23], vcc, s[22:23]
	v_cndmask_b32_e64 v4, v4, 0, s[22:23]
	v_or_b32_e32 v34, v4, v2
.LBB6_288:                              ;   in Loop: Header=BB6_124 Depth=2
	s_or_b64 exec, exec, s[60:61]
.LBB6_289:                              ;   in Loop: Header=BB6_124 Depth=2
	s_or_b64 exec, exec, s[58:59]
                                        ; implicit-def: $vgpr4
.LBB6_290:                              ;   in Loop: Header=BB6_124 Depth=2
	s_andn2_saveexec_b64 s[22:23], s[56:57]
; %bb.291:                              ;   in Loop: Header=BB6_124 Depth=2
	v_or_b32_sdwa v2, v4, s76 dst_sel:DWORD dst_unused:UNUSED_PAD src0_sel:BYTE_3 src1_sel:DWORD
	v_cmp_eq_u64_e32 vcc, 0, v[56:57]
	v_cndmask_b32_e32 v34, v2, v34, vcc
; %bb.292:                              ;   in Loop: Header=BB6_124 Depth=2
	s_or_b64 exec, exec, s[22:23]
	v_cmp_lt_u64_e32 vcc, s[46:47], v[22:23]
	v_mov_b32_e32 v2, 0
	v_mov_b32_e32 v4, 0
	s_and_saveexec_b64 s[22:23], vcc
	s_cbranch_execz .LBB6_298
; %bb.293:                              ;   in Loop: Header=BB6_124 Depth=2
	v_lshrrev_b32_e32 v22, 24, v23
	v_cmp_ne_u32_e32 vcc, s75, v22
	v_bfrev_b32_e32 v4, 1
	s_and_saveexec_b64 s[56:57], vcc
	s_cbranch_execz .LBB6_297
; %bb.294:                              ;   in Loop: Header=BB6_124 Depth=2
	v_bfe_u32 v5, v23, 24, 7
	v_cmp_ne_u32_e32 vcc, s76, v5
	v_mov_b32_e32 v4, 0x7f800001
	s_and_saveexec_b64 s[58:59], vcc
	s_cbranch_execz .LBB6_296
; %bb.295:                              ;   in Loop: Header=BB6_124 Depth=2
	v_and_b32_e32 v4, 7, v22
	v_ffbh_u32_e32 v6, v4
	v_min_u32_e32 v9, 32, v6
	v_subrev_u32_e32 v6, 28, v9
	v_lshlrev_b64 v[6:7], v6, v[22:23]
	v_lshrrev_b32_e32 v8, 3, v5
	v_sub_u32_e32 v7, 29, v9
	v_and_b32_e32 v6, 7, v6
	v_cmp_gt_u32_e32 vcc, 8, v5
	v_cndmask_b32_e32 v5, v8, v7, vcc
	v_cndmask_b32_e32 v4, v4, v6, vcc
	v_lshlrev_b32_e32 v6, 24, v22
	v_lshlrev_b32_e32 v4, 20, v4
	v_and_b32_e32 v6, 0x80000000, v6
	v_lshl_add_u32 v5, v5, 23, v29
	v_or3_b32 v4, v6, v5, v4
.LBB6_296:                              ;   in Loop: Header=BB6_124 Depth=2
	s_or_b64 exec, exec, s[58:59]
.LBB6_297:                              ;   in Loop: Header=BB6_124 Depth=2
	s_or_b64 exec, exec, s[56:57]
.LBB6_298:                              ;   in Loop: Header=BB6_124 Depth=2
	s_or_b64 exec, exec, s[22:23]
	v_cmp_lt_u64_e32 vcc, s[46:47], v[18:19]
	s_and_saveexec_b64 s[22:23], vcc
	s_cbranch_execz .LBB6_304
; %bb.299:                              ;   in Loop: Header=BB6_124 Depth=2
	v_lshrrev_b32_e32 v18, 24, v19
	v_cmp_ne_u32_e32 vcc, s75, v18
	v_bfrev_b32_e32 v2, 1
	s_and_saveexec_b64 s[56:57], vcc
	s_cbranch_execz .LBB6_303
; %bb.300:                              ;   in Loop: Header=BB6_124 Depth=2
	v_bfe_u32 v5, v19, 24, 7
	v_cmp_ne_u32_e32 vcc, s76, v5
	v_mov_b32_e32 v2, 0x7f800001
	s_and_saveexec_b64 s[58:59], vcc
	s_cbranch_execz .LBB6_302
; %bb.301:                              ;   in Loop: Header=BB6_124 Depth=2
	v_and_b32_e32 v2, 7, v18
	v_ffbh_u32_e32 v6, v2
	v_min_u32_e32 v9, 32, v6
	v_subrev_u32_e32 v6, 28, v9
	v_lshlrev_b64 v[6:7], v6, v[18:19]
	v_lshrrev_b32_e32 v8, 3, v5
	v_sub_u32_e32 v7, 29, v9
	v_and_b32_e32 v6, 7, v6
	v_cmp_gt_u32_e32 vcc, 8, v5
	v_cndmask_b32_e32 v5, v8, v7, vcc
	v_cndmask_b32_e32 v2, v2, v6, vcc
	v_lshlrev_b32_e32 v6, 24, v18
	v_lshlrev_b32_e32 v2, 20, v2
	v_and_b32_e32 v6, 0x80000000, v6
	v_lshl_add_u32 v5, v5, 23, v29
	v_or3_b32 v2, v6, v5, v2
.LBB6_302:                              ;   in Loop: Header=BB6_124 Depth=2
	s_or_b64 exec, exec, s[58:59]
.LBB6_303:                              ;   in Loop: Header=BB6_124 Depth=2
	s_or_b64 exec, exec, s[56:57]
.LBB6_304:                              ;   in Loop: Header=BB6_124 Depth=2
	s_or_b64 exec, exec, s[22:23]
	v_add_f32_e32 v4, v4, v2
	v_and_b32_sdwa v2, v4, s75 dst_sel:DWORD dst_unused:UNUSED_PAD src0_sel:BYTE_3 src1_sel:DWORD
	v_and_b32_e32 v6, 0x7f800000, v4
	v_mov_b32_e32 v7, v57
	v_and_b32_e32 v56, 0x7fffff, v4
	v_or_b32_e32 v23, 0x7e, v2
	v_cmp_ne_u64_e32 vcc, s[42:43], v[6:7]
	s_and_saveexec_b64 s[22:23], vcc
	s_xor_b64 s[56:57], exec, s[22:23]
	s_cbranch_execz .LBB6_314
; %bb.305:                              ;   in Loop: Header=BB6_124 Depth=2
	v_and_b32_e32 v6, 0x7fffffff, v4
	v_mov_b32_e32 v7, v57
	v_cmp_gt_u64_e32 vcc, s[44:45], v[6:7]
	s_and_saveexec_b64 s[58:59], vcc
	s_cbranch_execz .LBB6_313
; %bb.306:                              ;   in Loop: Header=BB6_124 Depth=2
	v_cmp_ne_u32_e32 vcc, 0, v4
	v_mov_b32_e32 v23, 0
	s_and_saveexec_b64 s[60:61], vcc
	s_cbranch_execz .LBB6_312
; %bb.307:                              ;   in Loop: Header=BB6_124 Depth=2
	v_bfe_u32 v4, v4, 23, 8
	v_sub_u32_e32 v6, 0x79, v4
	v_cmp_gt_u32_e32 vcc, s77, v4
	v_add_u32_e32 v5, 0xffffff81, v4
	v_cndmask_b32_e32 v6, 0, v6, vcc
	v_cmp_eq_u32_e32 vcc, 0, v4
	v_mov_b32_e32 v4, 0x78
	v_cndmask_b32_e32 v23, v6, v4, vcc
	v_add_u32_e32 v4, 20, v23
	v_or_b32_e32 v7, 0x800000, v56
	v_cndmask_b32_e32 v22, v5, v33, vcc
	v_lshlrev_b64 v[4:5], v4, -1
	v_cndmask_b32_e32 v56, v7, v56, vcc
	v_not_b32_e32 v4, v4
	v_and_b32_e32 v6, v56, v4
	v_add_u32_e32 v4, 19, v23
	v_lshrrev_b64 v[18:19], v23, v[56:57]
	v_not_b32_e32 v5, v5
	v_lshlrev_b64 v[8:9], v4, 1
	v_lshrrev_b32_e32 v4, 23, v18
	v_and_b32_e32 v7, 0, v5
	v_add3_u32 v22, v23, v22, v4
	v_bfe_u32 v4, v18, 20, 1
	v_add_u32_e32 v4, -1, v4
	v_cmp_eq_u64_e32 vcc, v[6:7], v[8:9]
	v_cndmask_b32_e32 v4, 0, v4, vcc
	v_add_u32_e32 v4, v4, v18
	v_and_b32_e32 v4, 0xfffff, v4
	v_add_co_u32_e32 v18, vcc, v4, v18
	v_add_u32_e32 v5, 6, v22
	v_addc_co_u32_e32 v19, vcc, 0, v19, vcc
	v_cmp_ne_u32_e32 vcc, 0, v5
                                        ; implicit-def: $vgpr4
	s_and_saveexec_b64 s[22:23], vcc
	s_xor_b64 s[22:23], exec, s[22:23]
; %bb.308:                              ;   in Loop: Header=BB6_124 Depth=2
	v_add_u32_e32 v4, 7, v22
	v_cmp_lt_u64_e32 vcc, s[48:49], v[18:19]
	v_cndmask_b32_e32 v4, v5, v4, vcc
	v_cndmask_b32_e64 v5, 0, 1, vcc
	v_lshrrev_b64 v[18:19], v5, v[18:19]
; %bb.309:                              ;   in Loop: Header=BB6_124 Depth=2
	s_andn2_saveexec_b64 s[22:23], s[22:23]
; %bb.310:                              ;   in Loop: Header=BB6_124 Depth=2
	v_bfe_u32 v4, v18, 23, 1
; %bb.311:                              ;   in Loop: Header=BB6_124 Depth=2
	s_or_b64 exec, exec, s[22:23]
	v_lshrrev_b64 v[6:7], 20, v[18:19]
	v_cmp_gt_i32_e32 vcc, 16, v4
	v_cndmask_b32_e32 v7, 0, v7, vcc
	v_cndmask_b32_e32 v6, 7, v6, vcc
	v_cmp_eq_u32_e32 vcc, 0, v4
	v_min_i32_e32 v4, 15, v4
	v_lshlrev_b32_e32 v4, 3, v4
	v_cmp_eq_u64_e64 s[22:23], 0, v[6:7]
	v_and_b32_e32 v4, 0xf8, v4
	v_and_or_b32 v4, v6, 7, v4
	s_and_b64 s[22:23], vcc, s[22:23]
	v_cndmask_b32_e64 v4, v4, 0, s[22:23]
	v_or_b32_e32 v23, v4, v2
.LBB6_312:                              ;   in Loop: Header=BB6_124 Depth=2
	s_or_b64 exec, exec, s[60:61]
.LBB6_313:                              ;   in Loop: Header=BB6_124 Depth=2
	s_or_b64 exec, exec, s[58:59]
                                        ; implicit-def: $vgpr4
.LBB6_314:                              ;   in Loop: Header=BB6_124 Depth=2
	s_andn2_saveexec_b64 s[22:23], s[56:57]
; %bb.315:                              ;   in Loop: Header=BB6_124 Depth=2
	v_or_b32_sdwa v2, v4, s76 dst_sel:DWORD dst_unused:UNUSED_PAD src0_sel:BYTE_3 src1_sel:DWORD
	v_cmp_eq_u64_e32 vcc, 0, v[56:57]
	v_cndmask_b32_e32 v23, v2, v23, vcc
; %bb.316:                              ;   in Loop: Header=BB6_124 Depth=2
	s_or_b64 exec, exec, s[22:23]
	v_cmp_ne_u16_sdwa vcc, v24, v57 src0_sel:BYTE_0 src1_sel:DWORD
	v_mov_b32_e32 v2, 0
	v_mov_b32_e32 v4, 0
	s_and_saveexec_b64 s[22:23], vcc
	s_cbranch_execz .LBB6_322
; %bb.317:                              ;   in Loop: Header=BB6_124 Depth=2
	v_cmp_ne_u16_sdwa vcc, v24, s75 src0_sel:BYTE_0 src1_sel:DWORD
	v_bfrev_b32_e32 v4, 1
	s_and_saveexec_b64 s[56:57], vcc
	s_cbranch_execz .LBB6_321
; %bb.318:                              ;   in Loop: Header=BB6_124 Depth=2
	v_and_b32_e32 v5, 0x7f, v24
	v_cmp_ne_u32_e32 vcc, s76, v5
	v_mov_b32_e32 v4, 0x7f800001
	s_and_saveexec_b64 s[58:59], vcc
	s_cbranch_execz .LBB6_320
; %bb.319:                              ;   in Loop: Header=BB6_124 Depth=2
	v_and_b32_e32 v4, 7, v24
	v_ffbh_u32_e32 v4, v4
	v_min_u32_e32 v4, 32, v4
	v_lshrrev_b32_e32 v6, 3, v5
	v_subrev_u32_e32 v7, 28, v4
	v_sub_u32_e32 v4, 29, v4
	v_cmp_gt_u32_e32 vcc, 8, v5
	v_cndmask_b32_e32 v6, v6, v4, vcc
	v_cndmask_b32_e32 v4, 0, v7, vcc
	v_lshlrev_b64 v[4:5], v4, v[24:25]
	v_lshlrev_b32_e32 v4, 20, v4
	v_lshlrev_b32_e32 v5, 24, v24
	v_and_b32_e32 v4, 0x700000, v4
	v_and_b32_e32 v5, 0x80000000, v5
	v_lshl_add_u32 v6, v6, 23, v29
	v_or3_b32 v4, v5, v6, v4
.LBB6_320:                              ;   in Loop: Header=BB6_124 Depth=2
	s_or_b64 exec, exec, s[58:59]
.LBB6_321:                              ;   in Loop: Header=BB6_124 Depth=2
	s_or_b64 exec, exec, s[56:57]
.LBB6_322:                              ;   in Loop: Header=BB6_124 Depth=2
	s_or_b64 exec, exec, s[22:23]
	v_cmp_ne_u16_sdwa vcc, v20, v57 src0_sel:BYTE_0 src1_sel:DWORD
	s_and_saveexec_b64 s[22:23], vcc
	s_cbranch_execz .LBB6_328
; %bb.323:                              ;   in Loop: Header=BB6_124 Depth=2
	v_cmp_ne_u16_sdwa vcc, v20, s75 src0_sel:BYTE_0 src1_sel:DWORD
	v_bfrev_b32_e32 v2, 1
	s_and_saveexec_b64 s[56:57], vcc
	s_cbranch_execz .LBB6_327
; %bb.324:                              ;   in Loop: Header=BB6_124 Depth=2
	v_and_b32_e32 v5, 0x7f, v20
	v_cmp_ne_u32_e32 vcc, s76, v5
	v_mov_b32_e32 v2, 0x7f800001
	s_and_saveexec_b64 s[58:59], vcc
	s_cbranch_execz .LBB6_326
; %bb.325:                              ;   in Loop: Header=BB6_124 Depth=2
	v_and_b32_e32 v2, 7, v20
	v_ffbh_u32_e32 v2, v2
	v_min_u32_e32 v2, 32, v2
	v_subrev_u32_e32 v7, 28, v2
	v_cmp_gt_u32_e32 vcc, 8, v5
	v_lshrrev_b32_e32 v6, 3, v5
	v_sub_u32_e32 v2, 29, v2
	v_cndmask_b32_e32 v5, 0, v7, vcc
	v_cndmask_b32_e32 v2, v6, v2, vcc
	v_lshlrev_b64 v[6:7], v5, v[20:21]
	v_lshlrev_b32_e32 v5, 20, v6
	v_lshlrev_b32_e32 v6, 24, v20
	v_and_b32_e32 v5, 0x700000, v5
	v_and_b32_e32 v6, 0x80000000, v6
	v_lshl_add_u32 v2, v2, 23, v29
	v_or3_b32 v2, v6, v2, v5
.LBB6_326:                              ;   in Loop: Header=BB6_124 Depth=2
	s_or_b64 exec, exec, s[58:59]
.LBB6_327:                              ;   in Loop: Header=BB6_124 Depth=2
	s_or_b64 exec, exec, s[56:57]
.LBB6_328:                              ;   in Loop: Header=BB6_124 Depth=2
	s_or_b64 exec, exec, s[22:23]
	v_add_f32_e32 v4, v4, v2
	v_and_b32_sdwa v2, v4, s75 dst_sel:DWORD dst_unused:UNUSED_PAD src0_sel:BYTE_3 src1_sel:DWORD
	v_and_b32_e32 v6, 0x7f800000, v4
	v_mov_b32_e32 v7, v57
	v_and_b32_e32 v56, 0x7fffff, v4
	v_or_b32_e32 v35, 0x7e, v2
	v_cmp_ne_u64_e32 vcc, s[42:43], v[6:7]
	s_and_saveexec_b64 s[22:23], vcc
	s_xor_b64 s[56:57], exec, s[22:23]
	s_cbranch_execz .LBB6_338
; %bb.329:                              ;   in Loop: Header=BB6_124 Depth=2
	v_and_b32_e32 v6, 0x7fffffff, v4
	v_mov_b32_e32 v7, v57
	v_cmp_gt_u64_e32 vcc, s[44:45], v[6:7]
	s_and_saveexec_b64 s[58:59], vcc
	s_cbranch_execz .LBB6_337
; %bb.330:                              ;   in Loop: Header=BB6_124 Depth=2
	v_cmp_ne_u32_e32 vcc, 0, v4
	v_mov_b32_e32 v35, 0
	s_and_saveexec_b64 s[60:61], vcc
	s_cbranch_execz .LBB6_336
; %bb.331:                              ;   in Loop: Header=BB6_124 Depth=2
	v_bfe_u32 v4, v4, 23, 8
	v_sub_u32_e32 v6, 0x79, v4
	v_cmp_gt_u32_e32 vcc, s77, v4
	v_add_u32_e32 v5, 0xffffff81, v4
	v_cndmask_b32_e32 v6, 0, v6, vcc
	v_cmp_eq_u32_e32 vcc, 0, v4
	v_mov_b32_e32 v4, 0x78
	v_cndmask_b32_e32 v30, v6, v4, vcc
	v_add_u32_e32 v4, 20, v30
	v_or_b32_e32 v7, 0x800000, v56
	v_cndmask_b32_e32 v22, v5, v33, vcc
	v_lshlrev_b64 v[4:5], v4, -1
	v_cndmask_b32_e32 v56, v7, v56, vcc
	v_not_b32_e32 v4, v4
	v_and_b32_e32 v6, v56, v4
	v_add_u32_e32 v4, 19, v30
	v_lshrrev_b64 v[18:19], v30, v[56:57]
	v_not_b32_e32 v5, v5
	v_lshlrev_b64 v[8:9], v4, 1
	v_lshrrev_b32_e32 v4, 23, v18
	v_and_b32_e32 v7, 0, v5
	v_add3_u32 v22, v30, v22, v4
	v_bfe_u32 v4, v18, 20, 1
	v_add_u32_e32 v4, -1, v4
	v_cmp_eq_u64_e32 vcc, v[6:7], v[8:9]
	v_cndmask_b32_e32 v4, 0, v4, vcc
	v_add_u32_e32 v4, v4, v18
	v_and_b32_e32 v4, 0xfffff, v4
	v_add_co_u32_e32 v18, vcc, v4, v18
	v_add_u32_e32 v5, 6, v22
	v_addc_co_u32_e32 v19, vcc, 0, v19, vcc
	v_cmp_ne_u32_e32 vcc, 0, v5
                                        ; implicit-def: $vgpr4
	s_and_saveexec_b64 s[22:23], vcc
	s_xor_b64 s[22:23], exec, s[22:23]
; %bb.332:                              ;   in Loop: Header=BB6_124 Depth=2
	v_add_u32_e32 v4, 7, v22
	v_cmp_lt_u64_e32 vcc, s[48:49], v[18:19]
	v_cndmask_b32_e32 v4, v5, v4, vcc
	v_cndmask_b32_e64 v5, 0, 1, vcc
	v_lshrrev_b64 v[18:19], v5, v[18:19]
; %bb.333:                              ;   in Loop: Header=BB6_124 Depth=2
	s_andn2_saveexec_b64 s[22:23], s[22:23]
; %bb.334:                              ;   in Loop: Header=BB6_124 Depth=2
	v_bfe_u32 v4, v18, 23, 1
; %bb.335:                              ;   in Loop: Header=BB6_124 Depth=2
	s_or_b64 exec, exec, s[22:23]
	v_lshrrev_b64 v[6:7], 20, v[18:19]
	v_cmp_gt_i32_e32 vcc, 16, v4
	v_cndmask_b32_e32 v7, 0, v7, vcc
	v_cndmask_b32_e32 v6, 7, v6, vcc
	v_cmp_eq_u32_e32 vcc, 0, v4
	v_min_i32_e32 v4, 15, v4
	v_cmp_eq_u64_e64 s[22:23], 0, v[6:7]
	v_lshlrev_b32_e32 v4, 3, v4
	v_and_or_b32 v4, v6, 7, v4
	s_and_b64 s[22:23], vcc, s[22:23]
	v_cndmask_b32_e64 v4, v4, 0, s[22:23]
	v_or_b32_e32 v35, v4, v2
.LBB6_336:                              ;   in Loop: Header=BB6_124 Depth=2
	s_or_b64 exec, exec, s[60:61]
.LBB6_337:                              ;   in Loop: Header=BB6_124 Depth=2
	s_or_b64 exec, exec, s[58:59]
                                        ; implicit-def: $vgpr4
.LBB6_338:                              ;   in Loop: Header=BB6_124 Depth=2
	s_andn2_saveexec_b64 s[22:23], s[56:57]
; %bb.339:                              ;   in Loop: Header=BB6_124 Depth=2
	v_or_b32_sdwa v2, v4, s76 dst_sel:DWORD dst_unused:UNUSED_PAD src0_sel:BYTE_3 src1_sel:DWORD
	v_cmp_eq_u64_e32 vcc, 0, v[56:57]
	v_cndmask_b32_e32 v35, v2, v35, vcc
; %bb.340:                              ;   in Loop: Header=BB6_124 Depth=2
	s_or_b64 exec, exec, s[22:23]
	v_lshrrev_b16_e32 v18, 8, v24
	v_cmp_ne_u16_e32 vcc, 0, v18
	v_mov_b32_e32 v2, 0
	v_mov_b32_e32 v4, 0
	s_and_saveexec_b64 s[22:23], vcc
	s_cbranch_execz .LBB6_346
; %bb.341:                              ;   in Loop: Header=BB6_124 Depth=2
	v_cmp_ne_u16_e32 vcc, s75, v18
	v_bfrev_b32_e32 v4, 1
	s_and_saveexec_b64 s[56:57], vcc
	s_cbranch_execz .LBB6_345
; %bb.342:                              ;   in Loop: Header=BB6_124 Depth=2
	v_and_b32_e32 v5, 0x7f, v18
	v_cmp_ne_u32_e32 vcc, s76, v5
	v_mov_b32_e32 v4, 0x7f800001
	s_and_saveexec_b64 s[58:59], vcc
	s_cbranch_execz .LBB6_344
; %bb.343:                              ;   in Loop: Header=BB6_124 Depth=2
	v_and_b32_e32 v4, 7, v18
	v_ffbh_u32_e32 v6, v4
	v_min_u32_e32 v9, 32, v6
	v_subrev_u32_e32 v6, 28, v9
	v_lshlrev_b64 v[6:7], v6, v[18:19]
	v_lshrrev_b32_e32 v8, 3, v5
	v_sub_u32_e32 v7, 29, v9
	v_and_b32_e32 v6, 7, v6
	v_cmp_gt_u32_e32 vcc, 8, v5
	v_cndmask_b32_e32 v5, v8, v7, vcc
	v_cndmask_b32_e32 v4, v4, v6, vcc
	v_lshlrev_b32_e32 v6, 16, v24
	v_lshlrev_b32_e32 v4, 20, v4
	v_and_b32_e32 v6, 0x80000000, v6
	v_lshl_add_u32 v5, v5, 23, v29
	v_or3_b32 v4, v6, v5, v4
.LBB6_344:                              ;   in Loop: Header=BB6_124 Depth=2
	s_or_b64 exec, exec, s[58:59]
.LBB6_345:                              ;   in Loop: Header=BB6_124 Depth=2
	s_or_b64 exec, exec, s[56:57]
.LBB6_346:                              ;   in Loop: Header=BB6_124 Depth=2
	s_or_b64 exec, exec, s[22:23]
	v_lshrrev_b16_e32 v18, 8, v20
	v_cmp_ne_u16_e32 vcc, 0, v18
	s_and_saveexec_b64 s[22:23], vcc
	s_cbranch_execz .LBB6_352
; %bb.347:                              ;   in Loop: Header=BB6_124 Depth=2
	v_cmp_ne_u16_e32 vcc, s75, v18
	v_bfrev_b32_e32 v2, 1
	s_and_saveexec_b64 s[56:57], vcc
	s_cbranch_execz .LBB6_351
; %bb.348:                              ;   in Loop: Header=BB6_124 Depth=2
	v_and_b32_e32 v5, 0x7f, v18
	v_cmp_ne_u32_e32 vcc, s76, v5
	v_mov_b32_e32 v2, 0x7f800001
	s_and_saveexec_b64 s[58:59], vcc
	s_cbranch_execz .LBB6_350
; %bb.349:                              ;   in Loop: Header=BB6_124 Depth=2
	v_and_b32_e32 v2, 7, v18
	v_ffbh_u32_e32 v6, v2
	v_min_u32_e32 v9, 32, v6
	v_subrev_u32_e32 v6, 28, v9
	v_lshlrev_b64 v[6:7], v6, v[18:19]
	v_lshrrev_b32_e32 v8, 3, v5
	v_sub_u32_e32 v7, 29, v9
	v_and_b32_e32 v6, 7, v6
	v_cmp_gt_u32_e32 vcc, 8, v5
	v_cndmask_b32_e32 v5, v8, v7, vcc
	v_cndmask_b32_e32 v2, v2, v6, vcc
	v_lshlrev_b32_e32 v6, 16, v20
	v_lshlrev_b32_e32 v2, 20, v2
	v_and_b32_e32 v6, 0x80000000, v6
	v_lshl_add_u32 v5, v5, 23, v29
	v_or3_b32 v2, v6, v5, v2
.LBB6_350:                              ;   in Loop: Header=BB6_124 Depth=2
	s_or_b64 exec, exec, s[58:59]
.LBB6_351:                              ;   in Loop: Header=BB6_124 Depth=2
	s_or_b64 exec, exec, s[56:57]
.LBB6_352:                              ;   in Loop: Header=BB6_124 Depth=2
	s_or_b64 exec, exec, s[22:23]
	v_add_f32_e32 v4, v4, v2
	v_and_b32_sdwa v2, v4, s75 dst_sel:DWORD dst_unused:UNUSED_PAD src0_sel:BYTE_3 src1_sel:DWORD
	v_and_b32_e32 v6, 0x7f800000, v4
	v_mov_b32_e32 v7, v57
	v_and_b32_e32 v56, 0x7fffff, v4
	v_or_b32_e32 v54, 0x7e, v2
	v_cmp_ne_u64_e32 vcc, s[42:43], v[6:7]
	s_and_saveexec_b64 s[22:23], vcc
	s_xor_b64 s[56:57], exec, s[22:23]
	s_cbranch_execz .LBB6_362
; %bb.353:                              ;   in Loop: Header=BB6_124 Depth=2
	v_and_b32_e32 v6, 0x7fffffff, v4
	v_mov_b32_e32 v7, v57
	v_cmp_gt_u64_e32 vcc, s[44:45], v[6:7]
	s_and_saveexec_b64 s[58:59], vcc
	s_cbranch_execz .LBB6_361
; %bb.354:                              ;   in Loop: Header=BB6_124 Depth=2
	v_cmp_ne_u32_e32 vcc, 0, v4
	v_mov_b32_e32 v54, 0
	s_and_saveexec_b64 s[60:61], vcc
	s_cbranch_execz .LBB6_360
; %bb.355:                              ;   in Loop: Header=BB6_124 Depth=2
	v_bfe_u32 v4, v4, 23, 8
	v_sub_u32_e32 v6, 0x79, v4
	v_cmp_gt_u32_e32 vcc, s77, v4
	v_add_u32_e32 v5, 0xffffff81, v4
	v_cndmask_b32_e32 v6, 0, v6, vcc
	v_cmp_eq_u32_e32 vcc, 0, v4
	v_mov_b32_e32 v4, 0x78
	v_cndmask_b32_e32 v30, v6, v4, vcc
	v_add_u32_e32 v4, 20, v30
	v_or_b32_e32 v7, 0x800000, v56
	v_cndmask_b32_e32 v22, v5, v33, vcc
	v_lshlrev_b64 v[4:5], v4, -1
	v_cndmask_b32_e32 v56, v7, v56, vcc
	v_not_b32_e32 v4, v4
	v_and_b32_e32 v6, v56, v4
	v_add_u32_e32 v4, 19, v30
	v_lshrrev_b64 v[18:19], v30, v[56:57]
	v_not_b32_e32 v5, v5
	v_lshlrev_b64 v[8:9], v4, 1
	v_lshrrev_b32_e32 v4, 23, v18
	v_and_b32_e32 v7, 0, v5
	v_add3_u32 v22, v30, v22, v4
	v_bfe_u32 v4, v18, 20, 1
	v_add_u32_e32 v4, -1, v4
	v_cmp_eq_u64_e32 vcc, v[6:7], v[8:9]
	v_cndmask_b32_e32 v4, 0, v4, vcc
	v_add_u32_e32 v4, v4, v18
	v_and_b32_e32 v4, 0xfffff, v4
	v_add_co_u32_e32 v18, vcc, v4, v18
	v_add_u32_e32 v5, 6, v22
	v_addc_co_u32_e32 v19, vcc, 0, v19, vcc
	v_cmp_ne_u32_e32 vcc, 0, v5
                                        ; implicit-def: $vgpr4
	s_and_saveexec_b64 s[22:23], vcc
	s_xor_b64 s[22:23], exec, s[22:23]
; %bb.356:                              ;   in Loop: Header=BB6_124 Depth=2
	v_add_u32_e32 v4, 7, v22
	v_cmp_lt_u64_e32 vcc, s[48:49], v[18:19]
	v_cndmask_b32_e32 v4, v5, v4, vcc
	v_cndmask_b32_e64 v5, 0, 1, vcc
	v_lshrrev_b64 v[18:19], v5, v[18:19]
; %bb.357:                              ;   in Loop: Header=BB6_124 Depth=2
	s_andn2_saveexec_b64 s[22:23], s[22:23]
; %bb.358:                              ;   in Loop: Header=BB6_124 Depth=2
	v_bfe_u32 v4, v18, 23, 1
; %bb.359:                              ;   in Loop: Header=BB6_124 Depth=2
	s_or_b64 exec, exec, s[22:23]
	v_lshrrev_b64 v[6:7], 20, v[18:19]
	v_cmp_gt_i32_e32 vcc, 16, v4
	v_cndmask_b32_e32 v7, 0, v7, vcc
	v_cndmask_b32_e32 v6, 7, v6, vcc
	v_cmp_eq_u32_e32 vcc, 0, v4
	v_min_i32_e32 v4, 15, v4
	v_cmp_eq_u64_e64 s[22:23], 0, v[6:7]
	v_lshlrev_b32_e32 v4, 3, v4
	v_and_or_b32 v4, v6, 7, v4
	s_and_b64 s[22:23], vcc, s[22:23]
	v_cndmask_b32_e64 v4, v4, 0, s[22:23]
	v_or_b32_e32 v54, v4, v2
.LBB6_360:                              ;   in Loop: Header=BB6_124 Depth=2
	s_or_b64 exec, exec, s[60:61]
.LBB6_361:                              ;   in Loop: Header=BB6_124 Depth=2
	s_or_b64 exec, exec, s[58:59]
                                        ; implicit-def: $vgpr4
.LBB6_362:                              ;   in Loop: Header=BB6_124 Depth=2
	s_andn2_saveexec_b64 s[22:23], s[56:57]
; %bb.363:                              ;   in Loop: Header=BB6_124 Depth=2
	v_or_b32_sdwa v2, v4, s76 dst_sel:DWORD dst_unused:UNUSED_PAD src0_sel:BYTE_3 src1_sel:DWORD
	v_cmp_eq_u64_e32 vcc, 0, v[56:57]
	v_cndmask_b32_e32 v54, v2, v54, vcc
; %bb.364:                              ;   in Loop: Header=BB6_124 Depth=2
	s_or_b64 exec, exec, s[22:23]
	v_lshrrev_b32_e32 v18, 16, v24
	v_cmp_ne_u16_sdwa vcc, v18, v57 src0_sel:BYTE_0 src1_sel:DWORD
	v_mov_b32_e32 v2, 0
	v_mov_b32_e32 v4, 0
	s_and_saveexec_b64 s[22:23], vcc
	s_cbranch_execz .LBB6_370
; %bb.365:                              ;   in Loop: Header=BB6_124 Depth=2
	v_cmp_ne_u16_sdwa vcc, v18, s75 src0_sel:BYTE_0 src1_sel:DWORD
	v_bfrev_b32_e32 v4, 1
	s_and_saveexec_b64 s[56:57], vcc
	s_cbranch_execz .LBB6_369
; %bb.366:                              ;   in Loop: Header=BB6_124 Depth=2
	v_bfe_u32 v5, v24, 16, 7
	v_cmp_ne_u32_e32 vcc, s76, v5
	v_mov_b32_e32 v4, 0x7f800001
	s_and_saveexec_b64 s[58:59], vcc
	s_cbranch_execz .LBB6_368
; %bb.367:                              ;   in Loop: Header=BB6_124 Depth=2
	v_and_b32_e32 v4, 7, v18
	v_ffbh_u32_e32 v6, v4
	v_min_u32_e32 v9, 32, v6
	v_subrev_u32_e32 v6, 28, v9
	v_lshlrev_b64 v[6:7], v6, v[18:19]
	v_lshrrev_b32_e32 v8, 3, v5
	v_sub_u32_e32 v7, 29, v9
	v_and_b32_e32 v6, 7, v6
	v_cmp_gt_u32_e32 vcc, 8, v5
	v_cndmask_b32_e32 v5, v8, v7, vcc
	v_cndmask_b32_e32 v4, v4, v6, vcc
	v_lshlrev_b32_e32 v6, 24, v18
	v_lshlrev_b32_e32 v4, 20, v4
	v_and_b32_e32 v6, 0x80000000, v6
	v_lshl_add_u32 v5, v5, 23, v29
	v_or3_b32 v4, v6, v5, v4
.LBB6_368:                              ;   in Loop: Header=BB6_124 Depth=2
	s_or_b64 exec, exec, s[58:59]
.LBB6_369:                              ;   in Loop: Header=BB6_124 Depth=2
	s_or_b64 exec, exec, s[56:57]
.LBB6_370:                              ;   in Loop: Header=BB6_124 Depth=2
	s_or_b64 exec, exec, s[22:23]
	v_lshrrev_b32_e32 v18, 16, v20
	v_cmp_ne_u16_sdwa vcc, v18, v57 src0_sel:BYTE_0 src1_sel:DWORD
	s_and_saveexec_b64 s[22:23], vcc
	s_cbranch_execz .LBB6_376
; %bb.371:                              ;   in Loop: Header=BB6_124 Depth=2
	v_cmp_ne_u16_sdwa vcc, v18, s75 src0_sel:BYTE_0 src1_sel:DWORD
	v_bfrev_b32_e32 v2, 1
	s_and_saveexec_b64 s[56:57], vcc
	s_cbranch_execz .LBB6_375
; %bb.372:                              ;   in Loop: Header=BB6_124 Depth=2
	v_bfe_u32 v5, v20, 16, 7
	v_cmp_ne_u32_e32 vcc, s76, v5
	v_mov_b32_e32 v2, 0x7f800001
	s_and_saveexec_b64 s[58:59], vcc
	s_cbranch_execz .LBB6_374
; %bb.373:                              ;   in Loop: Header=BB6_124 Depth=2
	v_and_b32_e32 v2, 7, v18
	v_ffbh_u32_e32 v6, v2
	v_min_u32_e32 v9, 32, v6
	v_subrev_u32_e32 v6, 28, v9
	v_lshlrev_b64 v[6:7], v6, v[18:19]
	v_lshrrev_b32_e32 v8, 3, v5
	v_sub_u32_e32 v7, 29, v9
	v_and_b32_e32 v6, 7, v6
	v_cmp_gt_u32_e32 vcc, 8, v5
	v_cndmask_b32_e32 v5, v8, v7, vcc
	v_cndmask_b32_e32 v2, v2, v6, vcc
	v_lshlrev_b32_e32 v6, 8, v20
	v_lshlrev_b32_e32 v2, 20, v2
	v_and_b32_e32 v6, 0x80000000, v6
	v_lshl_add_u32 v5, v5, 23, v29
	v_or3_b32 v2, v6, v5, v2
.LBB6_374:                              ;   in Loop: Header=BB6_124 Depth=2
	s_or_b64 exec, exec, s[58:59]
.LBB6_375:                              ;   in Loop: Header=BB6_124 Depth=2
	s_or_b64 exec, exec, s[56:57]
.LBB6_376:                              ;   in Loop: Header=BB6_124 Depth=2
	s_or_b64 exec, exec, s[22:23]
	v_add_f32_e32 v4, v4, v2
	v_and_b32_sdwa v2, v4, s75 dst_sel:DWORD dst_unused:UNUSED_PAD src0_sel:BYTE_3 src1_sel:DWORD
	v_and_b32_e32 v6, 0x7f800000, v4
	v_mov_b32_e32 v7, v57
	v_and_b32_e32 v56, 0x7fffff, v4
	v_or_b32_e32 v55, 0x7e, v2
	v_cmp_ne_u64_e32 vcc, s[42:43], v[6:7]
	s_and_saveexec_b64 s[22:23], vcc
	s_xor_b64 s[56:57], exec, s[22:23]
	s_cbranch_execz .LBB6_386
; %bb.377:                              ;   in Loop: Header=BB6_124 Depth=2
	v_and_b32_e32 v6, 0x7fffffff, v4
	v_mov_b32_e32 v7, v57
	v_cmp_gt_u64_e32 vcc, s[44:45], v[6:7]
	s_and_saveexec_b64 s[58:59], vcc
	s_cbranch_execz .LBB6_385
; %bb.378:                              ;   in Loop: Header=BB6_124 Depth=2
	v_cmp_ne_u32_e32 vcc, 0, v4
	v_mov_b32_e32 v55, 0
	s_and_saveexec_b64 s[60:61], vcc
	s_cbranch_execz .LBB6_384
; %bb.379:                              ;   in Loop: Header=BB6_124 Depth=2
	v_bfe_u32 v4, v4, 23, 8
	v_sub_u32_e32 v6, 0x79, v4
	v_cmp_gt_u32_e32 vcc, s77, v4
	v_add_u32_e32 v5, 0xffffff81, v4
	v_cndmask_b32_e32 v6, 0, v6, vcc
	v_cmp_eq_u32_e32 vcc, 0, v4
	v_mov_b32_e32 v4, 0x78
	v_cndmask_b32_e32 v30, v6, v4, vcc
	v_add_u32_e32 v4, 20, v30
	v_or_b32_e32 v7, 0x800000, v56
	v_cndmask_b32_e32 v22, v5, v33, vcc
	v_lshlrev_b64 v[4:5], v4, -1
	v_cndmask_b32_e32 v56, v7, v56, vcc
	v_not_b32_e32 v4, v4
	v_and_b32_e32 v6, v56, v4
	v_add_u32_e32 v4, 19, v30
	v_lshrrev_b64 v[18:19], v30, v[56:57]
	v_not_b32_e32 v5, v5
	v_lshlrev_b64 v[8:9], v4, 1
	v_lshrrev_b32_e32 v4, 23, v18
	v_and_b32_e32 v7, 0, v5
	v_add3_u32 v22, v30, v22, v4
	v_bfe_u32 v4, v18, 20, 1
	v_add_u32_e32 v4, -1, v4
	v_cmp_eq_u64_e32 vcc, v[6:7], v[8:9]
	v_cndmask_b32_e32 v4, 0, v4, vcc
	v_add_u32_e32 v4, v4, v18
	v_and_b32_e32 v4, 0xfffff, v4
	v_add_co_u32_e32 v18, vcc, v4, v18
	v_add_u32_e32 v5, 6, v22
	v_addc_co_u32_e32 v19, vcc, 0, v19, vcc
	v_cmp_ne_u32_e32 vcc, 0, v5
                                        ; implicit-def: $vgpr4
	s_and_saveexec_b64 s[22:23], vcc
	s_xor_b64 s[22:23], exec, s[22:23]
; %bb.380:                              ;   in Loop: Header=BB6_124 Depth=2
	v_add_u32_e32 v4, 7, v22
	v_cmp_lt_u64_e32 vcc, s[48:49], v[18:19]
	v_cndmask_b32_e32 v4, v5, v4, vcc
	v_cndmask_b32_e64 v5, 0, 1, vcc
	v_lshrrev_b64 v[18:19], v5, v[18:19]
; %bb.381:                              ;   in Loop: Header=BB6_124 Depth=2
	s_andn2_saveexec_b64 s[22:23], s[22:23]
; %bb.382:                              ;   in Loop: Header=BB6_124 Depth=2
	v_bfe_u32 v4, v18, 23, 1
; %bb.383:                              ;   in Loop: Header=BB6_124 Depth=2
	s_or_b64 exec, exec, s[22:23]
	v_lshrrev_b64 v[6:7], 20, v[18:19]
	v_cmp_gt_i32_e32 vcc, 16, v4
	v_cndmask_b32_e32 v7, 0, v7, vcc
	v_cndmask_b32_e32 v6, 7, v6, vcc
	v_cmp_eq_u32_e32 vcc, 0, v4
	v_min_i32_e32 v4, 15, v4
	v_cmp_eq_u64_e64 s[22:23], 0, v[6:7]
	v_lshlrev_b32_e32 v4, 3, v4
	v_and_or_b32 v4, v6, 7, v4
	s_and_b64 s[22:23], vcc, s[22:23]
	v_cndmask_b32_e64 v4, v4, 0, s[22:23]
	v_or_b32_e32 v55, v4, v2
.LBB6_384:                              ;   in Loop: Header=BB6_124 Depth=2
	s_or_b64 exec, exec, s[60:61]
.LBB6_385:                              ;   in Loop: Header=BB6_124 Depth=2
	s_or_b64 exec, exec, s[58:59]
                                        ; implicit-def: $vgpr4
.LBB6_386:                              ;   in Loop: Header=BB6_124 Depth=2
	s_andn2_saveexec_b64 s[22:23], s[56:57]
; %bb.387:                              ;   in Loop: Header=BB6_124 Depth=2
	v_or_b32_sdwa v2, v4, s76 dst_sel:DWORD dst_unused:UNUSED_PAD src0_sel:BYTE_3 src1_sel:DWORD
	v_cmp_eq_u64_e32 vcc, 0, v[56:57]
	v_cndmask_b32_e32 v55, v2, v55, vcc
; %bb.388:                              ;   in Loop: Header=BB6_124 Depth=2
	s_or_b64 exec, exec, s[22:23]
	v_cmp_lt_u32_e32 vcc, s47, v24
	v_mov_b32_e32 v2, 0
	v_mov_b32_e32 v4, 0
	s_and_saveexec_b64 s[22:23], vcc
	s_cbranch_execz .LBB6_394
; %bb.389:                              ;   in Loop: Header=BB6_124 Depth=2
	v_lshrrev_b32_e32 v18, 24, v24
	v_cmp_ne_u32_e32 vcc, s75, v18
	v_bfrev_b32_e32 v4, 1
	s_and_saveexec_b64 s[56:57], vcc
	s_cbranch_execz .LBB6_393
; %bb.390:                              ;   in Loop: Header=BB6_124 Depth=2
	v_bfe_u32 v5, v24, 24, 7
	v_cmp_ne_u32_e32 vcc, s76, v5
	v_mov_b32_e32 v4, 0x7f800001
	s_and_saveexec_b64 s[58:59], vcc
	s_cbranch_execz .LBB6_392
; %bb.391:                              ;   in Loop: Header=BB6_124 Depth=2
	v_and_b32_e32 v4, 7, v18
	v_ffbh_u32_e32 v6, v4
	v_min_u32_e32 v9, 32, v6
	v_subrev_u32_e32 v6, 28, v9
	v_lshlrev_b64 v[6:7], v6, v[18:19]
	v_lshrrev_b32_e32 v8, 3, v5
	v_sub_u32_e32 v7, 29, v9
	v_and_b32_e32 v6, 7, v6
	v_cmp_gt_u32_e32 vcc, 8, v5
	v_cndmask_b32_e32 v5, v8, v7, vcc
	v_cndmask_b32_e32 v4, v4, v6, vcc
	v_lshlrev_b32_e32 v6, 24, v18
	v_lshlrev_b32_e32 v4, 20, v4
	v_and_b32_e32 v6, 0x80000000, v6
	v_lshl_add_u32 v5, v5, 23, v29
	v_or3_b32 v4, v6, v5, v4
.LBB6_392:                              ;   in Loop: Header=BB6_124 Depth=2
	s_or_b64 exec, exec, s[58:59]
.LBB6_393:                              ;   in Loop: Header=BB6_124 Depth=2
	s_or_b64 exec, exec, s[56:57]
.LBB6_394:                              ;   in Loop: Header=BB6_124 Depth=2
	s_or_b64 exec, exec, s[22:23]
	v_cmp_lt_u32_e32 vcc, s47, v20
	s_and_saveexec_b64 s[22:23], vcc
	s_cbranch_execz .LBB6_400
; %bb.395:                              ;   in Loop: Header=BB6_124 Depth=2
	v_lshrrev_b32_e32 v18, 24, v20
	v_cmp_ne_u32_e32 vcc, s75, v18
	v_bfrev_b32_e32 v2, 1
	s_and_saveexec_b64 s[56:57], vcc
	s_cbranch_execz .LBB6_399
; %bb.396:                              ;   in Loop: Header=BB6_124 Depth=2
	v_bfe_u32 v5, v20, 24, 7
	v_cmp_ne_u32_e32 vcc, s76, v5
	v_mov_b32_e32 v2, 0x7f800001
	s_and_saveexec_b64 s[58:59], vcc
	s_cbranch_execz .LBB6_398
; %bb.397:                              ;   in Loop: Header=BB6_124 Depth=2
	v_and_b32_e32 v2, 7, v18
	v_ffbh_u32_e32 v6, v2
	v_min_u32_e32 v9, 32, v6
	v_subrev_u32_e32 v6, 28, v9
	v_lshlrev_b64 v[6:7], v6, v[18:19]
	v_lshrrev_b32_e32 v8, 3, v5
	v_sub_u32_e32 v7, 29, v9
	v_and_b32_e32 v6, 7, v6
	v_cmp_gt_u32_e32 vcc, 8, v5
	v_cndmask_b32_e32 v5, v8, v7, vcc
	v_cndmask_b32_e32 v2, v2, v6, vcc
	v_lshlrev_b32_e32 v6, 24, v18
	v_lshlrev_b32_e32 v2, 20, v2
	v_and_b32_e32 v6, 0x80000000, v6
	v_lshl_add_u32 v5, v5, 23, v29
	v_or3_b32 v2, v6, v5, v2
.LBB6_398:                              ;   in Loop: Header=BB6_124 Depth=2
	s_or_b64 exec, exec, s[58:59]
.LBB6_399:                              ;   in Loop: Header=BB6_124 Depth=2
	s_or_b64 exec, exec, s[56:57]
.LBB6_400:                              ;   in Loop: Header=BB6_124 Depth=2
	s_or_b64 exec, exec, s[22:23]
	v_add_f32_e32 v4, v4, v2
	v_and_b32_sdwa v2, v4, s75 dst_sel:DWORD dst_unused:UNUSED_PAD src0_sel:BYTE_3 src1_sel:DWORD
	v_and_b32_e32 v6, 0x7f800000, v4
	v_mov_b32_e32 v7, v57
	v_and_b32_e32 v56, 0x7fffff, v4
	v_or_b32_e32 v42, 0x7e, v2
	v_cmp_ne_u64_e32 vcc, s[42:43], v[6:7]
	s_and_saveexec_b64 s[22:23], vcc
	s_xor_b64 s[56:57], exec, s[22:23]
	s_cbranch_execz .LBB6_410
; %bb.401:                              ;   in Loop: Header=BB6_124 Depth=2
	v_and_b32_e32 v6, 0x7fffffff, v4
	v_mov_b32_e32 v7, v57
	v_cmp_gt_u64_e32 vcc, s[44:45], v[6:7]
	s_and_saveexec_b64 s[58:59], vcc
	s_cbranch_execz .LBB6_409
; %bb.402:                              ;   in Loop: Header=BB6_124 Depth=2
	v_cmp_ne_u32_e32 vcc, 0, v4
	v_mov_b32_e32 v42, 0
	s_and_saveexec_b64 s[60:61], vcc
	s_cbranch_execz .LBB6_408
; %bb.403:                              ;   in Loop: Header=BB6_124 Depth=2
	v_bfe_u32 v4, v4, 23, 8
	v_sub_u32_e32 v6, 0x79, v4
	v_cmp_gt_u32_e32 vcc, s77, v4
	v_add_u32_e32 v5, 0xffffff81, v4
	v_cndmask_b32_e32 v6, 0, v6, vcc
	v_cmp_eq_u32_e32 vcc, 0, v4
	v_mov_b32_e32 v4, 0x78
	v_cndmask_b32_e32 v30, v6, v4, vcc
	v_add_u32_e32 v4, 20, v30
	v_or_b32_e32 v7, 0x800000, v56
	v_cndmask_b32_e32 v22, v5, v33, vcc
	v_lshlrev_b64 v[4:5], v4, -1
	v_cndmask_b32_e32 v56, v7, v56, vcc
	v_not_b32_e32 v4, v4
	v_and_b32_e32 v6, v56, v4
	v_add_u32_e32 v4, 19, v30
	v_lshrrev_b64 v[18:19], v30, v[56:57]
	v_not_b32_e32 v5, v5
	v_lshlrev_b64 v[8:9], v4, 1
	v_lshrrev_b32_e32 v4, 23, v18
	v_and_b32_e32 v7, 0, v5
	v_add3_u32 v22, v30, v22, v4
	v_bfe_u32 v4, v18, 20, 1
	v_add_u32_e32 v4, -1, v4
	v_cmp_eq_u64_e32 vcc, v[6:7], v[8:9]
	v_cndmask_b32_e32 v4, 0, v4, vcc
	v_add_u32_e32 v4, v4, v18
	v_and_b32_e32 v4, 0xfffff, v4
	v_add_co_u32_e32 v18, vcc, v4, v18
	v_add_u32_e32 v5, 6, v22
	v_addc_co_u32_e32 v19, vcc, 0, v19, vcc
	v_cmp_ne_u32_e32 vcc, 0, v5
                                        ; implicit-def: $vgpr4
	s_and_saveexec_b64 s[22:23], vcc
	s_xor_b64 s[22:23], exec, s[22:23]
; %bb.404:                              ;   in Loop: Header=BB6_124 Depth=2
	v_add_u32_e32 v4, 7, v22
	v_cmp_lt_u64_e32 vcc, s[48:49], v[18:19]
	v_cndmask_b32_e32 v4, v5, v4, vcc
	v_cndmask_b32_e64 v5, 0, 1, vcc
	v_lshrrev_b64 v[18:19], v5, v[18:19]
; %bb.405:                              ;   in Loop: Header=BB6_124 Depth=2
	s_andn2_saveexec_b64 s[22:23], s[22:23]
; %bb.406:                              ;   in Loop: Header=BB6_124 Depth=2
	v_bfe_u32 v4, v18, 23, 1
; %bb.407:                              ;   in Loop: Header=BB6_124 Depth=2
	s_or_b64 exec, exec, s[22:23]
	v_lshrrev_b64 v[6:7], 20, v[18:19]
	v_cmp_gt_i32_e32 vcc, 16, v4
	v_cndmask_b32_e32 v7, 0, v7, vcc
	v_cndmask_b32_e32 v6, 7, v6, vcc
	v_cmp_eq_u32_e32 vcc, 0, v4
	v_min_i32_e32 v4, 15, v4
	v_cmp_eq_u64_e64 s[22:23], 0, v[6:7]
	v_lshlrev_b32_e32 v4, 3, v4
	v_and_or_b32 v4, v6, 7, v4
	s_and_b64 s[22:23], vcc, s[22:23]
	v_cndmask_b32_e64 v4, v4, 0, s[22:23]
	v_or_b32_e32 v42, v4, v2
.LBB6_408:                              ;   in Loop: Header=BB6_124 Depth=2
	s_or_b64 exec, exec, s[60:61]
.LBB6_409:                              ;   in Loop: Header=BB6_124 Depth=2
	s_or_b64 exec, exec, s[58:59]
                                        ; implicit-def: $vgpr4
.LBB6_410:                              ;   in Loop: Header=BB6_124 Depth=2
	s_andn2_saveexec_b64 s[22:23], s[56:57]
; %bb.411:                              ;   in Loop: Header=BB6_124 Depth=2
	v_or_b32_sdwa v2, v4, s76 dst_sel:DWORD dst_unused:UNUSED_PAD src0_sel:BYTE_3 src1_sel:DWORD
	v_cmp_eq_u64_e32 vcc, 0, v[56:57]
	v_cndmask_b32_e32 v42, v2, v42, vcc
; %bb.412:                              ;   in Loop: Header=BB6_124 Depth=2
	s_or_b64 exec, exec, s[22:23]
	v_mov_b32_e32 v56, v25
	v_cmp_ne_u16_sdwa vcc, v25, v57 src0_sel:BYTE_0 src1_sel:DWORD
	v_mov_b32_e32 v4, 0
	v_mov_b32_e32 v2, 0
	s_and_saveexec_b64 s[22:23], vcc
	s_cbranch_execz .LBB6_418
; %bb.413:                              ;   in Loop: Header=BB6_124 Depth=2
	v_cmp_ne_u16_sdwa vcc, v25, s75 src0_sel:BYTE_0 src1_sel:DWORD
	v_bfrev_b32_e32 v2, 1
	s_and_saveexec_b64 s[56:57], vcc
	s_cbranch_execz .LBB6_417
; %bb.414:                              ;   in Loop: Header=BB6_124 Depth=2
	v_and_b32_e32 v5, 0x7f, v25
	v_cmp_ne_u32_e32 vcc, s76, v5
	v_mov_b32_e32 v2, 0x7f800001
	s_and_saveexec_b64 s[58:59], vcc
	s_cbranch_execz .LBB6_416
; %bb.415:                              ;   in Loop: Header=BB6_124 Depth=2
	v_and_b32_e32 v2, 7, v25
	v_ffbh_u32_e32 v2, v2
	v_min_u32_e32 v2, 32, v2
	v_subrev_u32_e32 v7, 28, v2
	v_cmp_gt_u32_e32 vcc, 8, v5
	v_lshrrev_b32_e32 v6, 3, v5
	v_sub_u32_e32 v2, 29, v2
	v_cndmask_b32_e32 v5, 0, v7, vcc
	v_cndmask_b32_e32 v2, v6, v2, vcc
	v_lshlrev_b64 v[6:7], v5, v[56:57]
	v_lshlrev_b32_e32 v5, 20, v6
	v_lshlrev_b32_e32 v6, 24, v56
	v_and_b32_e32 v5, 0x700000, v5
	v_and_b32_e32 v6, 0x80000000, v6
	v_lshl_add_u32 v2, v2, 23, v29
	v_or3_b32 v2, v6, v2, v5
.LBB6_416:                              ;   in Loop: Header=BB6_124 Depth=2
	s_or_b64 exec, exec, s[58:59]
.LBB6_417:                              ;   in Loop: Header=BB6_124 Depth=2
	s_or_b64 exec, exec, s[56:57]
.LBB6_418:                              ;   in Loop: Header=BB6_124 Depth=2
	s_or_b64 exec, exec, s[22:23]
	v_cmp_ne_u16_sdwa vcc, v21, v57 src0_sel:BYTE_0 src1_sel:DWORD
	s_and_saveexec_b64 s[22:23], vcc
	s_cbranch_execz .LBB6_424
; %bb.419:                              ;   in Loop: Header=BB6_124 Depth=2
	v_cmp_ne_u16_sdwa vcc, v21, s75 src0_sel:BYTE_0 src1_sel:DWORD
	v_bfrev_b32_e32 v4, 1
	s_and_saveexec_b64 s[56:57], vcc
	s_cbranch_execz .LBB6_423
; %bb.420:                              ;   in Loop: Header=BB6_124 Depth=2
	v_and_b32_e32 v5, 0x7f, v21
	v_cmp_ne_u32_e32 vcc, s76, v5
	v_mov_b32_e32 v4, 0x7f800001
	s_and_saveexec_b64 s[58:59], vcc
	s_cbranch_execz .LBB6_422
; %bb.421:                              ;   in Loop: Header=BB6_124 Depth=2
	v_and_b32_e32 v4, 7, v21
	v_ffbh_u32_e32 v4, v4
	v_min_u32_e32 v4, 32, v4
	v_lshrrev_b32_e32 v8, 3, v5
	v_subrev_u32_e32 v9, 28, v4
	v_sub_u32_e32 v4, 29, v4
	v_cmp_gt_u32_e32 vcc, 8, v5
	v_mov_b32_e32 v6, v21
	v_mov_b32_e32 v7, v57
	v_cndmask_b32_e32 v8, v8, v4, vcc
	v_cndmask_b32_e32 v4, 0, v9, vcc
	v_lshlrev_b64 v[4:5], v4, v[6:7]
	v_lshlrev_b32_e32 v4, 20, v4
	v_lshlrev_b32_e32 v5, 24, v6
	v_and_b32_e32 v4, 0x700000, v4
	v_and_b32_e32 v5, 0x80000000, v5
	v_lshl_add_u32 v6, v8, 23, v29
	v_or3_b32 v4, v5, v6, v4
.LBB6_422:                              ;   in Loop: Header=BB6_124 Depth=2
	s_or_b64 exec, exec, s[58:59]
.LBB6_423:                              ;   in Loop: Header=BB6_124 Depth=2
	s_or_b64 exec, exec, s[56:57]
.LBB6_424:                              ;   in Loop: Header=BB6_124 Depth=2
	s_or_b64 exec, exec, s[22:23]
	v_add_f32_e32 v4, v2, v4
	v_and_b32_sdwa v2, v4, s75 dst_sel:DWORD dst_unused:UNUSED_PAD src0_sel:BYTE_3 src1_sel:DWORD
	v_and_b32_e32 v6, 0x7f800000, v4
	v_mov_b32_e32 v7, v57
	v_and_b32_e32 v18, 0x7fffff, v4
	v_mov_b32_e32 v19, v57
	v_or_b32_e32 v52, 0x7e, v2
	v_cmp_ne_u64_e32 vcc, s[42:43], v[6:7]
	s_and_saveexec_b64 s[22:23], vcc
	s_xor_b64 s[56:57], exec, s[22:23]
	s_cbranch_execz .LBB6_434
; %bb.425:                              ;   in Loop: Header=BB6_124 Depth=2
	v_and_b32_e32 v6, 0x7fffffff, v4
	v_mov_b32_e32 v7, v57
	v_cmp_gt_u64_e32 vcc, s[44:45], v[6:7]
	s_and_saveexec_b64 s[58:59], vcc
	s_cbranch_execz .LBB6_433
; %bb.426:                              ;   in Loop: Header=BB6_124 Depth=2
	v_cmp_ne_u32_e32 vcc, 0, v4
	v_mov_b32_e32 v52, 0
	s_and_saveexec_b64 s[60:61], vcc
	s_cbranch_execz .LBB6_432
; %bb.427:                              ;   in Loop: Header=BB6_124 Depth=2
	v_bfe_u32 v4, v4, 23, 8
	v_sub_u32_e32 v6, 0x79, v4
	v_cmp_gt_u32_e32 vcc, s77, v4
	v_add_u32_e32 v5, 0xffffff81, v4
	v_cndmask_b32_e32 v6, 0, v6, vcc
	v_cmp_eq_u32_e32 vcc, 0, v4
	v_mov_b32_e32 v4, 0x78
	v_cndmask_b32_e32 v30, v6, v4, vcc
	v_add_u32_e32 v4, 20, v30
	v_or_b32_e32 v7, 0x800000, v18
	v_cndmask_b32_e32 v22, v5, v33, vcc
	v_lshlrev_b64 v[4:5], v4, -1
	v_cndmask_b32_e32 v18, v7, v18, vcc
	v_not_b32_e32 v4, v4
	v_and_b32_e32 v6, v18, v4
	v_add_u32_e32 v4, 19, v30
	v_lshrrev_b64 v[18:19], v30, v[18:19]
	v_not_b32_e32 v5, v5
	v_lshlrev_b64 v[8:9], v4, 1
	v_lshrrev_b32_e32 v4, 23, v18
	v_and_b32_e32 v7, 0, v5
	v_add3_u32 v22, v30, v22, v4
	v_bfe_u32 v4, v18, 20, 1
	v_add_u32_e32 v4, -1, v4
	v_cmp_eq_u64_e32 vcc, v[6:7], v[8:9]
	v_cndmask_b32_e32 v4, 0, v4, vcc
	v_add_u32_e32 v4, v4, v18
	v_and_b32_e32 v4, 0xfffff, v4
	v_add_co_u32_e32 v18, vcc, v4, v18
	v_add_u32_e32 v5, 6, v22
	v_addc_co_u32_e32 v19, vcc, 0, v19, vcc
	v_cmp_ne_u32_e32 vcc, 0, v5
                                        ; implicit-def: $vgpr4
	s_and_saveexec_b64 s[22:23], vcc
	s_xor_b64 s[22:23], exec, s[22:23]
; %bb.428:                              ;   in Loop: Header=BB6_124 Depth=2
	v_add_u32_e32 v4, 7, v22
	v_cmp_lt_u64_e32 vcc, s[48:49], v[18:19]
	v_cndmask_b32_e32 v4, v5, v4, vcc
	v_cndmask_b32_e64 v5, 0, 1, vcc
	v_lshrrev_b64 v[18:19], v5, v[18:19]
; %bb.429:                              ;   in Loop: Header=BB6_124 Depth=2
	s_andn2_saveexec_b64 s[22:23], s[22:23]
; %bb.430:                              ;   in Loop: Header=BB6_124 Depth=2
	v_bfe_u32 v4, v18, 23, 1
; %bb.431:                              ;   in Loop: Header=BB6_124 Depth=2
	s_or_b64 exec, exec, s[22:23]
	v_lshrrev_b64 v[6:7], 20, v[18:19]
	v_cmp_gt_i32_e32 vcc, 16, v4
	v_cndmask_b32_e32 v7, 0, v7, vcc
	v_cndmask_b32_e32 v6, 7, v6, vcc
	v_cmp_eq_u32_e32 vcc, 0, v4
	v_min_i32_e32 v4, 15, v4
	v_cmp_eq_u64_e64 s[22:23], 0, v[6:7]
	v_lshlrev_b32_e32 v4, 3, v4
	v_and_or_b32 v4, v6, 7, v4
	s_and_b64 s[22:23], vcc, s[22:23]
	v_cndmask_b32_e64 v4, v4, 0, s[22:23]
	v_or_b32_e32 v52, v4, v2
.LBB6_432:                              ;   in Loop: Header=BB6_124 Depth=2
	s_or_b64 exec, exec, s[60:61]
.LBB6_433:                              ;   in Loop: Header=BB6_124 Depth=2
	s_or_b64 exec, exec, s[58:59]
                                        ; implicit-def: $vgpr4
                                        ; implicit-def: $vgpr18_vgpr19
.LBB6_434:                              ;   in Loop: Header=BB6_124 Depth=2
	s_andn2_saveexec_b64 s[22:23], s[56:57]
; %bb.435:                              ;   in Loop: Header=BB6_124 Depth=2
	v_or_b32_sdwa v2, v4, s76 dst_sel:DWORD dst_unused:UNUSED_PAD src0_sel:BYTE_3 src1_sel:DWORD
	v_cmp_eq_u64_e32 vcc, 0, v[18:19]
	v_cndmask_b32_e32 v52, v2, v52, vcc
; %bb.436:                              ;   in Loop: Header=BB6_124 Depth=2
	s_or_b64 exec, exec, s[22:23]
	v_lshrrev_b16_e32 v18, 8, v56
	v_cmp_ne_u16_e32 vcc, 0, v18
	v_mov_b32_e32 v2, 0
	v_mov_b32_e32 v4, 0
	s_and_saveexec_b64 s[22:23], vcc
	s_cbranch_execz .LBB6_442
; %bb.437:                              ;   in Loop: Header=BB6_124 Depth=2
	v_cmp_ne_u16_e32 vcc, s75, v18
	v_bfrev_b32_e32 v4, 1
	s_and_saveexec_b64 s[56:57], vcc
	s_cbranch_execz .LBB6_441
; %bb.438:                              ;   in Loop: Header=BB6_124 Depth=2
	v_and_b32_e32 v5, 0x7f, v18
	v_cmp_ne_u32_e32 vcc, s76, v5
	v_mov_b32_e32 v4, 0x7f800001
	s_and_saveexec_b64 s[58:59], vcc
	s_cbranch_execz .LBB6_440
; %bb.439:                              ;   in Loop: Header=BB6_124 Depth=2
	v_and_b32_e32 v4, 7, v18
	v_ffbh_u32_e32 v6, v4
	v_min_u32_e32 v9, 32, v6
	v_subrev_u32_e32 v6, 28, v9
	v_lshlrev_b64 v[6:7], v6, v[18:19]
	v_lshrrev_b32_e32 v8, 3, v5
	v_sub_u32_e32 v7, 29, v9
	v_and_b32_e32 v6, 7, v6
	v_cmp_gt_u32_e32 vcc, 8, v5
	v_cndmask_b32_e32 v5, v8, v7, vcc
	v_cndmask_b32_e32 v4, v4, v6, vcc
	v_lshlrev_b32_e32 v6, 16, v56
	v_lshlrev_b32_e32 v4, 20, v4
	v_and_b32_e32 v6, 0x80000000, v6
	v_lshl_add_u32 v5, v5, 23, v29
	v_or3_b32 v4, v6, v5, v4
.LBB6_440:                              ;   in Loop: Header=BB6_124 Depth=2
	s_or_b64 exec, exec, s[58:59]
.LBB6_441:                              ;   in Loop: Header=BB6_124 Depth=2
	s_or_b64 exec, exec, s[56:57]
.LBB6_442:                              ;   in Loop: Header=BB6_124 Depth=2
	s_or_b64 exec, exec, s[22:23]
	v_mov_b32_e32 v18, v21
	v_lshrrev_b16_e32 v22, 8, v18
	v_cmp_ne_u16_e32 vcc, 0, v22
	s_and_saveexec_b64 s[22:23], vcc
	s_cbranch_execz .LBB6_448
; %bb.443:                              ;   in Loop: Header=BB6_124 Depth=2
	v_cmp_ne_u16_e32 vcc, s75, v22
	v_bfrev_b32_e32 v2, 1
	s_and_saveexec_b64 s[56:57], vcc
	s_cbranch_execz .LBB6_447
; %bb.444:                              ;   in Loop: Header=BB6_124 Depth=2
	v_and_b32_e32 v5, 0x7f, v22
	v_cmp_ne_u32_e32 vcc, s76, v5
	v_mov_b32_e32 v2, 0x7f800001
	s_and_saveexec_b64 s[58:59], vcc
	s_cbranch_execz .LBB6_446
; %bb.445:                              ;   in Loop: Header=BB6_124 Depth=2
	v_and_b32_e32 v2, 7, v22
	v_ffbh_u32_e32 v6, v2
	v_min_u32_e32 v9, 32, v6
	v_subrev_u32_e32 v6, 28, v9
	v_lshlrev_b64 v[6:7], v6, v[22:23]
	v_lshrrev_b32_e32 v8, 3, v5
	v_sub_u32_e32 v7, 29, v9
	v_and_b32_e32 v6, 7, v6
	v_cmp_gt_u32_e32 vcc, 8, v5
	v_cndmask_b32_e32 v5, v8, v7, vcc
	v_cndmask_b32_e32 v2, v2, v6, vcc
	v_lshlrev_b32_e32 v6, 16, v18
	v_lshlrev_b32_e32 v2, 20, v2
	v_and_b32_e32 v6, 0x80000000, v6
	v_lshl_add_u32 v5, v5, 23, v29
	v_or3_b32 v2, v6, v5, v2
.LBB6_446:                              ;   in Loop: Header=BB6_124 Depth=2
	s_or_b64 exec, exec, s[58:59]
.LBB6_447:                              ;   in Loop: Header=BB6_124 Depth=2
	s_or_b64 exec, exec, s[56:57]
.LBB6_448:                              ;   in Loop: Header=BB6_124 Depth=2
	s_or_b64 exec, exec, s[22:23]
	v_add_f32_e32 v4, v4, v2
	v_and_b32_sdwa v2, v4, s75 dst_sel:DWORD dst_unused:UNUSED_PAD src0_sel:BYTE_3 src1_sel:DWORD
	v_and_b32_e32 v6, 0x7f800000, v4
	v_mov_b32_e32 v7, v57
	v_and_b32_e32 v56, 0x7fffff, v4
	v_or_b32_e32 v22, 0x7e, v2
	v_cmp_ne_u64_e32 vcc, s[42:43], v[6:7]
	s_and_saveexec_b64 s[22:23], vcc
	s_xor_b64 s[56:57], exec, s[22:23]
	s_cbranch_execz .LBB6_458
; %bb.449:                              ;   in Loop: Header=BB6_124 Depth=2
	v_and_b32_e32 v6, 0x7fffffff, v4
	v_mov_b32_e32 v7, v57
	v_cmp_gt_u64_e32 vcc, s[44:45], v[6:7]
	s_and_saveexec_b64 s[58:59], vcc
	s_cbranch_execz .LBB6_457
; %bb.450:                              ;   in Loop: Header=BB6_124 Depth=2
	v_cmp_ne_u32_e32 vcc, 0, v4
	v_mov_b32_e32 v22, 0
	s_and_saveexec_b64 s[60:61], vcc
	s_cbranch_execz .LBB6_456
; %bb.451:                              ;   in Loop: Header=BB6_124 Depth=2
	v_bfe_u32 v4, v4, 23, 8
	v_sub_u32_e32 v6, 0x79, v4
	v_cmp_gt_u32_e32 vcc, s77, v4
	v_add_u32_e32 v5, 0xffffff81, v4
	v_cndmask_b32_e32 v6, 0, v6, vcc
	v_cmp_eq_u32_e32 vcc, 0, v4
	v_mov_b32_e32 v4, 0x78
	v_cndmask_b32_e32 v30, v6, v4, vcc
	v_add_u32_e32 v4, 20, v30
	v_or_b32_e32 v7, 0x800000, v56
	v_cndmask_b32_e32 v22, v5, v33, vcc
	v_lshlrev_b64 v[4:5], v4, -1
	v_cndmask_b32_e32 v56, v7, v56, vcc
	v_not_b32_e32 v4, v4
	v_and_b32_e32 v6, v56, v4
	v_add_u32_e32 v4, 19, v30
	v_lshrrev_b64 v[18:19], v30, v[56:57]
	v_not_b32_e32 v5, v5
	v_lshlrev_b64 v[8:9], v4, 1
	v_lshrrev_b32_e32 v4, 23, v18
	v_and_b32_e32 v7, 0, v5
	v_add3_u32 v22, v30, v22, v4
	v_bfe_u32 v4, v18, 20, 1
	v_add_u32_e32 v4, -1, v4
	v_cmp_eq_u64_e32 vcc, v[6:7], v[8:9]
	v_cndmask_b32_e32 v4, 0, v4, vcc
	v_add_u32_e32 v4, v4, v18
	v_and_b32_e32 v4, 0xfffff, v4
	v_add_co_u32_e32 v18, vcc, v4, v18
	v_add_u32_e32 v5, 6, v22
	v_addc_co_u32_e32 v19, vcc, 0, v19, vcc
	v_cmp_ne_u32_e32 vcc, 0, v5
                                        ; implicit-def: $vgpr4
	s_and_saveexec_b64 s[22:23], vcc
	s_xor_b64 s[22:23], exec, s[22:23]
; %bb.452:                              ;   in Loop: Header=BB6_124 Depth=2
	v_add_u32_e32 v4, 7, v22
	v_cmp_lt_u64_e32 vcc, s[48:49], v[18:19]
	v_cndmask_b32_e32 v4, v5, v4, vcc
	v_cndmask_b32_e64 v5, 0, 1, vcc
	v_lshrrev_b64 v[18:19], v5, v[18:19]
; %bb.453:                              ;   in Loop: Header=BB6_124 Depth=2
	s_andn2_saveexec_b64 s[22:23], s[22:23]
; %bb.454:                              ;   in Loop: Header=BB6_124 Depth=2
	v_bfe_u32 v4, v18, 23, 1
; %bb.455:                              ;   in Loop: Header=BB6_124 Depth=2
	s_or_b64 exec, exec, s[22:23]
	v_lshrrev_b64 v[6:7], 20, v[18:19]
	v_cmp_gt_i32_e32 vcc, 16, v4
	v_cndmask_b32_e32 v7, 0, v7, vcc
	v_cndmask_b32_e32 v6, 7, v6, vcc
	v_cmp_eq_u32_e32 vcc, 0, v4
	v_min_i32_e32 v4, 15, v4
	v_cmp_eq_u64_e64 s[22:23], 0, v[6:7]
	v_lshlrev_b32_e32 v4, 3, v4
	v_and_or_b32 v4, v6, 7, v4
	s_and_b64 s[22:23], vcc, s[22:23]
	v_cndmask_b32_e64 v4, v4, 0, s[22:23]
	v_or_b32_e32 v22, v4, v2
.LBB6_456:                              ;   in Loop: Header=BB6_124 Depth=2
	s_or_b64 exec, exec, s[60:61]
.LBB6_457:                              ;   in Loop: Header=BB6_124 Depth=2
	s_or_b64 exec, exec, s[58:59]
                                        ; implicit-def: $vgpr4
.LBB6_458:                              ;   in Loop: Header=BB6_124 Depth=2
	s_andn2_saveexec_b64 s[22:23], s[56:57]
; %bb.459:                              ;   in Loop: Header=BB6_124 Depth=2
	v_or_b32_sdwa v2, v4, s76 dst_sel:DWORD dst_unused:UNUSED_PAD src0_sel:BYTE_3 src1_sel:DWORD
	v_cmp_eq_u64_e32 vcc, 0, v[56:57]
	v_cndmask_b32_e32 v22, v2, v22, vcc
; %bb.460:                              ;   in Loop: Header=BB6_124 Depth=2
	s_or_b64 exec, exec, s[22:23]
	v_lshrrev_b32_e32 v18, 16, v25
	v_cmp_ne_u16_sdwa vcc, v18, v57 src0_sel:BYTE_0 src1_sel:DWORD
	v_mov_b32_e32 v2, 0
	v_mov_b32_e32 v4, 0
	s_and_saveexec_b64 s[22:23], vcc
	s_cbranch_execz .LBB6_466
; %bb.461:                              ;   in Loop: Header=BB6_124 Depth=2
	v_cmp_ne_u16_sdwa vcc, v18, s75 src0_sel:BYTE_0 src1_sel:DWORD
	v_bfrev_b32_e32 v4, 1
	s_and_saveexec_b64 s[56:57], vcc
	s_cbranch_execz .LBB6_465
; %bb.462:                              ;   in Loop: Header=BB6_124 Depth=2
	v_bfe_u32 v5, v25, 16, 7
	v_cmp_ne_u32_e32 vcc, s76, v5
	v_mov_b32_e32 v4, 0x7f800001
	s_and_saveexec_b64 s[58:59], vcc
	s_cbranch_execz .LBB6_464
; %bb.463:                              ;   in Loop: Header=BB6_124 Depth=2
	v_and_b32_e32 v4, 7, v18
	v_ffbh_u32_e32 v6, v4
	v_min_u32_e32 v9, 32, v6
	v_subrev_u32_e32 v6, 28, v9
	v_lshlrev_b64 v[6:7], v6, v[18:19]
	v_lshrrev_b32_e32 v8, 3, v5
	v_sub_u32_e32 v7, 29, v9
	v_and_b32_e32 v6, 7, v6
	v_cmp_gt_u32_e32 vcc, 8, v5
	v_cndmask_b32_e32 v5, v8, v7, vcc
	v_cndmask_b32_e32 v4, v4, v6, vcc
	v_lshlrev_b32_e32 v6, 24, v18
	v_lshlrev_b32_e32 v4, 20, v4
	v_and_b32_e32 v6, 0x80000000, v6
	v_lshl_add_u32 v5, v5, 23, v29
	v_or3_b32 v4, v6, v5, v4
.LBB6_464:                              ;   in Loop: Header=BB6_124 Depth=2
	s_or_b64 exec, exec, s[58:59]
.LBB6_465:                              ;   in Loop: Header=BB6_124 Depth=2
	s_or_b64 exec, exec, s[56:57]
.LBB6_466:                              ;   in Loop: Header=BB6_124 Depth=2
	s_or_b64 exec, exec, s[22:23]
	v_lshrrev_b32_e32 v18, 16, v21
	v_cmp_ne_u16_sdwa vcc, v18, v57 src0_sel:BYTE_0 src1_sel:DWORD
	s_and_saveexec_b64 s[22:23], vcc
	s_cbranch_execz .LBB6_472
; %bb.467:                              ;   in Loop: Header=BB6_124 Depth=2
	v_cmp_ne_u16_sdwa vcc, v18, s75 src0_sel:BYTE_0 src1_sel:DWORD
	v_bfrev_b32_e32 v2, 1
	s_and_saveexec_b64 s[56:57], vcc
	s_cbranch_execz .LBB6_471
; %bb.468:                              ;   in Loop: Header=BB6_124 Depth=2
	v_bfe_u32 v5, v21, 16, 7
	v_cmp_ne_u32_e32 vcc, s76, v5
	v_mov_b32_e32 v2, 0x7f800001
	s_and_saveexec_b64 s[58:59], vcc
	s_cbranch_execz .LBB6_470
; %bb.469:                              ;   in Loop: Header=BB6_124 Depth=2
	v_and_b32_e32 v2, 7, v18
	v_ffbh_u32_e32 v6, v2
	v_min_u32_e32 v9, 32, v6
	v_subrev_u32_e32 v6, 28, v9
	v_lshlrev_b64 v[6:7], v6, v[18:19]
	v_lshrrev_b32_e32 v8, 3, v5
	v_sub_u32_e32 v7, 29, v9
	v_and_b32_e32 v6, 7, v6
	v_cmp_gt_u32_e32 vcc, 8, v5
	v_cndmask_b32_e32 v5, v8, v7, vcc
	v_cndmask_b32_e32 v2, v2, v6, vcc
	v_lshlrev_b32_e32 v6, 8, v21
	v_lshlrev_b32_e32 v2, 20, v2
	v_and_b32_e32 v6, 0x80000000, v6
	v_lshl_add_u32 v5, v5, 23, v29
	v_or3_b32 v2, v6, v5, v2
.LBB6_470:                              ;   in Loop: Header=BB6_124 Depth=2
	s_or_b64 exec, exec, s[58:59]
.LBB6_471:                              ;   in Loop: Header=BB6_124 Depth=2
	s_or_b64 exec, exec, s[56:57]
.LBB6_472:                              ;   in Loop: Header=BB6_124 Depth=2
	s_or_b64 exec, exec, s[22:23]
	v_add_f32_e32 v4, v4, v2
	v_and_b32_sdwa v2, v4, s75 dst_sel:DWORD dst_unused:UNUSED_PAD src0_sel:BYTE_3 src1_sel:DWORD
	v_and_b32_e32 v6, 0x7f800000, v4
	v_mov_b32_e32 v7, v57
	v_and_b32_e32 v56, 0x7fffff, v4
	v_or_b32_e32 v46, 0x7e, v2
	v_cmp_ne_u64_e32 vcc, s[42:43], v[6:7]
	s_and_saveexec_b64 s[22:23], vcc
	s_xor_b64 s[56:57], exec, s[22:23]
	s_cbranch_execz .LBB6_482
; %bb.473:                              ;   in Loop: Header=BB6_124 Depth=2
	v_and_b32_e32 v6, 0x7fffffff, v4
	v_mov_b32_e32 v7, v57
	v_cmp_gt_u64_e32 vcc, s[44:45], v[6:7]
	s_and_saveexec_b64 s[58:59], vcc
	s_cbranch_execz .LBB6_481
; %bb.474:                              ;   in Loop: Header=BB6_124 Depth=2
	v_cmp_ne_u32_e32 vcc, 0, v4
	v_mov_b32_e32 v46, 0
	s_and_saveexec_b64 s[60:61], vcc
	s_cbranch_execz .LBB6_480
; %bb.475:                              ;   in Loop: Header=BB6_124 Depth=2
	v_bfe_u32 v4, v4, 23, 8
	v_sub_u32_e32 v6, 0x79, v4
	v_cmp_gt_u32_e32 vcc, s77, v4
	v_add_u32_e32 v5, 0xffffff81, v4
	v_cndmask_b32_e32 v6, 0, v6, vcc
	v_cmp_eq_u32_e32 vcc, 0, v4
	v_mov_b32_e32 v4, 0x78
	v_cndmask_b32_e32 v32, v6, v4, vcc
	v_add_u32_e32 v4, 20, v32
	v_or_b32_e32 v7, 0x800000, v56
	v_cndmask_b32_e32 v30, v5, v33, vcc
	v_lshlrev_b64 v[4:5], v4, -1
	v_cndmask_b32_e32 v56, v7, v56, vcc
	v_not_b32_e32 v4, v4
	v_and_b32_e32 v6, v56, v4
	v_add_u32_e32 v4, 19, v32
	v_lshrrev_b64 v[18:19], v32, v[56:57]
	v_not_b32_e32 v5, v5
	v_lshlrev_b64 v[8:9], v4, 1
	v_lshrrev_b32_e32 v4, 23, v18
	v_and_b32_e32 v7, 0, v5
	v_add3_u32 v30, v32, v30, v4
	v_bfe_u32 v4, v18, 20, 1
	v_add_u32_e32 v4, -1, v4
	v_cmp_eq_u64_e32 vcc, v[6:7], v[8:9]
	v_cndmask_b32_e32 v4, 0, v4, vcc
	v_add_u32_e32 v4, v4, v18
	v_and_b32_e32 v4, 0xfffff, v4
	v_add_co_u32_e32 v18, vcc, v4, v18
	v_add_u32_e32 v5, 6, v30
	v_addc_co_u32_e32 v19, vcc, 0, v19, vcc
	v_cmp_ne_u32_e32 vcc, 0, v5
                                        ; implicit-def: $vgpr4
	s_and_saveexec_b64 s[22:23], vcc
	s_xor_b64 s[22:23], exec, s[22:23]
; %bb.476:                              ;   in Loop: Header=BB6_124 Depth=2
	v_add_u32_e32 v4, 7, v30
	v_cmp_lt_u64_e32 vcc, s[48:49], v[18:19]
	v_cndmask_b32_e32 v4, v5, v4, vcc
	v_cndmask_b32_e64 v5, 0, 1, vcc
	v_lshrrev_b64 v[18:19], v5, v[18:19]
; %bb.477:                              ;   in Loop: Header=BB6_124 Depth=2
	s_andn2_saveexec_b64 s[22:23], s[22:23]
; %bb.478:                              ;   in Loop: Header=BB6_124 Depth=2
	v_bfe_u32 v4, v18, 23, 1
; %bb.479:                              ;   in Loop: Header=BB6_124 Depth=2
	s_or_b64 exec, exec, s[22:23]
	v_lshrrev_b64 v[6:7], 20, v[18:19]
	v_cmp_gt_i32_e32 vcc, 16, v4
	v_cndmask_b32_e32 v7, 0, v7, vcc
	v_cndmask_b32_e32 v6, 7, v6, vcc
	v_cmp_eq_u32_e32 vcc, 0, v4
	v_min_i32_e32 v4, 15, v4
	v_lshlrev_b32_e32 v4, 3, v4
	v_cmp_eq_u64_e64 s[22:23], 0, v[6:7]
	v_and_b32_e32 v4, 0xf8, v4
	v_and_or_b32 v4, v6, 7, v4
	s_and_b64 s[22:23], vcc, s[22:23]
	v_cndmask_b32_e64 v4, v4, 0, s[22:23]
	v_or_b32_e32 v46, v4, v2
.LBB6_480:                              ;   in Loop: Header=BB6_124 Depth=2
	s_or_b64 exec, exec, s[60:61]
.LBB6_481:                              ;   in Loop: Header=BB6_124 Depth=2
	s_or_b64 exec, exec, s[58:59]
                                        ; implicit-def: $vgpr4
.LBB6_482:                              ;   in Loop: Header=BB6_124 Depth=2
	s_andn2_saveexec_b64 s[22:23], s[56:57]
; %bb.483:                              ;   in Loop: Header=BB6_124 Depth=2
	v_or_b32_sdwa v2, v4, s76 dst_sel:DWORD dst_unused:UNUSED_PAD src0_sel:BYTE_3 src1_sel:DWORD
	v_cmp_eq_u64_e32 vcc, 0, v[56:57]
	v_cndmask_b32_e32 v46, v2, v46, vcc
; %bb.484:                              ;   in Loop: Header=BB6_124 Depth=2
	s_or_b64 exec, exec, s[22:23]
	v_cmp_lt_u64_e32 vcc, s[46:47], v[24:25]
	v_mov_b32_e32 v2, 0
	v_mov_b32_e32 v4, 0
	s_and_saveexec_b64 s[22:23], vcc
	s_cbranch_execz .LBB6_490
; %bb.485:                              ;   in Loop: Header=BB6_124 Depth=2
	v_lshrrev_b32_e32 v18, 24, v25
	v_cmp_ne_u32_e32 vcc, s75, v18
	v_bfrev_b32_e32 v4, 1
	s_and_saveexec_b64 s[56:57], vcc
	s_cbranch_execz .LBB6_489
; %bb.486:                              ;   in Loop: Header=BB6_124 Depth=2
	v_bfe_u32 v5, v25, 24, 7
	v_cmp_ne_u32_e32 vcc, s76, v5
	v_mov_b32_e32 v4, 0x7f800001
	s_and_saveexec_b64 s[58:59], vcc
	s_cbranch_execz .LBB6_488
; %bb.487:                              ;   in Loop: Header=BB6_124 Depth=2
	v_and_b32_e32 v4, 7, v18
	v_ffbh_u32_e32 v6, v4
	v_min_u32_e32 v9, 32, v6
	v_subrev_u32_e32 v6, 28, v9
	v_lshlrev_b64 v[6:7], v6, v[18:19]
	v_lshrrev_b32_e32 v8, 3, v5
	v_sub_u32_e32 v7, 29, v9
	v_and_b32_e32 v6, 7, v6
	v_cmp_gt_u32_e32 vcc, 8, v5
	v_cndmask_b32_e32 v5, v8, v7, vcc
	v_cndmask_b32_e32 v4, v4, v6, vcc
	v_lshlrev_b32_e32 v6, 24, v18
	v_lshlrev_b32_e32 v4, 20, v4
	v_and_b32_e32 v6, 0x80000000, v6
	v_lshl_add_u32 v5, v5, 23, v29
	v_or3_b32 v4, v6, v5, v4
.LBB6_488:                              ;   in Loop: Header=BB6_124 Depth=2
	s_or_b64 exec, exec, s[58:59]
.LBB6_489:                              ;   in Loop: Header=BB6_124 Depth=2
	s_or_b64 exec, exec, s[56:57]
.LBB6_490:                              ;   in Loop: Header=BB6_124 Depth=2
	s_or_b64 exec, exec, s[22:23]
	v_cmp_lt_u64_e32 vcc, s[46:47], v[20:21]
	s_and_saveexec_b64 s[22:23], vcc
	s_cbranch_execz .LBB6_496
; %bb.491:                              ;   in Loop: Header=BB6_124 Depth=2
	v_lshrrev_b32_e32 v18, 24, v21
	v_cmp_ne_u32_e32 vcc, s75, v18
	v_bfrev_b32_e32 v2, 1
	s_and_saveexec_b64 s[56:57], vcc
	s_cbranch_execz .LBB6_495
; %bb.492:                              ;   in Loop: Header=BB6_124 Depth=2
	v_bfe_u32 v5, v21, 24, 7
	v_cmp_ne_u32_e32 vcc, s76, v5
	v_mov_b32_e32 v2, 0x7f800001
	s_and_saveexec_b64 s[58:59], vcc
	s_cbranch_execz .LBB6_494
; %bb.493:                              ;   in Loop: Header=BB6_124 Depth=2
	v_and_b32_e32 v2, 7, v18
	v_ffbh_u32_e32 v6, v2
	v_min_u32_e32 v9, 32, v6
	v_subrev_u32_e32 v6, 28, v9
	v_lshlrev_b64 v[6:7], v6, v[18:19]
	v_lshrrev_b32_e32 v8, 3, v5
	v_sub_u32_e32 v7, 29, v9
	v_and_b32_e32 v6, 7, v6
	v_cmp_gt_u32_e32 vcc, 8, v5
	v_cndmask_b32_e32 v5, v8, v7, vcc
	v_cndmask_b32_e32 v2, v2, v6, vcc
	v_lshlrev_b32_e32 v6, 24, v18
	v_lshlrev_b32_e32 v2, 20, v2
	v_and_b32_e32 v6, 0x80000000, v6
	v_lshl_add_u32 v5, v5, 23, v29
	v_or3_b32 v2, v6, v5, v2
.LBB6_494:                              ;   in Loop: Header=BB6_124 Depth=2
	s_or_b64 exec, exec, s[58:59]
.LBB6_495:                              ;   in Loop: Header=BB6_124 Depth=2
	s_or_b64 exec, exec, s[56:57]
.LBB6_496:                              ;   in Loop: Header=BB6_124 Depth=2
	s_or_b64 exec, exec, s[22:23]
	v_add_f32_e32 v4, v4, v2
	v_and_b32_sdwa v2, v4, s75 dst_sel:DWORD dst_unused:UNUSED_PAD src0_sel:BYTE_3 src1_sel:DWORD
	v_and_b32_e32 v6, 0x7f800000, v4
	v_mov_b32_e32 v7, v57
	v_and_b32_e32 v56, 0x7fffff, v4
	v_or_b32_e32 v21, 0x7e, v2
	v_cmp_ne_u64_e32 vcc, s[42:43], v[6:7]
	s_and_saveexec_b64 s[22:23], vcc
	s_xor_b64 s[56:57], exec, s[22:23]
	s_cbranch_execz .LBB6_506
; %bb.497:                              ;   in Loop: Header=BB6_124 Depth=2
	v_and_b32_e32 v6, 0x7fffffff, v4
	v_mov_b32_e32 v7, v57
	v_cmp_gt_u64_e32 vcc, s[44:45], v[6:7]
	s_and_saveexec_b64 s[58:59], vcc
	s_cbranch_execz .LBB6_505
; %bb.498:                              ;   in Loop: Header=BB6_124 Depth=2
	v_cmp_ne_u32_e32 vcc, 0, v4
	v_mov_b32_e32 v21, 0
	s_and_saveexec_b64 s[60:61], vcc
	s_cbranch_execz .LBB6_504
; %bb.499:                              ;   in Loop: Header=BB6_124 Depth=2
	v_bfe_u32 v4, v4, 23, 8
	v_sub_u32_e32 v6, 0x79, v4
	v_cmp_gt_u32_e32 vcc, s77, v4
	v_add_u32_e32 v5, 0xffffff81, v4
	v_cndmask_b32_e32 v6, 0, v6, vcc
	v_cmp_eq_u32_e32 vcc, 0, v4
	v_mov_b32_e32 v4, 0x78
	v_cndmask_b32_e32 v21, v6, v4, vcc
	v_add_u32_e32 v4, 20, v21
	v_or_b32_e32 v7, 0x800000, v56
	v_cndmask_b32_e32 v20, v5, v33, vcc
	v_lshlrev_b64 v[4:5], v4, -1
	v_cndmask_b32_e32 v56, v7, v56, vcc
	v_not_b32_e32 v4, v4
	v_and_b32_e32 v6, v56, v4
	v_add_u32_e32 v4, 19, v21
	v_lshrrev_b64 v[18:19], v21, v[56:57]
	v_not_b32_e32 v5, v5
	v_lshlrev_b64 v[8:9], v4, 1
	v_lshrrev_b32_e32 v4, 23, v18
	v_and_b32_e32 v7, 0, v5
	v_add3_u32 v20, v21, v20, v4
	v_bfe_u32 v4, v18, 20, 1
	v_add_u32_e32 v4, -1, v4
	v_cmp_eq_u64_e32 vcc, v[6:7], v[8:9]
	v_cndmask_b32_e32 v4, 0, v4, vcc
	v_add_u32_e32 v4, v4, v18
	v_and_b32_e32 v4, 0xfffff, v4
	v_add_co_u32_e32 v18, vcc, v4, v18
	v_add_u32_e32 v5, 6, v20
	v_addc_co_u32_e32 v19, vcc, 0, v19, vcc
	v_cmp_ne_u32_e32 vcc, 0, v5
                                        ; implicit-def: $vgpr4
	s_and_saveexec_b64 s[22:23], vcc
	s_xor_b64 s[22:23], exec, s[22:23]
; %bb.500:                              ;   in Loop: Header=BB6_124 Depth=2
	v_add_u32_e32 v4, 7, v20
	v_cmp_lt_u64_e32 vcc, s[48:49], v[18:19]
	v_cndmask_b32_e32 v4, v5, v4, vcc
	v_cndmask_b32_e64 v5, 0, 1, vcc
	v_lshrrev_b64 v[18:19], v5, v[18:19]
; %bb.501:                              ;   in Loop: Header=BB6_124 Depth=2
	s_andn2_saveexec_b64 s[22:23], s[22:23]
; %bb.502:                              ;   in Loop: Header=BB6_124 Depth=2
	v_bfe_u32 v4, v18, 23, 1
; %bb.503:                              ;   in Loop: Header=BB6_124 Depth=2
	s_or_b64 exec, exec, s[22:23]
	v_lshrrev_b64 v[6:7], 20, v[18:19]
	v_cmp_gt_i32_e32 vcc, 16, v4
	v_cndmask_b32_e32 v7, 0, v7, vcc
	v_cndmask_b32_e32 v6, 7, v6, vcc
	v_cmp_eq_u32_e32 vcc, 0, v4
	v_min_i32_e32 v4, 15, v4
	v_lshlrev_b32_e32 v4, 3, v4
	v_cmp_eq_u64_e64 s[22:23], 0, v[6:7]
	v_and_b32_e32 v4, 0xf8, v4
	v_and_or_b32 v4, v6, 7, v4
	s_and_b64 s[22:23], vcc, s[22:23]
	v_cndmask_b32_e64 v4, v4, 0, s[22:23]
	v_or_b32_e32 v21, v4, v2
.LBB6_504:                              ;   in Loop: Header=BB6_124 Depth=2
	s_or_b64 exec, exec, s[60:61]
.LBB6_505:                              ;   in Loop: Header=BB6_124 Depth=2
	s_or_b64 exec, exec, s[58:59]
                                        ; implicit-def: $vgpr4
.LBB6_506:                              ;   in Loop: Header=BB6_124 Depth=2
	s_andn2_saveexec_b64 s[22:23], s[56:57]
; %bb.507:                              ;   in Loop: Header=BB6_124 Depth=2
	v_or_b32_sdwa v2, v4, s76 dst_sel:DWORD dst_unused:UNUSED_PAD src0_sel:BYTE_3 src1_sel:DWORD
	v_cmp_eq_u64_e32 vcc, 0, v[56:57]
	v_cndmask_b32_e32 v21, v2, v21, vcc
; %bb.508:                              ;   in Loop: Header=BB6_124 Depth=2
	s_or_b64 exec, exec, s[22:23]
	v_cmp_ne_u16_sdwa vcc, v14, v57 src0_sel:BYTE_0 src1_sel:DWORD
	v_mov_b32_e32 v2, 0
	v_mov_b32_e32 v4, 0
	s_and_saveexec_b64 s[22:23], vcc
	s_cbranch_execz .LBB6_514
; %bb.509:                              ;   in Loop: Header=BB6_124 Depth=2
	v_cmp_ne_u16_sdwa vcc, v14, s75 src0_sel:BYTE_0 src1_sel:DWORD
	v_bfrev_b32_e32 v4, 1
	s_and_saveexec_b64 s[56:57], vcc
	s_cbranch_execz .LBB6_513
; %bb.510:                              ;   in Loop: Header=BB6_124 Depth=2
	v_and_b32_e32 v5, 0x7f, v14
	v_cmp_ne_u32_e32 vcc, s76, v5
	v_mov_b32_e32 v4, 0x7f800001
	s_and_saveexec_b64 s[58:59], vcc
	s_cbranch_execz .LBB6_512
; %bb.511:                              ;   in Loop: Header=BB6_124 Depth=2
	v_and_b32_e32 v4, 7, v14
	v_ffbh_u32_e32 v4, v4
	v_min_u32_e32 v4, 32, v4
	v_lshrrev_b32_e32 v6, 3, v5
	v_subrev_u32_e32 v7, 28, v4
	v_sub_u32_e32 v4, 29, v4
	v_cmp_gt_u32_e32 vcc, 8, v5
	v_cndmask_b32_e32 v6, v6, v4, vcc
	v_cndmask_b32_e32 v4, 0, v7, vcc
	v_lshlrev_b64 v[4:5], v4, v[14:15]
	v_lshlrev_b32_e32 v4, 20, v4
	v_lshlrev_b32_e32 v5, 24, v14
	v_and_b32_e32 v4, 0x700000, v4
	v_and_b32_e32 v5, 0x80000000, v5
	v_lshl_add_u32 v6, v6, 23, v29
	v_or3_b32 v4, v5, v6, v4
.LBB6_512:                              ;   in Loop: Header=BB6_124 Depth=2
	s_or_b64 exec, exec, s[58:59]
.LBB6_513:                              ;   in Loop: Header=BB6_124 Depth=2
	s_or_b64 exec, exec, s[56:57]
.LBB6_514:                              ;   in Loop: Header=BB6_124 Depth=2
	s_or_b64 exec, exec, s[22:23]
	v_cmp_ne_u16_sdwa vcc, v10, v57 src0_sel:BYTE_0 src1_sel:DWORD
	s_and_saveexec_b64 s[22:23], vcc
	s_cbranch_execz .LBB6_520
; %bb.515:                              ;   in Loop: Header=BB6_124 Depth=2
	v_cmp_ne_u16_sdwa vcc, v10, s75 src0_sel:BYTE_0 src1_sel:DWORD
	v_bfrev_b32_e32 v2, 1
	s_and_saveexec_b64 s[56:57], vcc
	s_cbranch_execz .LBB6_519
; %bb.516:                              ;   in Loop: Header=BB6_124 Depth=2
	v_and_b32_e32 v5, 0x7f, v10
	v_cmp_ne_u32_e32 vcc, s76, v5
	v_mov_b32_e32 v2, 0x7f800001
	s_and_saveexec_b64 s[58:59], vcc
	s_cbranch_execz .LBB6_518
; %bb.517:                              ;   in Loop: Header=BB6_124 Depth=2
	v_and_b32_e32 v2, 7, v10
	v_ffbh_u32_e32 v2, v2
	v_min_u32_e32 v2, 32, v2
	v_subrev_u32_e32 v7, 28, v2
	v_cmp_gt_u32_e32 vcc, 8, v5
	v_lshrrev_b32_e32 v6, 3, v5
	v_sub_u32_e32 v2, 29, v2
	v_cndmask_b32_e32 v5, 0, v7, vcc
	v_cndmask_b32_e32 v2, v6, v2, vcc
	v_lshlrev_b64 v[6:7], v5, v[10:11]
	v_lshlrev_b32_e32 v5, 20, v6
	v_lshlrev_b32_e32 v6, 24, v10
	v_and_b32_e32 v5, 0x700000, v5
	v_and_b32_e32 v6, 0x80000000, v6
	v_lshl_add_u32 v2, v2, 23, v29
	v_or3_b32 v2, v6, v2, v5
.LBB6_518:                              ;   in Loop: Header=BB6_124 Depth=2
	s_or_b64 exec, exec, s[58:59]
.LBB6_519:                              ;   in Loop: Header=BB6_124 Depth=2
	s_or_b64 exec, exec, s[56:57]
.LBB6_520:                              ;   in Loop: Header=BB6_124 Depth=2
	s_or_b64 exec, exec, s[22:23]
	v_add_f32_e32 v4, v4, v2
	v_and_b32_sdwa v2, v4, s75 dst_sel:DWORD dst_unused:UNUSED_PAD src0_sel:BYTE_3 src1_sel:DWORD
	v_and_b32_e32 v6, 0x7f800000, v4
	v_mov_b32_e32 v7, v57
	v_and_b32_e32 v56, 0x7fffff, v4
	v_or_b32_e32 v24, 0x7e, v2
	v_cmp_ne_u64_e32 vcc, s[42:43], v[6:7]
	s_and_saveexec_b64 s[22:23], vcc
	s_xor_b64 s[56:57], exec, s[22:23]
	s_cbranch_execz .LBB6_530
; %bb.521:                              ;   in Loop: Header=BB6_124 Depth=2
	v_and_b32_e32 v6, 0x7fffffff, v4
	v_mov_b32_e32 v7, v57
	v_cmp_gt_u64_e32 vcc, s[44:45], v[6:7]
	s_and_saveexec_b64 s[58:59], vcc
	s_cbranch_execz .LBB6_529
; %bb.522:                              ;   in Loop: Header=BB6_124 Depth=2
	v_cmp_ne_u32_e32 vcc, 0, v4
	v_mov_b32_e32 v24, 0
	s_and_saveexec_b64 s[60:61], vcc
	s_cbranch_execz .LBB6_528
; %bb.523:                              ;   in Loop: Header=BB6_124 Depth=2
	v_bfe_u32 v4, v4, 23, 8
	v_sub_u32_e32 v6, 0x79, v4
	v_cmp_gt_u32_e32 vcc, s77, v4
	v_add_u32_e32 v5, 0xffffff81, v4
	v_cndmask_b32_e32 v6, 0, v6, vcc
	v_cmp_eq_u32_e32 vcc, 0, v4
	v_mov_b32_e32 v4, 0x78
	v_cndmask_b32_e32 v24, v6, v4, vcc
	v_add_u32_e32 v4, 20, v24
	v_or_b32_e32 v7, 0x800000, v56
	v_cndmask_b32_e32 v20, v5, v33, vcc
	v_lshlrev_b64 v[4:5], v4, -1
	v_cndmask_b32_e32 v56, v7, v56, vcc
	v_not_b32_e32 v4, v4
	v_and_b32_e32 v6, v56, v4
	v_add_u32_e32 v4, 19, v24
	v_lshrrev_b64 v[18:19], v24, v[56:57]
	v_not_b32_e32 v5, v5
	v_lshlrev_b64 v[8:9], v4, 1
	v_lshrrev_b32_e32 v4, 23, v18
	v_and_b32_e32 v7, 0, v5
	v_add3_u32 v20, v24, v20, v4
	v_bfe_u32 v4, v18, 20, 1
	v_add_u32_e32 v4, -1, v4
	v_cmp_eq_u64_e32 vcc, v[6:7], v[8:9]
	v_cndmask_b32_e32 v4, 0, v4, vcc
	v_add_u32_e32 v4, v4, v18
	v_and_b32_e32 v4, 0xfffff, v4
	v_add_co_u32_e32 v18, vcc, v4, v18
	v_add_u32_e32 v5, 6, v20
	v_addc_co_u32_e32 v19, vcc, 0, v19, vcc
	v_cmp_ne_u32_e32 vcc, 0, v5
                                        ; implicit-def: $vgpr4
	s_and_saveexec_b64 s[22:23], vcc
	s_xor_b64 s[22:23], exec, s[22:23]
; %bb.524:                              ;   in Loop: Header=BB6_124 Depth=2
	v_add_u32_e32 v4, 7, v20
	v_cmp_lt_u64_e32 vcc, s[48:49], v[18:19]
	v_cndmask_b32_e32 v4, v5, v4, vcc
	v_cndmask_b32_e64 v5, 0, 1, vcc
	v_lshrrev_b64 v[18:19], v5, v[18:19]
; %bb.525:                              ;   in Loop: Header=BB6_124 Depth=2
	s_andn2_saveexec_b64 s[22:23], s[22:23]
; %bb.526:                              ;   in Loop: Header=BB6_124 Depth=2
	v_bfe_u32 v4, v18, 23, 1
; %bb.527:                              ;   in Loop: Header=BB6_124 Depth=2
	s_or_b64 exec, exec, s[22:23]
	v_lshrrev_b64 v[6:7], 20, v[18:19]
	v_cmp_gt_i32_e32 vcc, 16, v4
	v_cndmask_b32_e32 v7, 0, v7, vcc
	v_cndmask_b32_e32 v6, 7, v6, vcc
	v_cmp_eq_u32_e32 vcc, 0, v4
	v_min_i32_e32 v4, 15, v4
	v_cmp_eq_u64_e64 s[22:23], 0, v[6:7]
	v_lshlrev_b32_e32 v4, 3, v4
	v_and_or_b32 v4, v6, 7, v4
	s_and_b64 s[22:23], vcc, s[22:23]
	v_cndmask_b32_e64 v4, v4, 0, s[22:23]
	v_or_b32_e32 v24, v4, v2
.LBB6_528:                              ;   in Loop: Header=BB6_124 Depth=2
	s_or_b64 exec, exec, s[60:61]
.LBB6_529:                              ;   in Loop: Header=BB6_124 Depth=2
	s_or_b64 exec, exec, s[58:59]
                                        ; implicit-def: $vgpr4
.LBB6_530:                              ;   in Loop: Header=BB6_124 Depth=2
	s_andn2_saveexec_b64 s[22:23], s[56:57]
; %bb.531:                              ;   in Loop: Header=BB6_124 Depth=2
	v_or_b32_sdwa v2, v4, s76 dst_sel:DWORD dst_unused:UNUSED_PAD src0_sel:BYTE_3 src1_sel:DWORD
	v_cmp_eq_u64_e32 vcc, 0, v[56:57]
	v_cndmask_b32_e32 v24, v2, v24, vcc
; %bb.532:                              ;   in Loop: Header=BB6_124 Depth=2
	s_or_b64 exec, exec, s[22:23]
	v_lshrrev_b16_e32 v18, 8, v14
	v_cmp_ne_u16_e32 vcc, 0, v18
	v_mov_b32_e32 v2, 0
	v_mov_b32_e32 v4, 0
	s_and_saveexec_b64 s[22:23], vcc
	s_cbranch_execz .LBB6_538
; %bb.533:                              ;   in Loop: Header=BB6_124 Depth=2
	v_cmp_ne_u16_e32 vcc, s75, v18
	v_bfrev_b32_e32 v4, 1
	s_and_saveexec_b64 s[56:57], vcc
	s_cbranch_execz .LBB6_537
; %bb.534:                              ;   in Loop: Header=BB6_124 Depth=2
	v_and_b32_e32 v5, 0x7f, v18
	v_cmp_ne_u32_e32 vcc, s76, v5
	v_mov_b32_e32 v4, 0x7f800001
	s_and_saveexec_b64 s[58:59], vcc
	s_cbranch_execz .LBB6_536
; %bb.535:                              ;   in Loop: Header=BB6_124 Depth=2
	v_and_b32_e32 v4, 7, v18
	v_ffbh_u32_e32 v6, v4
	v_min_u32_e32 v9, 32, v6
	v_subrev_u32_e32 v6, 28, v9
	v_lshlrev_b64 v[6:7], v6, v[18:19]
	v_lshrrev_b32_e32 v8, 3, v5
	v_sub_u32_e32 v7, 29, v9
	v_and_b32_e32 v6, 7, v6
	v_cmp_gt_u32_e32 vcc, 8, v5
	v_cndmask_b32_e32 v5, v8, v7, vcc
	v_cndmask_b32_e32 v4, v4, v6, vcc
	v_lshlrev_b32_e32 v6, 16, v14
	v_lshlrev_b32_e32 v4, 20, v4
	v_and_b32_e32 v6, 0x80000000, v6
	v_lshl_add_u32 v5, v5, 23, v29
	v_or3_b32 v4, v6, v5, v4
.LBB6_536:                              ;   in Loop: Header=BB6_124 Depth=2
	s_or_b64 exec, exec, s[58:59]
.LBB6_537:                              ;   in Loop: Header=BB6_124 Depth=2
	s_or_b64 exec, exec, s[56:57]
.LBB6_538:                              ;   in Loop: Header=BB6_124 Depth=2
	s_or_b64 exec, exec, s[22:23]
	v_lshrrev_b16_e32 v18, 8, v10
	v_cmp_ne_u16_e32 vcc, 0, v18
	s_and_saveexec_b64 s[22:23], vcc
	s_cbranch_execz .LBB6_544
; %bb.539:                              ;   in Loop: Header=BB6_124 Depth=2
	v_cmp_ne_u16_e32 vcc, s75, v18
	v_bfrev_b32_e32 v2, 1
	s_and_saveexec_b64 s[56:57], vcc
	s_cbranch_execz .LBB6_543
; %bb.540:                              ;   in Loop: Header=BB6_124 Depth=2
	v_and_b32_e32 v5, 0x7f, v18
	v_cmp_ne_u32_e32 vcc, s76, v5
	v_mov_b32_e32 v2, 0x7f800001
	s_and_saveexec_b64 s[58:59], vcc
	s_cbranch_execz .LBB6_542
; %bb.541:                              ;   in Loop: Header=BB6_124 Depth=2
	v_and_b32_e32 v2, 7, v18
	v_ffbh_u32_e32 v6, v2
	v_min_u32_e32 v9, 32, v6
	v_subrev_u32_e32 v6, 28, v9
	v_lshlrev_b64 v[6:7], v6, v[18:19]
	v_lshrrev_b32_e32 v8, 3, v5
	v_sub_u32_e32 v7, 29, v9
	v_and_b32_e32 v6, 7, v6
	v_cmp_gt_u32_e32 vcc, 8, v5
	v_cndmask_b32_e32 v5, v8, v7, vcc
	v_cndmask_b32_e32 v2, v2, v6, vcc
	v_lshlrev_b32_e32 v6, 16, v10
	v_lshlrev_b32_e32 v2, 20, v2
	v_and_b32_e32 v6, 0x80000000, v6
	v_lshl_add_u32 v5, v5, 23, v29
	v_or3_b32 v2, v6, v5, v2
.LBB6_542:                              ;   in Loop: Header=BB6_124 Depth=2
	s_or_b64 exec, exec, s[58:59]
.LBB6_543:                              ;   in Loop: Header=BB6_124 Depth=2
	s_or_b64 exec, exec, s[56:57]
.LBB6_544:                              ;   in Loop: Header=BB6_124 Depth=2
	s_or_b64 exec, exec, s[22:23]
	v_add_f32_e32 v4, v4, v2
	v_and_b32_sdwa v2, v4, s75 dst_sel:DWORD dst_unused:UNUSED_PAD src0_sel:BYTE_3 src1_sel:DWORD
	v_and_b32_e32 v6, 0x7f800000, v4
	v_mov_b32_e32 v7, v57
	v_and_b32_e32 v56, 0x7fffff, v4
	v_or_b32_e32 v25, 0x7e, v2
	v_cmp_ne_u64_e32 vcc, s[42:43], v[6:7]
	s_and_saveexec_b64 s[22:23], vcc
	s_xor_b64 s[56:57], exec, s[22:23]
	s_cbranch_execz .LBB6_554
; %bb.545:                              ;   in Loop: Header=BB6_124 Depth=2
	v_and_b32_e32 v6, 0x7fffffff, v4
	v_mov_b32_e32 v7, v57
	v_cmp_gt_u64_e32 vcc, s[44:45], v[6:7]
	s_and_saveexec_b64 s[58:59], vcc
	s_cbranch_execz .LBB6_553
; %bb.546:                              ;   in Loop: Header=BB6_124 Depth=2
	v_cmp_ne_u32_e32 vcc, 0, v4
	v_mov_b32_e32 v25, 0
	s_and_saveexec_b64 s[60:61], vcc
	s_cbranch_execz .LBB6_552
; %bb.547:                              ;   in Loop: Header=BB6_124 Depth=2
	v_bfe_u32 v4, v4, 23, 8
	v_sub_u32_e32 v6, 0x79, v4
	v_cmp_gt_u32_e32 vcc, s77, v4
	v_add_u32_e32 v5, 0xffffff81, v4
	v_cndmask_b32_e32 v6, 0, v6, vcc
	v_cmp_eq_u32_e32 vcc, 0, v4
	v_mov_b32_e32 v4, 0x78
	v_cndmask_b32_e32 v25, v6, v4, vcc
	v_add_u32_e32 v4, 20, v25
	v_or_b32_e32 v7, 0x800000, v56
	v_cndmask_b32_e32 v20, v5, v33, vcc
	v_lshlrev_b64 v[4:5], v4, -1
	v_cndmask_b32_e32 v56, v7, v56, vcc
	v_not_b32_e32 v4, v4
	v_and_b32_e32 v6, v56, v4
	v_add_u32_e32 v4, 19, v25
	v_lshrrev_b64 v[18:19], v25, v[56:57]
	v_not_b32_e32 v5, v5
	v_lshlrev_b64 v[8:9], v4, 1
	v_lshrrev_b32_e32 v4, 23, v18
	v_and_b32_e32 v7, 0, v5
	v_add3_u32 v20, v25, v20, v4
	v_bfe_u32 v4, v18, 20, 1
	v_add_u32_e32 v4, -1, v4
	v_cmp_eq_u64_e32 vcc, v[6:7], v[8:9]
	v_cndmask_b32_e32 v4, 0, v4, vcc
	v_add_u32_e32 v4, v4, v18
	v_and_b32_e32 v4, 0xfffff, v4
	v_add_co_u32_e32 v18, vcc, v4, v18
	v_add_u32_e32 v5, 6, v20
	v_addc_co_u32_e32 v19, vcc, 0, v19, vcc
	v_cmp_ne_u32_e32 vcc, 0, v5
                                        ; implicit-def: $vgpr4
	s_and_saveexec_b64 s[22:23], vcc
	s_xor_b64 s[22:23], exec, s[22:23]
; %bb.548:                              ;   in Loop: Header=BB6_124 Depth=2
	v_add_u32_e32 v4, 7, v20
	v_cmp_lt_u64_e32 vcc, s[48:49], v[18:19]
	v_cndmask_b32_e32 v4, v5, v4, vcc
	v_cndmask_b32_e64 v5, 0, 1, vcc
	v_lshrrev_b64 v[18:19], v5, v[18:19]
; %bb.549:                              ;   in Loop: Header=BB6_124 Depth=2
	s_andn2_saveexec_b64 s[22:23], s[22:23]
; %bb.550:                              ;   in Loop: Header=BB6_124 Depth=2
	v_bfe_u32 v4, v18, 23, 1
; %bb.551:                              ;   in Loop: Header=BB6_124 Depth=2
	s_or_b64 exec, exec, s[22:23]
	v_lshrrev_b64 v[6:7], 20, v[18:19]
	v_cmp_gt_i32_e32 vcc, 16, v4
	v_cndmask_b32_e32 v7, 0, v7, vcc
	v_cndmask_b32_e32 v6, 7, v6, vcc
	v_cmp_eq_u32_e32 vcc, 0, v4
	v_min_i32_e32 v4, 15, v4
	v_cmp_eq_u64_e64 s[22:23], 0, v[6:7]
	v_lshlrev_b32_e32 v4, 3, v4
	v_and_or_b32 v4, v6, 7, v4
	s_and_b64 s[22:23], vcc, s[22:23]
	v_cndmask_b32_e64 v4, v4, 0, s[22:23]
	v_or_b32_e32 v25, v4, v2
.LBB6_552:                              ;   in Loop: Header=BB6_124 Depth=2
	s_or_b64 exec, exec, s[60:61]
.LBB6_553:                              ;   in Loop: Header=BB6_124 Depth=2
	s_or_b64 exec, exec, s[58:59]
                                        ; implicit-def: $vgpr4
.LBB6_554:                              ;   in Loop: Header=BB6_124 Depth=2
	s_andn2_saveexec_b64 s[22:23], s[56:57]
; %bb.555:                              ;   in Loop: Header=BB6_124 Depth=2
	v_or_b32_sdwa v2, v4, s76 dst_sel:DWORD dst_unused:UNUSED_PAD src0_sel:BYTE_3 src1_sel:DWORD
	v_cmp_eq_u64_e32 vcc, 0, v[56:57]
	v_cndmask_b32_e32 v25, v2, v25, vcc
; %bb.556:                              ;   in Loop: Header=BB6_124 Depth=2
	s_or_b64 exec, exec, s[22:23]
	v_lshrrev_b32_e32 v18, 16, v14
	v_cmp_ne_u16_sdwa vcc, v18, v57 src0_sel:BYTE_0 src1_sel:DWORD
	v_mov_b32_e32 v2, 0
	v_mov_b32_e32 v4, 0
	s_and_saveexec_b64 s[22:23], vcc
	s_cbranch_execz .LBB6_562
; %bb.557:                              ;   in Loop: Header=BB6_124 Depth=2
	v_cmp_ne_u16_sdwa vcc, v18, s75 src0_sel:BYTE_0 src1_sel:DWORD
	v_bfrev_b32_e32 v4, 1
	s_and_saveexec_b64 s[56:57], vcc
	s_cbranch_execz .LBB6_561
; %bb.558:                              ;   in Loop: Header=BB6_124 Depth=2
	v_bfe_u32 v5, v14, 16, 7
	v_cmp_ne_u32_e32 vcc, s76, v5
	v_mov_b32_e32 v4, 0x7f800001
	s_and_saveexec_b64 s[58:59], vcc
	s_cbranch_execz .LBB6_560
; %bb.559:                              ;   in Loop: Header=BB6_124 Depth=2
	v_and_b32_e32 v4, 7, v18
	v_ffbh_u32_e32 v6, v4
	v_min_u32_e32 v9, 32, v6
	v_subrev_u32_e32 v6, 28, v9
	v_lshlrev_b64 v[6:7], v6, v[18:19]
	v_lshrrev_b32_e32 v8, 3, v5
	v_sub_u32_e32 v7, 29, v9
	v_and_b32_e32 v6, 7, v6
	v_cmp_gt_u32_e32 vcc, 8, v5
	v_cndmask_b32_e32 v5, v8, v7, vcc
	v_cndmask_b32_e32 v4, v4, v6, vcc
	v_lshlrev_b32_e32 v6, 24, v18
	v_lshlrev_b32_e32 v4, 20, v4
	v_and_b32_e32 v6, 0x80000000, v6
	v_lshl_add_u32 v5, v5, 23, v29
	v_or3_b32 v4, v6, v5, v4
.LBB6_560:                              ;   in Loop: Header=BB6_124 Depth=2
	s_or_b64 exec, exec, s[58:59]
.LBB6_561:                              ;   in Loop: Header=BB6_124 Depth=2
	s_or_b64 exec, exec, s[56:57]
.LBB6_562:                              ;   in Loop: Header=BB6_124 Depth=2
	s_or_b64 exec, exec, s[22:23]
	v_lshrrev_b32_e32 v18, 16, v10
	v_cmp_ne_u16_sdwa vcc, v18, v57 src0_sel:BYTE_0 src1_sel:DWORD
	s_and_saveexec_b64 s[22:23], vcc
	s_cbranch_execz .LBB6_568
; %bb.563:                              ;   in Loop: Header=BB6_124 Depth=2
	v_cmp_ne_u16_sdwa vcc, v18, s75 src0_sel:BYTE_0 src1_sel:DWORD
	v_bfrev_b32_e32 v2, 1
	s_and_saveexec_b64 s[56:57], vcc
	s_cbranch_execz .LBB6_567
; %bb.564:                              ;   in Loop: Header=BB6_124 Depth=2
	v_bfe_u32 v5, v10, 16, 7
	v_cmp_ne_u32_e32 vcc, s76, v5
	v_mov_b32_e32 v2, 0x7f800001
	s_and_saveexec_b64 s[58:59], vcc
	s_cbranch_execz .LBB6_566
; %bb.565:                              ;   in Loop: Header=BB6_124 Depth=2
	v_and_b32_e32 v2, 7, v18
	v_ffbh_u32_e32 v6, v2
	v_min_u32_e32 v9, 32, v6
	v_subrev_u32_e32 v6, 28, v9
	v_lshlrev_b64 v[6:7], v6, v[18:19]
	v_lshrrev_b32_e32 v8, 3, v5
	v_sub_u32_e32 v7, 29, v9
	v_and_b32_e32 v6, 7, v6
	v_cmp_gt_u32_e32 vcc, 8, v5
	v_cndmask_b32_e32 v5, v8, v7, vcc
	v_cndmask_b32_e32 v2, v2, v6, vcc
	v_lshlrev_b32_e32 v6, 8, v10
	v_lshlrev_b32_e32 v2, 20, v2
	v_and_b32_e32 v6, 0x80000000, v6
	v_lshl_add_u32 v5, v5, 23, v29
	v_or3_b32 v2, v6, v5, v2
.LBB6_566:                              ;   in Loop: Header=BB6_124 Depth=2
	s_or_b64 exec, exec, s[58:59]
.LBB6_567:                              ;   in Loop: Header=BB6_124 Depth=2
	s_or_b64 exec, exec, s[56:57]
.LBB6_568:                              ;   in Loop: Header=BB6_124 Depth=2
	s_or_b64 exec, exec, s[22:23]
	v_add_f32_e32 v5, v4, v2
	v_and_b32_sdwa v4, v5, s75 dst_sel:DWORD dst_unused:UNUSED_PAD src0_sel:BYTE_3 src1_sel:DWORD
	v_and_b32_e32 v6, 0x7f800000, v5
	v_mov_b32_e32 v7, v57
	v_and_b32_e32 v56, 0x7fffff, v5
	v_or_b32_e32 v2, 0x7e, v4
	v_cmp_ne_u64_e32 vcc, s[42:43], v[6:7]
	s_and_saveexec_b64 s[22:23], vcc
	s_xor_b64 s[56:57], exec, s[22:23]
	s_cbranch_execz .LBB6_578
; %bb.569:                              ;   in Loop: Header=BB6_124 Depth=2
	v_and_b32_e32 v6, 0x7fffffff, v5
	v_mov_b32_e32 v7, v57
	v_cmp_gt_u64_e32 vcc, s[44:45], v[6:7]
	s_and_saveexec_b64 s[58:59], vcc
	s_cbranch_execz .LBB6_577
; %bb.570:                              ;   in Loop: Header=BB6_124 Depth=2
	v_cmp_ne_u32_e32 vcc, 0, v5
	v_mov_b32_e32 v2, 0
	s_and_saveexec_b64 s[60:61], vcc
	s_cbranch_execz .LBB6_576
; %bb.571:                              ;   in Loop: Header=BB6_124 Depth=2
	v_bfe_u32 v2, v5, 23, 8
	v_sub_u32_e32 v6, 0x79, v2
	v_cmp_gt_u32_e32 vcc, s77, v2
	v_add_u32_e32 v5, 0xffffff81, v2
	v_cndmask_b32_e32 v6, 0, v6, vcc
	v_cmp_eq_u32_e32 vcc, 0, v2
	v_cndmask_b32_e32 v2, v5, v33, vcc
	v_mov_b32_e32 v5, 0x78
	v_or_b32_e32 v7, 0x800000, v56
	v_cndmask_b32_e32 v5, v6, v5, vcc
	v_cndmask_b32_e32 v56, v7, v56, vcc
	v_add_u32_e32 v6, 20, v5
	v_lshlrev_b64 v[6:7], v6, -1
	v_lshrrev_b64 v[18:19], v5, v[56:57]
	v_not_b32_e32 v7, v7
	v_not_b32_e32 v6, v6
	v_add_u32_e32 v8, 19, v5
	v_lshrrev_b32_e32 v20, 23, v18
	v_and_b32_e32 v7, 0, v7
	v_and_b32_e32 v6, v56, v6
	v_lshlrev_b64 v[8:9], v8, 1
	v_add3_u32 v20, v5, v2, v20
	v_bfe_u32 v2, v18, 20, 1
	v_add_u32_e32 v2, -1, v2
	v_cmp_eq_u64_e32 vcc, v[6:7], v[8:9]
	v_cndmask_b32_e32 v2, 0, v2, vcc
	v_add_u32_e32 v2, v2, v18
	v_and_b32_e32 v2, 0xfffff, v2
	v_add_co_u32_e32 v18, vcc, v2, v18
	v_add_u32_e32 v5, 6, v20
	v_addc_co_u32_e32 v19, vcc, 0, v19, vcc
	v_cmp_ne_u32_e32 vcc, 0, v5
                                        ; implicit-def: $vgpr2
	s_and_saveexec_b64 s[22:23], vcc
	s_xor_b64 s[22:23], exec, s[22:23]
; %bb.572:                              ;   in Loop: Header=BB6_124 Depth=2
	v_add_u32_e32 v2, 7, v20
	v_cmp_lt_u64_e32 vcc, s[48:49], v[18:19]
	v_cndmask_b32_e32 v2, v5, v2, vcc
	v_cndmask_b32_e64 v5, 0, 1, vcc
	v_lshrrev_b64 v[18:19], v5, v[18:19]
; %bb.573:                              ;   in Loop: Header=BB6_124 Depth=2
	s_andn2_saveexec_b64 s[22:23], s[22:23]
; %bb.574:                              ;   in Loop: Header=BB6_124 Depth=2
	v_bfe_u32 v2, v18, 23, 1
; %bb.575:                              ;   in Loop: Header=BB6_124 Depth=2
	s_or_b64 exec, exec, s[22:23]
	v_lshrrev_b64 v[6:7], 20, v[18:19]
	v_cmp_gt_i32_e32 vcc, 16, v2
	v_cndmask_b32_e32 v7, 0, v7, vcc
	v_cndmask_b32_e32 v6, 7, v6, vcc
	v_cmp_eq_u32_e32 vcc, 0, v2
	v_min_i32_e32 v2, 15, v2
	v_cmp_eq_u64_e64 s[22:23], 0, v[6:7]
	v_lshlrev_b32_e32 v2, 3, v2
	v_and_or_b32 v2, v6, 7, v2
	s_and_b64 s[22:23], vcc, s[22:23]
	v_cndmask_b32_e64 v2, v2, 0, s[22:23]
	v_or_b32_e32 v2, v2, v4
.LBB6_576:                              ;   in Loop: Header=BB6_124 Depth=2
	s_or_b64 exec, exec, s[60:61]
.LBB6_577:                              ;   in Loop: Header=BB6_124 Depth=2
	s_or_b64 exec, exec, s[58:59]
                                        ; implicit-def: $vgpr5
.LBB6_578:                              ;   in Loop: Header=BB6_124 Depth=2
	s_andn2_saveexec_b64 s[22:23], s[56:57]
; %bb.579:                              ;   in Loop: Header=BB6_124 Depth=2
	v_or_b32_sdwa v4, v5, s76 dst_sel:DWORD dst_unused:UNUSED_PAD src0_sel:BYTE_3 src1_sel:DWORD
	v_cmp_eq_u64_e32 vcc, 0, v[56:57]
	v_cndmask_b32_e32 v2, v4, v2, vcc
; %bb.580:                              ;   in Loop: Header=BB6_124 Depth=2
	s_or_b64 exec, exec, s[22:23]
	v_cmp_lt_u32_e32 vcc, s47, v14
	v_mov_b32_e32 v4, 0
	v_mov_b32_e32 v5, 0
	s_and_saveexec_b64 s[22:23], vcc
	s_cbranch_execz .LBB6_586
; %bb.581:                              ;   in Loop: Header=BB6_124 Depth=2
	v_lshrrev_b32_e32 v18, 24, v14
	v_cmp_ne_u32_e32 vcc, s75, v18
	v_bfrev_b32_e32 v5, 1
	s_and_saveexec_b64 s[56:57], vcc
	s_cbranch_execz .LBB6_585
; %bb.582:                              ;   in Loop: Header=BB6_124 Depth=2
	v_bfe_u32 v19, v14, 24, 7
	v_cmp_ne_u32_e32 vcc, s76, v19
	v_mov_b32_e32 v5, 0x7f800001
	s_and_saveexec_b64 s[58:59], vcc
	s_cbranch_execz .LBB6_584
; %bb.583:                              ;   in Loop: Header=BB6_124 Depth=2
	v_and_b32_e32 v5, 7, v18
	v_ffbh_u32_e32 v6, v5
	v_min_u32_e32 v9, 32, v6
	v_subrev_u32_e32 v6, 28, v9
	v_lshlrev_b64 v[6:7], v6, v[18:19]
	v_lshrrev_b32_e32 v8, 3, v19
	v_sub_u32_e32 v7, 29, v9
	v_and_b32_e32 v6, 7, v6
	v_cmp_gt_u32_e32 vcc, 8, v19
	v_cndmask_b32_e32 v7, v8, v7, vcc
	v_cndmask_b32_e32 v5, v5, v6, vcc
	v_lshlrev_b32_e32 v6, 24, v18
	v_lshlrev_b32_e32 v5, 20, v5
	v_and_b32_e32 v6, 0x80000000, v6
	v_lshl_add_u32 v7, v7, 23, v29
	v_or3_b32 v5, v6, v7, v5
.LBB6_584:                              ;   in Loop: Header=BB6_124 Depth=2
	s_or_b64 exec, exec, s[58:59]
.LBB6_585:                              ;   in Loop: Header=BB6_124 Depth=2
	s_or_b64 exec, exec, s[56:57]
.LBB6_586:                              ;   in Loop: Header=BB6_124 Depth=2
	s_or_b64 exec, exec, s[22:23]
	v_cmp_lt_u32_e32 vcc, s47, v10
	s_and_saveexec_b64 s[22:23], vcc
	s_cbranch_execz .LBB6_592
; %bb.587:                              ;   in Loop: Header=BB6_124 Depth=2
	v_lshrrev_b32_e32 v18, 24, v10
	v_cmp_ne_u32_e32 vcc, s75, v18
	v_bfrev_b32_e32 v4, 1
	s_and_saveexec_b64 s[56:57], vcc
	s_cbranch_execz .LBB6_591
; %bb.588:                              ;   in Loop: Header=BB6_124 Depth=2
	v_bfe_u32 v19, v10, 24, 7
	v_cmp_ne_u32_e32 vcc, s76, v19
	v_mov_b32_e32 v4, 0x7f800001
	s_and_saveexec_b64 s[58:59], vcc
	s_cbranch_execz .LBB6_590
; %bb.589:                              ;   in Loop: Header=BB6_124 Depth=2
	v_and_b32_e32 v4, 7, v18
	v_ffbh_u32_e32 v6, v4
	v_min_u32_e32 v9, 32, v6
	v_subrev_u32_e32 v6, 28, v9
	v_lshlrev_b64 v[6:7], v6, v[18:19]
	v_lshrrev_b32_e32 v8, 3, v19
	v_sub_u32_e32 v7, 29, v9
	v_and_b32_e32 v6, 7, v6
	v_cmp_gt_u32_e32 vcc, 8, v19
	v_cndmask_b32_e32 v7, v8, v7, vcc
	v_cndmask_b32_e32 v4, v4, v6, vcc
	v_lshlrev_b32_e32 v6, 24, v18
	v_lshlrev_b32_e32 v4, 20, v4
	v_and_b32_e32 v6, 0x80000000, v6
	v_lshl_add_u32 v7, v7, 23, v29
	v_or3_b32 v4, v6, v7, v4
.LBB6_590:                              ;   in Loop: Header=BB6_124 Depth=2
	s_or_b64 exec, exec, s[58:59]
.LBB6_591:                              ;   in Loop: Header=BB6_124 Depth=2
	s_or_b64 exec, exec, s[56:57]
.LBB6_592:                              ;   in Loop: Header=BB6_124 Depth=2
	s_or_b64 exec, exec, s[22:23]
	v_add_f32_e32 v5, v5, v4
	v_and_b32_sdwa v4, v5, s75 dst_sel:DWORD dst_unused:UNUSED_PAD src0_sel:BYTE_3 src1_sel:DWORD
	v_and_b32_e32 v6, 0x7f800000, v5
	v_mov_b32_e32 v7, v57
	v_and_b32_e32 v56, 0x7fffff, v5
	v_or_b32_e32 v53, 0x7e, v4
	v_cmp_ne_u64_e32 vcc, s[42:43], v[6:7]
	s_and_saveexec_b64 s[22:23], vcc
	s_xor_b64 s[56:57], exec, s[22:23]
	s_cbranch_execz .LBB6_602
; %bb.593:                              ;   in Loop: Header=BB6_124 Depth=2
	v_and_b32_e32 v6, 0x7fffffff, v5
	v_mov_b32_e32 v7, v57
	v_cmp_gt_u64_e32 vcc, s[44:45], v[6:7]
	s_and_saveexec_b64 s[58:59], vcc
	s_cbranch_execz .LBB6_601
; %bb.594:                              ;   in Loop: Header=BB6_124 Depth=2
	v_cmp_ne_u32_e32 vcc, 0, v5
	v_mov_b32_e32 v53, 0
	s_and_saveexec_b64 s[60:61], vcc
	s_cbranch_execz .LBB6_600
; %bb.595:                              ;   in Loop: Header=BB6_124 Depth=2
	v_bfe_u32 v5, v5, 23, 8
	v_sub_u32_e32 v7, 0x79, v5
	v_cmp_gt_u32_e32 vcc, s77, v5
	v_add_u32_e32 v6, 0xffffff81, v5
	v_cndmask_b32_e32 v7, 0, v7, vcc
	v_cmp_eq_u32_e32 vcc, 0, v5
	v_cndmask_b32_e32 v5, v6, v33, vcc
	v_mov_b32_e32 v6, 0x78
	v_or_b32_e32 v8, 0x800000, v56
	v_cndmask_b32_e32 v20, v7, v6, vcc
	v_cndmask_b32_e32 v56, v8, v56, vcc
	v_add_u32_e32 v6, 20, v20
	v_lshlrev_b64 v[6:7], v6, -1
	v_lshrrev_b64 v[18:19], v20, v[56:57]
	v_not_b32_e32 v7, v7
	v_not_b32_e32 v6, v6
	v_add_u32_e32 v8, 19, v20
	v_lshrrev_b32_e32 v30, 23, v18
	v_and_b32_e32 v7, 0, v7
	v_and_b32_e32 v6, v56, v6
	v_lshlrev_b64 v[8:9], v8, 1
	v_add3_u32 v30, v20, v5, v30
	v_bfe_u32 v5, v18, 20, 1
	v_add_u32_e32 v5, -1, v5
	v_cmp_eq_u64_e32 vcc, v[6:7], v[8:9]
	v_cndmask_b32_e32 v5, 0, v5, vcc
	v_add_u32_e32 v5, v5, v18
	v_and_b32_e32 v5, 0xfffff, v5
	v_add_co_u32_e32 v18, vcc, v5, v18
	v_add_u32_e32 v20, 6, v30
	v_addc_co_u32_e32 v19, vcc, 0, v19, vcc
	v_cmp_ne_u32_e32 vcc, 0, v20
                                        ; implicit-def: $vgpr5
	s_and_saveexec_b64 s[22:23], vcc
	s_xor_b64 s[22:23], exec, s[22:23]
; %bb.596:                              ;   in Loop: Header=BB6_124 Depth=2
	v_cmp_lt_u64_e32 vcc, s[48:49], v[18:19]
	v_add_u32_e32 v5, 7, v30
	v_cndmask_b32_e64 v6, 0, 1, vcc
	v_cndmask_b32_e32 v5, v20, v5, vcc
	v_lshrrev_b64 v[18:19], v6, v[18:19]
; %bb.597:                              ;   in Loop: Header=BB6_124 Depth=2
	s_andn2_saveexec_b64 s[22:23], s[22:23]
; %bb.598:                              ;   in Loop: Header=BB6_124 Depth=2
	v_bfe_u32 v5, v18, 23, 1
; %bb.599:                              ;   in Loop: Header=BB6_124 Depth=2
	s_or_b64 exec, exec, s[22:23]
	v_lshrrev_b64 v[6:7], 20, v[18:19]
	v_cmp_gt_i32_e32 vcc, 16, v5
	v_cndmask_b32_e32 v7, 0, v7, vcc
	v_cndmask_b32_e32 v6, 7, v6, vcc
	v_cmp_eq_u32_e32 vcc, 0, v5
	v_min_i32_e32 v5, 15, v5
	v_cmp_eq_u64_e64 s[22:23], 0, v[6:7]
	v_lshlrev_b32_e32 v5, 3, v5
	v_and_or_b32 v5, v6, 7, v5
	s_and_b64 s[22:23], vcc, s[22:23]
	v_cndmask_b32_e64 v5, v5, 0, s[22:23]
	v_or_b32_e32 v53, v5, v4
.LBB6_600:                              ;   in Loop: Header=BB6_124 Depth=2
	s_or_b64 exec, exec, s[60:61]
.LBB6_601:                              ;   in Loop: Header=BB6_124 Depth=2
	s_or_b64 exec, exec, s[58:59]
                                        ; implicit-def: $vgpr5
.LBB6_602:                              ;   in Loop: Header=BB6_124 Depth=2
	s_andn2_saveexec_b64 s[22:23], s[56:57]
; %bb.603:                              ;   in Loop: Header=BB6_124 Depth=2
	v_or_b32_sdwa v4, v5, s76 dst_sel:DWORD dst_unused:UNUSED_PAD src0_sel:BYTE_3 src1_sel:DWORD
	v_cmp_eq_u64_e32 vcc, 0, v[56:57]
	v_cndmask_b32_e32 v53, v4, v53, vcc
; %bb.604:                              ;   in Loop: Header=BB6_124 Depth=2
	s_or_b64 exec, exec, s[22:23]
	v_mov_b32_e32 v56, v15
	v_cmp_ne_u16_sdwa vcc, v15, v57 src0_sel:BYTE_0 src1_sel:DWORD
	v_mov_b32_e32 v5, 0
	v_mov_b32_e32 v4, 0
	s_and_saveexec_b64 s[22:23], vcc
	s_cbranch_execz .LBB6_610
; %bb.605:                              ;   in Loop: Header=BB6_124 Depth=2
	v_cmp_ne_u16_sdwa vcc, v15, s75 src0_sel:BYTE_0 src1_sel:DWORD
	v_bfrev_b32_e32 v4, 1
	s_and_saveexec_b64 s[56:57], vcc
	s_cbranch_execz .LBB6_609
; %bb.606:                              ;   in Loop: Header=BB6_124 Depth=2
	v_and_b32_e32 v18, 0x7f, v15
	v_cmp_ne_u32_e32 vcc, s76, v18
	v_mov_b32_e32 v4, 0x7f800001
	s_and_saveexec_b64 s[58:59], vcc
	s_cbranch_execz .LBB6_608
; %bb.607:                              ;   in Loop: Header=BB6_124 Depth=2
	v_and_b32_e32 v4, 7, v15
	v_ffbh_u32_e32 v4, v4
	v_min_u32_e32 v4, 32, v4
	v_lshrrev_b32_e32 v6, 3, v18
	v_subrev_u32_e32 v7, 28, v4
	v_sub_u32_e32 v4, 29, v4
	v_cmp_gt_u32_e32 vcc, 8, v18
	v_cndmask_b32_e32 v4, v6, v4, vcc
	v_cndmask_b32_e32 v6, 0, v7, vcc
	v_lshlrev_b64 v[6:7], v6, v[56:57]
	v_lshlrev_b32_e32 v6, 20, v6
	v_lshlrev_b32_e32 v7, 24, v56
	v_and_b32_e32 v6, 0x700000, v6
	v_and_b32_e32 v7, 0x80000000, v7
	v_lshl_add_u32 v4, v4, 23, v29
	v_or3_b32 v4, v7, v4, v6
.LBB6_608:                              ;   in Loop: Header=BB6_124 Depth=2
	s_or_b64 exec, exec, s[58:59]
.LBB6_609:                              ;   in Loop: Header=BB6_124 Depth=2
	s_or_b64 exec, exec, s[56:57]
.LBB6_610:                              ;   in Loop: Header=BB6_124 Depth=2
	s_or_b64 exec, exec, s[22:23]
	v_cmp_ne_u16_sdwa vcc, v11, v57 src0_sel:BYTE_0 src1_sel:DWORD
	s_and_saveexec_b64 s[22:23], vcc
	s_cbranch_execz .LBB6_616
; %bb.611:                              ;   in Loop: Header=BB6_124 Depth=2
	v_cmp_ne_u16_sdwa vcc, v11, s75 src0_sel:BYTE_0 src1_sel:DWORD
	v_bfrev_b32_e32 v5, 1
	s_and_saveexec_b64 s[56:57], vcc
	s_cbranch_execz .LBB6_615
; %bb.612:                              ;   in Loop: Header=BB6_124 Depth=2
	v_and_b32_e32 v18, 0x7f, v11
	v_cmp_ne_u32_e32 vcc, s76, v18
	v_mov_b32_e32 v5, 0x7f800001
	s_and_saveexec_b64 s[58:59], vcc
	s_cbranch_execz .LBB6_614
; %bb.613:                              ;   in Loop: Header=BB6_124 Depth=2
	v_and_b32_e32 v5, 7, v11
	v_ffbh_u32_e32 v5, v5
	v_min_u32_e32 v5, 32, v5
	v_lshrrev_b32_e32 v8, 3, v18
	v_subrev_u32_e32 v9, 28, v5
	v_sub_u32_e32 v5, 29, v5
	v_cmp_gt_u32_e32 vcc, 8, v18
	v_mov_b32_e32 v6, v11
	v_mov_b32_e32 v7, v57
	v_cndmask_b32_e32 v5, v8, v5, vcc
	v_cndmask_b32_e32 v8, 0, v9, vcc
	v_lshlrev_b64 v[8:9], v8, v[6:7]
	v_lshlrev_b32_e32 v7, 20, v8
	v_lshlrev_b32_e32 v6, 24, v6
	v_and_b32_e32 v7, 0x700000, v7
	v_and_b32_e32 v6, 0x80000000, v6
	v_lshl_add_u32 v5, v5, 23, v29
	v_or3_b32 v5, v6, v5, v7
.LBB6_614:                              ;   in Loop: Header=BB6_124 Depth=2
	s_or_b64 exec, exec, s[58:59]
.LBB6_615:                              ;   in Loop: Header=BB6_124 Depth=2
	s_or_b64 exec, exec, s[56:57]
.LBB6_616:                              ;   in Loop: Header=BB6_124 Depth=2
	s_or_b64 exec, exec, s[22:23]
	v_add_f32_e32 v5, v4, v5
	v_and_b32_sdwa v4, v5, s75 dst_sel:DWORD dst_unused:UNUSED_PAD src0_sel:BYTE_3 src1_sel:DWORD
	v_and_b32_e32 v6, 0x7f800000, v5
	v_mov_b32_e32 v7, v57
	v_and_b32_e32 v18, 0x7fffff, v5
	v_mov_b32_e32 v19, v57
	v_or_b32_e32 v30, 0x7e, v4
	v_cmp_ne_u64_e32 vcc, s[42:43], v[6:7]
	s_and_saveexec_b64 s[22:23], vcc
	s_xor_b64 s[56:57], exec, s[22:23]
	s_cbranch_execz .LBB6_626
; %bb.617:                              ;   in Loop: Header=BB6_124 Depth=2
	v_and_b32_e32 v6, 0x7fffffff, v5
	v_mov_b32_e32 v7, v57
	v_cmp_gt_u64_e32 vcc, s[44:45], v[6:7]
	s_and_saveexec_b64 s[58:59], vcc
	s_cbranch_execz .LBB6_625
; %bb.618:                              ;   in Loop: Header=BB6_124 Depth=2
	v_cmp_ne_u32_e32 vcc, 0, v5
	v_mov_b32_e32 v30, 0
	s_and_saveexec_b64 s[60:61], vcc
	s_cbranch_execz .LBB6_624
; %bb.619:                              ;   in Loop: Header=BB6_124 Depth=2
	v_bfe_u32 v5, v5, 23, 8
	v_sub_u32_e32 v7, 0x79, v5
	v_cmp_gt_u32_e32 vcc, s77, v5
	v_add_u32_e32 v6, 0xffffff81, v5
	v_cndmask_b32_e32 v7, 0, v7, vcc
	v_cmp_eq_u32_e32 vcc, 0, v5
	v_cndmask_b32_e32 v5, v6, v33, vcc
	v_mov_b32_e32 v6, 0x78
	v_cndmask_b32_e32 v20, v7, v6, vcc
	v_add_u32_e32 v6, 20, v20
	v_or_b32_e32 v8, 0x800000, v18
	v_lshlrev_b64 v[6:7], v6, -1
	v_cndmask_b32_e32 v18, v8, v18, vcc
	v_not_b32_e32 v6, v6
	v_and_b32_e32 v6, v18, v6
	v_lshrrev_b64 v[18:19], v20, v[18:19]
	v_not_b32_e32 v7, v7
	v_add_u32_e32 v8, 19, v20
	v_lshrrev_b32_e32 v30, 23, v18
	v_and_b32_e32 v7, 0, v7
	v_lshlrev_b64 v[8:9], v8, 1
	v_add3_u32 v30, v20, v5, v30
	v_bfe_u32 v5, v18, 20, 1
	v_add_u32_e32 v5, -1, v5
	v_cmp_eq_u64_e32 vcc, v[6:7], v[8:9]
	v_cndmask_b32_e32 v5, 0, v5, vcc
	v_add_u32_e32 v5, v5, v18
	v_and_b32_e32 v5, 0xfffff, v5
	v_add_co_u32_e32 v18, vcc, v5, v18
	v_add_u32_e32 v20, 6, v30
	v_addc_co_u32_e32 v19, vcc, 0, v19, vcc
	v_cmp_ne_u32_e32 vcc, 0, v20
                                        ; implicit-def: $vgpr5
	s_and_saveexec_b64 s[22:23], vcc
	s_xor_b64 s[22:23], exec, s[22:23]
; %bb.620:                              ;   in Loop: Header=BB6_124 Depth=2
	v_cmp_lt_u64_e32 vcc, s[48:49], v[18:19]
	v_add_u32_e32 v5, 7, v30
	v_cndmask_b32_e64 v6, 0, 1, vcc
	v_cndmask_b32_e32 v5, v20, v5, vcc
	v_lshrrev_b64 v[18:19], v6, v[18:19]
; %bb.621:                              ;   in Loop: Header=BB6_124 Depth=2
	s_andn2_saveexec_b64 s[22:23], s[22:23]
; %bb.622:                              ;   in Loop: Header=BB6_124 Depth=2
	v_bfe_u32 v5, v18, 23, 1
; %bb.623:                              ;   in Loop: Header=BB6_124 Depth=2
	s_or_b64 exec, exec, s[22:23]
	v_lshrrev_b64 v[6:7], 20, v[18:19]
	v_cmp_gt_i32_e32 vcc, 16, v5
	v_cndmask_b32_e32 v7, 0, v7, vcc
	v_cndmask_b32_e32 v6, 7, v6, vcc
	v_cmp_eq_u32_e32 vcc, 0, v5
	v_min_i32_e32 v5, 15, v5
	v_cmp_eq_u64_e64 s[22:23], 0, v[6:7]
	v_lshlrev_b32_e32 v5, 3, v5
	v_and_or_b32 v5, v6, 7, v5
	s_and_b64 s[22:23], vcc, s[22:23]
	v_cndmask_b32_e64 v5, v5, 0, s[22:23]
	v_or_b32_e32 v30, v5, v4
.LBB6_624:                              ;   in Loop: Header=BB6_124 Depth=2
	s_or_b64 exec, exec, s[60:61]
.LBB6_625:                              ;   in Loop: Header=BB6_124 Depth=2
	s_or_b64 exec, exec, s[58:59]
                                        ; implicit-def: $vgpr5
                                        ; implicit-def: $vgpr18_vgpr19
.LBB6_626:                              ;   in Loop: Header=BB6_124 Depth=2
	s_andn2_saveexec_b64 s[22:23], s[56:57]
; %bb.627:                              ;   in Loop: Header=BB6_124 Depth=2
	v_or_b32_sdwa v4, v5, s76 dst_sel:DWORD dst_unused:UNUSED_PAD src0_sel:BYTE_3 src1_sel:DWORD
	v_cmp_eq_u64_e32 vcc, 0, v[18:19]
	v_cndmask_b32_e32 v30, v4, v30, vcc
; %bb.628:                              ;   in Loop: Header=BB6_124 Depth=2
	s_or_b64 exec, exec, s[22:23]
	v_lshrrev_b16_e32 v18, 8, v56
	v_cmp_ne_u16_e32 vcc, 0, v18
	v_mov_b32_e32 v4, 0
	v_mov_b32_e32 v5, 0
	s_and_saveexec_b64 s[22:23], vcc
	s_cbranch_execz .LBB6_634
; %bb.629:                              ;   in Loop: Header=BB6_124 Depth=2
	v_cmp_ne_u16_e32 vcc, s75, v18
	v_bfrev_b32_e32 v5, 1
	s_and_saveexec_b64 s[56:57], vcc
	s_cbranch_execz .LBB6_633
; %bb.630:                              ;   in Loop: Header=BB6_124 Depth=2
	v_and_b32_e32 v19, 0x7f, v18
	v_cmp_ne_u32_e32 vcc, s76, v19
	v_mov_b32_e32 v5, 0x7f800001
	s_and_saveexec_b64 s[58:59], vcc
	s_cbranch_execz .LBB6_632
; %bb.631:                              ;   in Loop: Header=BB6_124 Depth=2
	v_and_b32_e32 v5, 7, v18
	v_ffbh_u32_e32 v6, v5
	v_min_u32_e32 v9, 32, v6
	v_subrev_u32_e32 v6, 28, v9
	v_lshlrev_b64 v[6:7], v6, v[18:19]
	v_lshrrev_b32_e32 v8, 3, v19
	v_sub_u32_e32 v7, 29, v9
	v_and_b32_e32 v6, 7, v6
	v_cmp_gt_u32_e32 vcc, 8, v19
	v_cndmask_b32_e32 v7, v8, v7, vcc
	v_cndmask_b32_e32 v5, v5, v6, vcc
	v_lshlrev_b32_e32 v6, 16, v56
	v_lshlrev_b32_e32 v5, 20, v5
	v_and_b32_e32 v6, 0x80000000, v6
	v_lshl_add_u32 v7, v7, 23, v29
	v_or3_b32 v5, v6, v7, v5
.LBB6_632:                              ;   in Loop: Header=BB6_124 Depth=2
	s_or_b64 exec, exec, s[58:59]
.LBB6_633:                              ;   in Loop: Header=BB6_124 Depth=2
	s_or_b64 exec, exec, s[56:57]
.LBB6_634:                              ;   in Loop: Header=BB6_124 Depth=2
	s_or_b64 exec, exec, s[22:23]
	v_mov_b32_e32 v18, v11
	v_lshrrev_b16_e32 v20, 8, v18
	v_cmp_ne_u16_e32 vcc, 0, v20
	s_and_saveexec_b64 s[22:23], vcc
	s_cbranch_execz .LBB6_640
; %bb.635:                              ;   in Loop: Header=BB6_124 Depth=2
	v_cmp_ne_u16_e32 vcc, s75, v20
	v_bfrev_b32_e32 v4, 1
	s_and_saveexec_b64 s[56:57], vcc
	s_cbranch_execz .LBB6_639
; %bb.636:                              ;   in Loop: Header=BB6_124 Depth=2
	v_and_b32_e32 v19, 0x7f, v20
	v_cmp_ne_u32_e32 vcc, s76, v19
	v_mov_b32_e32 v4, 0x7f800001
	s_and_saveexec_b64 s[58:59], vcc
	s_cbranch_execz .LBB6_638
; %bb.637:                              ;   in Loop: Header=BB6_124 Depth=2
	v_and_b32_e32 v4, 7, v20
	v_ffbh_u32_e32 v6, v4
	v_min_u32_e32 v9, 32, v6
	v_subrev_u32_e32 v6, 28, v9
	v_lshlrev_b64 v[6:7], v6, v[20:21]
	v_lshrrev_b32_e32 v8, 3, v19
	v_sub_u32_e32 v7, 29, v9
	v_and_b32_e32 v6, 7, v6
	v_cmp_gt_u32_e32 vcc, 8, v19
	v_cndmask_b32_e32 v7, v8, v7, vcc
	v_cndmask_b32_e32 v4, v4, v6, vcc
	v_lshlrev_b32_e32 v6, 16, v18
	v_lshlrev_b32_e32 v4, 20, v4
	v_and_b32_e32 v6, 0x80000000, v6
	v_lshl_add_u32 v7, v7, 23, v29
	v_or3_b32 v4, v6, v7, v4
.LBB6_638:                              ;   in Loop: Header=BB6_124 Depth=2
	s_or_b64 exec, exec, s[58:59]
.LBB6_639:                              ;   in Loop: Header=BB6_124 Depth=2
	s_or_b64 exec, exec, s[56:57]
.LBB6_640:                              ;   in Loop: Header=BB6_124 Depth=2
	s_or_b64 exec, exec, s[22:23]
	v_add_f32_e32 v5, v5, v4
	v_and_b32_sdwa v4, v5, s75 dst_sel:DWORD dst_unused:UNUSED_PAD src0_sel:BYTE_3 src1_sel:DWORD
	v_and_b32_e32 v6, 0x7f800000, v5
	v_mov_b32_e32 v7, v57
	v_and_b32_e32 v56, 0x7fffff, v5
	v_or_b32_e32 v20, 0x7e, v4
	v_cmp_ne_u64_e32 vcc, s[42:43], v[6:7]
	s_and_saveexec_b64 s[22:23], vcc
	s_xor_b64 s[56:57], exec, s[22:23]
	s_cbranch_execz .LBB6_650
; %bb.641:                              ;   in Loop: Header=BB6_124 Depth=2
	v_and_b32_e32 v6, 0x7fffffff, v5
	v_mov_b32_e32 v7, v57
	v_cmp_gt_u64_e32 vcc, s[44:45], v[6:7]
	s_and_saveexec_b64 s[58:59], vcc
	s_cbranch_execz .LBB6_649
; %bb.642:                              ;   in Loop: Header=BB6_124 Depth=2
	v_cmp_ne_u32_e32 vcc, 0, v5
	v_mov_b32_e32 v20, 0
	s_and_saveexec_b64 s[60:61], vcc
	s_cbranch_execz .LBB6_648
; %bb.643:                              ;   in Loop: Header=BB6_124 Depth=2
	v_bfe_u32 v5, v5, 23, 8
	v_sub_u32_e32 v7, 0x79, v5
	v_cmp_gt_u32_e32 vcc, s77, v5
	v_add_u32_e32 v6, 0xffffff81, v5
	v_cndmask_b32_e32 v7, 0, v7, vcc
	v_cmp_eq_u32_e32 vcc, 0, v5
	v_cndmask_b32_e32 v5, v6, v33, vcc
	v_mov_b32_e32 v6, 0x78
	v_or_b32_e32 v8, 0x800000, v56
	v_cndmask_b32_e32 v20, v7, v6, vcc
	v_cndmask_b32_e32 v56, v8, v56, vcc
	v_add_u32_e32 v6, 20, v20
	v_lshlrev_b64 v[6:7], v6, -1
	v_lshrrev_b64 v[18:19], v20, v[56:57]
	v_not_b32_e32 v7, v7
	v_not_b32_e32 v6, v6
	v_add_u32_e32 v8, 19, v20
	v_lshrrev_b32_e32 v32, 23, v18
	v_and_b32_e32 v7, 0, v7
	v_and_b32_e32 v6, v56, v6
	v_lshlrev_b64 v[8:9], v8, 1
	v_add3_u32 v38, v20, v5, v32
	v_bfe_u32 v5, v18, 20, 1
	v_add_u32_e32 v5, -1, v5
	v_cmp_eq_u64_e32 vcc, v[6:7], v[8:9]
	v_cndmask_b32_e32 v5, 0, v5, vcc
	v_add_u32_e32 v5, v5, v18
	v_and_b32_e32 v5, 0xfffff, v5
	v_add_co_u32_e32 v18, vcc, v5, v18
	v_add_u32_e32 v20, 6, v38
	v_addc_co_u32_e32 v19, vcc, 0, v19, vcc
	v_cmp_ne_u32_e32 vcc, 0, v20
                                        ; implicit-def: $vgpr5
	s_and_saveexec_b64 s[22:23], vcc
	s_xor_b64 s[22:23], exec, s[22:23]
; %bb.644:                              ;   in Loop: Header=BB6_124 Depth=2
	v_cmp_lt_u64_e32 vcc, s[48:49], v[18:19]
	v_add_u32_e32 v5, 7, v38
	v_cndmask_b32_e64 v6, 0, 1, vcc
	v_cndmask_b32_e32 v5, v20, v5, vcc
	v_lshrrev_b64 v[18:19], v6, v[18:19]
; %bb.645:                              ;   in Loop: Header=BB6_124 Depth=2
	s_andn2_saveexec_b64 s[22:23], s[22:23]
; %bb.646:                              ;   in Loop: Header=BB6_124 Depth=2
	v_bfe_u32 v5, v18, 23, 1
; %bb.647:                              ;   in Loop: Header=BB6_124 Depth=2
	s_or_b64 exec, exec, s[22:23]
	v_lshrrev_b64 v[6:7], 20, v[18:19]
	v_cmp_gt_i32_e32 vcc, 16, v5
	v_cndmask_b32_e32 v7, 0, v7, vcc
	v_cndmask_b32_e32 v6, 7, v6, vcc
	v_cmp_eq_u32_e32 vcc, 0, v5
	v_min_i32_e32 v5, 15, v5
	v_cmp_eq_u64_e64 s[22:23], 0, v[6:7]
	v_lshlrev_b32_e32 v5, 3, v5
	v_and_or_b32 v5, v6, 7, v5
	s_and_b64 s[22:23], vcc, s[22:23]
	v_cndmask_b32_e64 v5, v5, 0, s[22:23]
	v_or_b32_e32 v20, v5, v4
.LBB6_648:                              ;   in Loop: Header=BB6_124 Depth=2
	s_or_b64 exec, exec, s[60:61]
.LBB6_649:                              ;   in Loop: Header=BB6_124 Depth=2
	s_or_b64 exec, exec, s[58:59]
                                        ; implicit-def: $vgpr5
.LBB6_650:                              ;   in Loop: Header=BB6_124 Depth=2
	s_andn2_saveexec_b64 s[22:23], s[56:57]
; %bb.651:                              ;   in Loop: Header=BB6_124 Depth=2
	v_or_b32_sdwa v4, v5, s76 dst_sel:DWORD dst_unused:UNUSED_PAD src0_sel:BYTE_3 src1_sel:DWORD
	v_cmp_eq_u64_e32 vcc, 0, v[56:57]
	v_cndmask_b32_e32 v20, v4, v20, vcc
; %bb.652:                              ;   in Loop: Header=BB6_124 Depth=2
	s_or_b64 exec, exec, s[22:23]
	v_lshrrev_b32_e32 v18, 16, v15
	v_cmp_ne_u16_sdwa vcc, v18, v57 src0_sel:BYTE_0 src1_sel:DWORD
	v_mov_b32_e32 v4, 0
	v_mov_b32_e32 v5, 0
	s_and_saveexec_b64 s[22:23], vcc
	s_cbranch_execz .LBB6_658
; %bb.653:                              ;   in Loop: Header=BB6_124 Depth=2
	v_cmp_ne_u16_sdwa vcc, v18, s75 src0_sel:BYTE_0 src1_sel:DWORD
	v_bfrev_b32_e32 v5, 1
	s_and_saveexec_b64 s[56:57], vcc
	s_cbranch_execz .LBB6_657
; %bb.654:                              ;   in Loop: Header=BB6_124 Depth=2
	v_bfe_u32 v19, v15, 16, 7
	v_cmp_ne_u32_e32 vcc, s76, v19
	v_mov_b32_e32 v5, 0x7f800001
	s_and_saveexec_b64 s[58:59], vcc
	s_cbranch_execz .LBB6_656
; %bb.655:                              ;   in Loop: Header=BB6_124 Depth=2
	v_and_b32_e32 v5, 7, v18
	v_ffbh_u32_e32 v6, v5
	v_min_u32_e32 v9, 32, v6
	v_subrev_u32_e32 v6, 28, v9
	v_lshlrev_b64 v[6:7], v6, v[18:19]
	v_lshrrev_b32_e32 v8, 3, v19
	v_sub_u32_e32 v7, 29, v9
	v_and_b32_e32 v6, 7, v6
	v_cmp_gt_u32_e32 vcc, 8, v19
	v_cndmask_b32_e32 v7, v8, v7, vcc
	v_cndmask_b32_e32 v5, v5, v6, vcc
	v_lshlrev_b32_e32 v6, 24, v18
	v_lshlrev_b32_e32 v5, 20, v5
	v_and_b32_e32 v6, 0x80000000, v6
	v_lshl_add_u32 v7, v7, 23, v29
	v_or3_b32 v5, v6, v7, v5
.LBB6_656:                              ;   in Loop: Header=BB6_124 Depth=2
	s_or_b64 exec, exec, s[58:59]
.LBB6_657:                              ;   in Loop: Header=BB6_124 Depth=2
	s_or_b64 exec, exec, s[56:57]
.LBB6_658:                              ;   in Loop: Header=BB6_124 Depth=2
	s_or_b64 exec, exec, s[22:23]
	v_lshrrev_b32_e32 v18, 16, v11
	v_cmp_ne_u16_sdwa vcc, v18, v57 src0_sel:BYTE_0 src1_sel:DWORD
	s_and_saveexec_b64 s[22:23], vcc
	s_cbranch_execz .LBB6_664
; %bb.659:                              ;   in Loop: Header=BB6_124 Depth=2
	v_cmp_ne_u16_sdwa vcc, v18, s75 src0_sel:BYTE_0 src1_sel:DWORD
	v_bfrev_b32_e32 v4, 1
	s_and_saveexec_b64 s[56:57], vcc
	s_cbranch_execz .LBB6_663
; %bb.660:                              ;   in Loop: Header=BB6_124 Depth=2
	v_bfe_u32 v19, v11, 16, 7
	v_cmp_ne_u32_e32 vcc, s76, v19
	v_mov_b32_e32 v4, 0x7f800001
	s_and_saveexec_b64 s[58:59], vcc
	s_cbranch_execz .LBB6_662
; %bb.661:                              ;   in Loop: Header=BB6_124 Depth=2
	v_and_b32_e32 v4, 7, v18
	v_ffbh_u32_e32 v6, v4
	v_min_u32_e32 v9, 32, v6
	v_subrev_u32_e32 v6, 28, v9
	v_lshlrev_b64 v[6:7], v6, v[18:19]
	v_lshrrev_b32_e32 v8, 3, v19
	v_sub_u32_e32 v7, 29, v9
	v_and_b32_e32 v6, 7, v6
	v_cmp_gt_u32_e32 vcc, 8, v19
	v_cndmask_b32_e32 v7, v8, v7, vcc
	v_cndmask_b32_e32 v4, v4, v6, vcc
	v_lshlrev_b32_e32 v6, 8, v11
	v_lshlrev_b32_e32 v4, 20, v4
	v_and_b32_e32 v6, 0x80000000, v6
	v_lshl_add_u32 v7, v7, 23, v29
	v_or3_b32 v4, v6, v7, v4
.LBB6_662:                              ;   in Loop: Header=BB6_124 Depth=2
	s_or_b64 exec, exec, s[58:59]
.LBB6_663:                              ;   in Loop: Header=BB6_124 Depth=2
	s_or_b64 exec, exec, s[56:57]
.LBB6_664:                              ;   in Loop: Header=BB6_124 Depth=2
	s_or_b64 exec, exec, s[22:23]
	v_add_f32_e32 v5, v5, v4
	v_and_b32_sdwa v4, v5, s75 dst_sel:DWORD dst_unused:UNUSED_PAD src0_sel:BYTE_3 src1_sel:DWORD
	v_and_b32_e32 v6, 0x7f800000, v5
	v_mov_b32_e32 v7, v57
	v_and_b32_e32 v56, 0x7fffff, v5
	v_or_b32_e32 v18, 0x7e, v4
	v_cmp_ne_u64_e32 vcc, s[42:43], v[6:7]
	s_and_saveexec_b64 s[22:23], vcc
	s_xor_b64 s[56:57], exec, s[22:23]
	s_cbranch_execz .LBB6_674
; %bb.665:                              ;   in Loop: Header=BB6_124 Depth=2
	v_and_b32_e32 v6, 0x7fffffff, v5
	v_mov_b32_e32 v7, v57
	v_cmp_gt_u64_e32 vcc, s[44:45], v[6:7]
	s_and_saveexec_b64 s[58:59], vcc
	s_cbranch_execz .LBB6_673
; %bb.666:                              ;   in Loop: Header=BB6_124 Depth=2
	v_cmp_ne_u32_e32 vcc, 0, v5
	v_mov_b32_e32 v18, 0
	s_and_saveexec_b64 s[60:61], vcc
	s_cbranch_execz .LBB6_672
; %bb.667:                              ;   in Loop: Header=BB6_124 Depth=2
	v_bfe_u32 v5, v5, 23, 8
	v_sub_u32_e32 v7, 0x79, v5
	v_cmp_gt_u32_e32 vcc, s77, v5
	v_add_u32_e32 v6, 0xffffff81, v5
	v_cndmask_b32_e32 v7, 0, v7, vcc
	v_cmp_eq_u32_e32 vcc, 0, v5
	v_cndmask_b32_e32 v5, v6, v33, vcc
	v_mov_b32_e32 v6, 0x78
	v_or_b32_e32 v8, 0x800000, v56
	v_cndmask_b32_e32 v32, v7, v6, vcc
	v_cndmask_b32_e32 v56, v8, v56, vcc
	v_add_u32_e32 v6, 20, v32
	v_lshlrev_b64 v[6:7], v6, -1
	v_lshrrev_b64 v[18:19], v32, v[56:57]
	v_not_b32_e32 v7, v7
	v_not_b32_e32 v6, v6
	v_add_u32_e32 v8, 19, v32
	v_lshrrev_b32_e32 v33, 23, v18
	v_and_b32_e32 v7, 0, v7
	v_and_b32_e32 v6, v56, v6
	v_lshlrev_b64 v[8:9], v8, 1
	v_add3_u32 v38, v32, v5, v33
	v_bfe_u32 v5, v18, 20, 1
	v_add_u32_e32 v5, -1, v5
	v_cmp_eq_u64_e32 vcc, v[6:7], v[8:9]
	v_cndmask_b32_e32 v5, 0, v5, vcc
	v_add_u32_e32 v5, v5, v18
	v_and_b32_e32 v5, 0xfffff, v5
	v_add_co_u32_e32 v18, vcc, v5, v18
	v_add_u32_e32 v48, 6, v38
	v_addc_co_u32_e32 v19, vcc, 0, v19, vcc
	v_cmp_ne_u32_e32 vcc, 0, v48
                                        ; implicit-def: $vgpr5
	s_and_saveexec_b64 s[22:23], vcc
	s_xor_b64 s[22:23], exec, s[22:23]
; %bb.668:                              ;   in Loop: Header=BB6_124 Depth=2
	v_cmp_lt_u64_e32 vcc, s[48:49], v[18:19]
	v_add_u32_e32 v5, 7, v38
	v_cndmask_b32_e64 v6, 0, 1, vcc
	v_cndmask_b32_e32 v5, v48, v5, vcc
	v_lshrrev_b64 v[18:19], v6, v[18:19]
; %bb.669:                              ;   in Loop: Header=BB6_124 Depth=2
	s_andn2_saveexec_b64 s[22:23], s[22:23]
; %bb.670:                              ;   in Loop: Header=BB6_124 Depth=2
	v_bfe_u32 v5, v18, 23, 1
; %bb.671:                              ;   in Loop: Header=BB6_124 Depth=2
	s_or_b64 exec, exec, s[22:23]
	v_lshrrev_b64 v[6:7], 20, v[18:19]
	v_cmp_gt_i32_e32 vcc, 16, v5
	v_cndmask_b32_e32 v7, 0, v7, vcc
	v_cndmask_b32_e32 v6, 7, v6, vcc
	v_cmp_eq_u32_e32 vcc, 0, v5
	v_min_i32_e32 v5, 15, v5
	v_lshlrev_b32_e32 v5, 3, v5
	v_cmp_eq_u64_e64 s[22:23], 0, v[6:7]
	v_and_b32_e32 v5, 0xf8, v5
	v_and_or_b32 v5, v6, 7, v5
	s_and_b64 s[22:23], vcc, s[22:23]
	v_cndmask_b32_e64 v5, v5, 0, s[22:23]
	v_or_b32_e32 v18, v5, v4
	v_mov_b32_e32 v33, 0xffffff82
.LBB6_672:                              ;   in Loop: Header=BB6_124 Depth=2
	s_or_b64 exec, exec, s[60:61]
.LBB6_673:                              ;   in Loop: Header=BB6_124 Depth=2
	s_or_b64 exec, exec, s[58:59]
                                        ; implicit-def: $vgpr5
.LBB6_674:                              ;   in Loop: Header=BB6_124 Depth=2
	s_andn2_saveexec_b64 s[22:23], s[56:57]
; %bb.675:                              ;   in Loop: Header=BB6_124 Depth=2
	v_or_b32_sdwa v4, v5, s76 dst_sel:DWORD dst_unused:UNUSED_PAD src0_sel:BYTE_3 src1_sel:DWORD
	v_cmp_eq_u64_e32 vcc, 0, v[56:57]
	v_cndmask_b32_e32 v18, v4, v18, vcc
; %bb.676:                              ;   in Loop: Header=BB6_124 Depth=2
	s_or_b64 exec, exec, s[22:23]
	v_cmp_lt_u64_e32 vcc, s[46:47], v[14:15]
	v_mov_b32_e32 v4, 0
	v_mov_b32_e32 v5, 0
	s_and_saveexec_b64 s[22:23], vcc
	s_cbranch_execz .LBB6_682
; %bb.677:                              ;   in Loop: Header=BB6_124 Depth=2
	v_lshrrev_b32_e32 v14, 24, v15
	v_cmp_ne_u32_e32 vcc, s75, v14
	v_bfrev_b32_e32 v5, 1
	s_and_saveexec_b64 s[56:57], vcc
	s_cbranch_execz .LBB6_681
; %bb.678:                              ;   in Loop: Header=BB6_124 Depth=2
	v_bfe_u32 v15, v15, 24, 7
	v_cmp_ne_u32_e32 vcc, s76, v15
	v_mov_b32_e32 v5, 0x7f800001
	s_and_saveexec_b64 s[58:59], vcc
	s_cbranch_execz .LBB6_680
; %bb.679:                              ;   in Loop: Header=BB6_124 Depth=2
	v_and_b32_e32 v5, 7, v14
	v_ffbh_u32_e32 v6, v5
	v_min_u32_e32 v9, 32, v6
	v_subrev_u32_e32 v6, 28, v9
	v_lshlrev_b64 v[6:7], v6, v[14:15]
	v_lshrrev_b32_e32 v8, 3, v15
	v_sub_u32_e32 v7, 29, v9
	v_and_b32_e32 v6, 7, v6
	v_cmp_gt_u32_e32 vcc, 8, v15
	v_cndmask_b32_e32 v7, v8, v7, vcc
	v_cndmask_b32_e32 v5, v5, v6, vcc
	v_lshlrev_b32_e32 v6, 24, v14
	v_lshlrev_b32_e32 v5, 20, v5
	v_and_b32_e32 v6, 0x80000000, v6
	v_lshl_add_u32 v7, v7, 23, v29
	v_or3_b32 v5, v6, v7, v5
.LBB6_680:                              ;   in Loop: Header=BB6_124 Depth=2
	s_or_b64 exec, exec, s[58:59]
.LBB6_681:                              ;   in Loop: Header=BB6_124 Depth=2
	s_or_b64 exec, exec, s[56:57]
.LBB6_682:                              ;   in Loop: Header=BB6_124 Depth=2
	s_or_b64 exec, exec, s[22:23]
	v_cmp_lt_u64_e32 vcc, s[46:47], v[10:11]
	s_and_saveexec_b64 s[22:23], vcc
	s_cbranch_execz .LBB6_688
; %bb.683:                              ;   in Loop: Header=BB6_124 Depth=2
	v_lshrrev_b32_e32 v10, 24, v11
	v_cmp_ne_u32_e32 vcc, s75, v10
	v_bfrev_b32_e32 v4, 1
	s_and_saveexec_b64 s[56:57], vcc
	s_cbranch_execz .LBB6_687
; %bb.684:                              ;   in Loop: Header=BB6_124 Depth=2
	v_bfe_u32 v11, v11, 24, 7
	v_cmp_ne_u32_e32 vcc, s76, v11
	v_mov_b32_e32 v4, 0x7f800001
	s_and_saveexec_b64 s[58:59], vcc
	s_cbranch_execz .LBB6_686
; %bb.685:                              ;   in Loop: Header=BB6_124 Depth=2
	v_and_b32_e32 v4, 7, v10
	v_ffbh_u32_e32 v6, v4
	v_min_u32_e32 v9, 32, v6
	v_subrev_u32_e32 v6, 28, v9
	v_lshlrev_b64 v[6:7], v6, v[10:11]
	v_lshrrev_b32_e32 v8, 3, v11
	v_sub_u32_e32 v7, 29, v9
	v_and_b32_e32 v6, 7, v6
	v_cmp_gt_u32_e32 vcc, 8, v11
	v_cndmask_b32_e32 v7, v8, v7, vcc
	v_cndmask_b32_e32 v4, v4, v6, vcc
	v_lshlrev_b32_e32 v6, 24, v10
	v_lshlrev_b32_e32 v4, 20, v4
	v_and_b32_e32 v6, 0x80000000, v6
	v_lshl_add_u32 v7, v7, 23, v29
	v_or3_b32 v4, v6, v7, v4
.LBB6_686:                              ;   in Loop: Header=BB6_124 Depth=2
	s_or_b64 exec, exec, s[58:59]
.LBB6_687:                              ;   in Loop: Header=BB6_124 Depth=2
	s_or_b64 exec, exec, s[56:57]
.LBB6_688:                              ;   in Loop: Header=BB6_124 Depth=2
	s_or_b64 exec, exec, s[22:23]
	v_add_f32_e32 v5, v5, v4
	v_and_b32_sdwa v4, v5, s75 dst_sel:DWORD dst_unused:UNUSED_PAD src0_sel:BYTE_3 src1_sel:DWORD
	v_and_b32_e32 v6, 0x7f800000, v5
	v_mov_b32_e32 v7, v57
	v_and_b32_e32 v56, 0x7fffff, v5
	v_or_b32_e32 v15, 0x7e, v4
	v_cmp_ne_u64_e32 vcc, s[42:43], v[6:7]
	s_and_saveexec_b64 s[22:23], vcc
	s_xor_b64 s[56:57], exec, s[22:23]
	s_cbranch_execz .LBB6_698
; %bb.689:                              ;   in Loop: Header=BB6_124 Depth=2
	v_and_b32_e32 v6, 0x7fffffff, v5
	v_mov_b32_e32 v7, v57
	v_cmp_gt_u64_e32 vcc, s[44:45], v[6:7]
	s_and_saveexec_b64 s[58:59], vcc
	s_cbranch_execz .LBB6_697
; %bb.690:                              ;   in Loop: Header=BB6_124 Depth=2
	v_cmp_ne_u32_e32 vcc, 0, v5
	v_mov_b32_e32 v15, 0
	s_and_saveexec_b64 s[60:61], vcc
	s_cbranch_execz .LBB6_696
; %bb.691:                              ;   in Loop: Header=BB6_124 Depth=2
	v_bfe_u32 v5, v5, 23, 8
	v_sub_u32_e32 v7, 0x79, v5
	v_cmp_gt_u32_e32 vcc, s77, v5
	v_add_u32_e32 v6, 0xffffff81, v5
	v_cndmask_b32_e32 v7, 0, v7, vcc
	v_cmp_eq_u32_e32 vcc, 0, v5
	v_cndmask_b32_e32 v5, v6, v33, vcc
	v_mov_b32_e32 v6, 0x78
	v_or_b32_e32 v8, 0x800000, v56
	v_cndmask_b32_e32 v14, v7, v6, vcc
	v_cndmask_b32_e32 v56, v8, v56, vcc
	v_add_u32_e32 v6, 20, v14
	v_lshlrev_b64 v[6:7], v6, -1
	v_lshrrev_b64 v[10:11], v14, v[56:57]
	v_not_b32_e32 v7, v7
	v_not_b32_e32 v6, v6
	v_add_u32_e32 v8, 19, v14
	v_lshrrev_b32_e32 v15, 23, v10
	v_and_b32_e32 v7, 0, v7
	v_and_b32_e32 v6, v56, v6
	v_lshlrev_b64 v[8:9], v8, 1
	v_add3_u32 v15, v14, v5, v15
	v_bfe_u32 v5, v10, 20, 1
	v_add_u32_e32 v5, -1, v5
	v_cmp_eq_u64_e32 vcc, v[6:7], v[8:9]
	v_cndmask_b32_e32 v5, 0, v5, vcc
	v_add_u32_e32 v5, v5, v10
	v_and_b32_e32 v5, 0xfffff, v5
	v_add_co_u32_e32 v10, vcc, v5, v10
	v_add_u32_e32 v14, 6, v15
	v_addc_co_u32_e32 v11, vcc, 0, v11, vcc
	v_cmp_ne_u32_e32 vcc, 0, v14
                                        ; implicit-def: $vgpr5
	s_and_saveexec_b64 s[22:23], vcc
	s_xor_b64 s[22:23], exec, s[22:23]
; %bb.692:                              ;   in Loop: Header=BB6_124 Depth=2
	v_cmp_lt_u64_e32 vcc, s[48:49], v[10:11]
	v_add_u32_e32 v5, 7, v15
	v_cndmask_b32_e64 v6, 0, 1, vcc
	v_cndmask_b32_e32 v5, v14, v5, vcc
	v_lshrrev_b64 v[10:11], v6, v[10:11]
; %bb.693:                              ;   in Loop: Header=BB6_124 Depth=2
	s_andn2_saveexec_b64 s[22:23], s[22:23]
; %bb.694:                              ;   in Loop: Header=BB6_124 Depth=2
	v_bfe_u32 v5, v10, 23, 1
; %bb.695:                              ;   in Loop: Header=BB6_124 Depth=2
	s_or_b64 exec, exec, s[22:23]
	v_lshrrev_b64 v[6:7], 20, v[10:11]
	v_cmp_gt_i32_e32 vcc, 16, v5
	v_cndmask_b32_e32 v7, 0, v7, vcc
	v_cndmask_b32_e32 v6, 7, v6, vcc
	v_cmp_eq_u32_e32 vcc, 0, v5
	v_min_i32_e32 v5, 15, v5
	v_lshlrev_b32_e32 v5, 3, v5
	v_cmp_eq_u64_e64 s[22:23], 0, v[6:7]
	v_and_b32_e32 v5, 0xf8, v5
	v_and_or_b32 v5, v6, 7, v5
	s_and_b64 s[22:23], vcc, s[22:23]
	v_cndmask_b32_e64 v5, v5, 0, s[22:23]
	v_or_b32_e32 v15, v5, v4
.LBB6_696:                              ;   in Loop: Header=BB6_124 Depth=2
	s_or_b64 exec, exec, s[60:61]
.LBB6_697:                              ;   in Loop: Header=BB6_124 Depth=2
	s_or_b64 exec, exec, s[58:59]
                                        ; implicit-def: $vgpr5
.LBB6_698:                              ;   in Loop: Header=BB6_124 Depth=2
	s_andn2_saveexec_b64 s[22:23], s[56:57]
; %bb.699:                              ;   in Loop: Header=BB6_124 Depth=2
	v_or_b32_sdwa v4, v5, s76 dst_sel:DWORD dst_unused:UNUSED_PAD src0_sel:BYTE_3 src1_sel:DWORD
	v_cmp_eq_u64_e32 vcc, 0, v[56:57]
	v_cndmask_b32_e32 v15, v4, v15, vcc
; %bb.700:                              ;   in Loop: Header=BB6_124 Depth=2
	s_or_b64 exec, exec, s[22:23]
	v_cmp_ne_u16_sdwa vcc, v16, v57 src0_sel:BYTE_0 src1_sel:DWORD
	v_mov_b32_e32 v4, 0
	v_mov_b32_e32 v5, 0
	s_and_saveexec_b64 s[22:23], vcc
	s_cbranch_execz .LBB6_706
; %bb.701:                              ;   in Loop: Header=BB6_124 Depth=2
	v_cmp_ne_u16_sdwa vcc, v16, s75 src0_sel:BYTE_0 src1_sel:DWORD
	v_bfrev_b32_e32 v5, 1
	s_and_saveexec_b64 s[56:57], vcc
	s_cbranch_execz .LBB6_705
; %bb.702:                              ;   in Loop: Header=BB6_124 Depth=2
	v_and_b32_e32 v10, 0x7f, v16
	v_cmp_ne_u32_e32 vcc, s76, v10
	v_mov_b32_e32 v5, 0x7f800001
	s_and_saveexec_b64 s[58:59], vcc
	s_cbranch_execz .LBB6_704
; %bb.703:                              ;   in Loop: Header=BB6_124 Depth=2
	v_and_b32_e32 v5, 7, v16
	v_ffbh_u32_e32 v5, v5
	v_min_u32_e32 v5, 32, v5
	v_lshrrev_b32_e32 v6, 3, v10
	v_subrev_u32_e32 v7, 28, v5
	v_sub_u32_e32 v5, 29, v5
	v_cmp_gt_u32_e32 vcc, 8, v10
	v_cndmask_b32_e32 v5, v6, v5, vcc
	v_cndmask_b32_e32 v6, 0, v7, vcc
	v_lshlrev_b64 v[6:7], v6, v[16:17]
	v_lshlrev_b32_e32 v6, 20, v6
	v_lshlrev_b32_e32 v7, 24, v16
	v_and_b32_e32 v6, 0x700000, v6
	v_and_b32_e32 v7, 0x80000000, v7
	v_lshl_add_u32 v5, v5, 23, v29
	v_or3_b32 v5, v7, v5, v6
.LBB6_704:                              ;   in Loop: Header=BB6_124 Depth=2
	s_or_b64 exec, exec, s[58:59]
.LBB6_705:                              ;   in Loop: Header=BB6_124 Depth=2
	s_or_b64 exec, exec, s[56:57]
.LBB6_706:                              ;   in Loop: Header=BB6_124 Depth=2
	s_or_b64 exec, exec, s[22:23]
	v_cmp_ne_u16_sdwa vcc, v12, v57 src0_sel:BYTE_0 src1_sel:DWORD
	s_and_saveexec_b64 s[22:23], vcc
	s_cbranch_execz .LBB6_712
; %bb.707:                              ;   in Loop: Header=BB6_124 Depth=2
	v_cmp_ne_u16_sdwa vcc, v12, s75 src0_sel:BYTE_0 src1_sel:DWORD
	v_bfrev_b32_e32 v4, 1
	s_and_saveexec_b64 s[56:57], vcc
	s_cbranch_execz .LBB6_711
; %bb.708:                              ;   in Loop: Header=BB6_124 Depth=2
	v_and_b32_e32 v10, 0x7f, v12
	v_cmp_ne_u32_e32 vcc, s76, v10
	v_mov_b32_e32 v4, 0x7f800001
	s_and_saveexec_b64 s[58:59], vcc
	s_cbranch_execz .LBB6_710
; %bb.709:                              ;   in Loop: Header=BB6_124 Depth=2
	v_and_b32_e32 v4, 7, v12
	v_ffbh_u32_e32 v4, v4
	v_min_u32_e32 v4, 32, v4
	v_lshrrev_b32_e32 v6, 3, v10
	v_subrev_u32_e32 v7, 28, v4
	v_sub_u32_e32 v4, 29, v4
	v_cmp_gt_u32_e32 vcc, 8, v10
	v_cndmask_b32_e32 v4, v6, v4, vcc
	v_cndmask_b32_e32 v6, 0, v7, vcc
	v_lshlrev_b64 v[6:7], v6, v[12:13]
	v_lshlrev_b32_e32 v6, 20, v6
	v_lshlrev_b32_e32 v7, 24, v12
	v_and_b32_e32 v6, 0x700000, v6
	v_and_b32_e32 v7, 0x80000000, v7
	v_lshl_add_u32 v4, v4, 23, v29
	v_or3_b32 v4, v7, v4, v6
.LBB6_710:                              ;   in Loop: Header=BB6_124 Depth=2
	s_or_b64 exec, exec, s[58:59]
.LBB6_711:                              ;   in Loop: Header=BB6_124 Depth=2
	s_or_b64 exec, exec, s[56:57]
.LBB6_712:                              ;   in Loop: Header=BB6_124 Depth=2
	s_or_b64 exec, exec, s[22:23]
	v_add_f32_e32 v5, v5, v4
	v_and_b32_sdwa v4, v5, s75 dst_sel:DWORD dst_unused:UNUSED_PAD src0_sel:BYTE_3 src1_sel:DWORD
	v_and_b32_e32 v6, 0x7f800000, v5
	v_mov_b32_e32 v7, v57
	v_and_b32_e32 v56, 0x7fffff, v5
	v_or_b32_e32 v19, 0x7e, v4
	v_cmp_ne_u64_e32 vcc, s[42:43], v[6:7]
	s_and_saveexec_b64 s[22:23], vcc
	s_xor_b64 s[56:57], exec, s[22:23]
	s_cbranch_execz .LBB6_722
; %bb.713:                              ;   in Loop: Header=BB6_124 Depth=2
	v_and_b32_e32 v6, 0x7fffffff, v5
	v_mov_b32_e32 v7, v57
	v_cmp_gt_u64_e32 vcc, s[44:45], v[6:7]
	s_and_saveexec_b64 s[58:59], vcc
	s_cbranch_execz .LBB6_721
; %bb.714:                              ;   in Loop: Header=BB6_124 Depth=2
	v_cmp_ne_u32_e32 vcc, 0, v5
	v_mov_b32_e32 v19, 0
	s_and_saveexec_b64 s[60:61], vcc
	s_cbranch_execz .LBB6_720
; %bb.715:                              ;   in Loop: Header=BB6_124 Depth=2
	v_bfe_u32 v5, v5, 23, 8
	v_sub_u32_e32 v7, 0x79, v5
	v_cmp_gt_u32_e32 vcc, s77, v5
	v_add_u32_e32 v6, 0xffffff81, v5
	v_cndmask_b32_e32 v7, 0, v7, vcc
	v_cmp_eq_u32_e32 vcc, 0, v5
	v_cndmask_b32_e32 v5, v6, v33, vcc
	v_mov_b32_e32 v6, 0x78
	v_or_b32_e32 v8, 0x800000, v56
	v_cndmask_b32_e32 v14, v7, v6, vcc
	v_cndmask_b32_e32 v56, v8, v56, vcc
	v_add_u32_e32 v6, 20, v14
	v_lshlrev_b64 v[6:7], v6, -1
	v_lshrrev_b64 v[10:11], v14, v[56:57]
	v_not_b32_e32 v7, v7
	v_not_b32_e32 v6, v6
	v_add_u32_e32 v8, 19, v14
	v_lshrrev_b32_e32 v19, 23, v10
	v_and_b32_e32 v7, 0, v7
	v_and_b32_e32 v6, v56, v6
	v_lshlrev_b64 v[8:9], v8, 1
	v_add3_u32 v19, v14, v5, v19
	v_bfe_u32 v5, v10, 20, 1
	v_add_u32_e32 v5, -1, v5
	v_cmp_eq_u64_e32 vcc, v[6:7], v[8:9]
	v_cndmask_b32_e32 v5, 0, v5, vcc
	v_add_u32_e32 v5, v5, v10
	v_and_b32_e32 v5, 0xfffff, v5
	v_add_co_u32_e32 v10, vcc, v5, v10
	v_add_u32_e32 v14, 6, v19
	v_addc_co_u32_e32 v11, vcc, 0, v11, vcc
	v_cmp_ne_u32_e32 vcc, 0, v14
                                        ; implicit-def: $vgpr5
	s_and_saveexec_b64 s[22:23], vcc
	s_xor_b64 s[22:23], exec, s[22:23]
; %bb.716:                              ;   in Loop: Header=BB6_124 Depth=2
	v_cmp_lt_u64_e32 vcc, s[48:49], v[10:11]
	v_add_u32_e32 v5, 7, v19
	v_cndmask_b32_e64 v6, 0, 1, vcc
	v_cndmask_b32_e32 v5, v14, v5, vcc
	v_lshrrev_b64 v[10:11], v6, v[10:11]
; %bb.717:                              ;   in Loop: Header=BB6_124 Depth=2
	s_andn2_saveexec_b64 s[22:23], s[22:23]
; %bb.718:                              ;   in Loop: Header=BB6_124 Depth=2
	v_bfe_u32 v5, v10, 23, 1
; %bb.719:                              ;   in Loop: Header=BB6_124 Depth=2
	s_or_b64 exec, exec, s[22:23]
	v_lshrrev_b64 v[6:7], 20, v[10:11]
	v_cmp_gt_i32_e32 vcc, 16, v5
	v_cndmask_b32_e32 v7, 0, v7, vcc
	v_cndmask_b32_e32 v6, 7, v6, vcc
	v_cmp_eq_u32_e32 vcc, 0, v5
	v_min_i32_e32 v5, 15, v5
	v_cmp_eq_u64_e64 s[22:23], 0, v[6:7]
	v_lshlrev_b32_e32 v5, 3, v5
	v_and_or_b32 v5, v6, 7, v5
	s_and_b64 s[22:23], vcc, s[22:23]
	v_cndmask_b32_e64 v5, v5, 0, s[22:23]
	v_or_b32_e32 v19, v5, v4
.LBB6_720:                              ;   in Loop: Header=BB6_124 Depth=2
	s_or_b64 exec, exec, s[60:61]
.LBB6_721:                              ;   in Loop: Header=BB6_124 Depth=2
	s_or_b64 exec, exec, s[58:59]
                                        ; implicit-def: $vgpr5
.LBB6_722:                              ;   in Loop: Header=BB6_124 Depth=2
	s_andn2_saveexec_b64 s[22:23], s[56:57]
; %bb.723:                              ;   in Loop: Header=BB6_124 Depth=2
	v_or_b32_sdwa v4, v5, s76 dst_sel:DWORD dst_unused:UNUSED_PAD src0_sel:BYTE_3 src1_sel:DWORD
	v_cmp_eq_u64_e32 vcc, 0, v[56:57]
	v_cndmask_b32_e32 v19, v4, v19, vcc
; %bb.724:                              ;   in Loop: Header=BB6_124 Depth=2
	s_or_b64 exec, exec, s[22:23]
	v_lshrrev_b16_e32 v10, 8, v16
	v_cmp_ne_u16_e32 vcc, 0, v10
	v_mov_b32_e32 v4, 0
	v_mov_b32_e32 v5, 0
	s_and_saveexec_b64 s[22:23], vcc
	s_cbranch_execz .LBB6_730
; %bb.725:                              ;   in Loop: Header=BB6_124 Depth=2
	v_cmp_ne_u16_e32 vcc, s75, v10
	v_bfrev_b32_e32 v5, 1
	s_and_saveexec_b64 s[56:57], vcc
	s_cbranch_execz .LBB6_729
; %bb.726:                              ;   in Loop: Header=BB6_124 Depth=2
	v_and_b32_e32 v11, 0x7f, v10
	v_cmp_ne_u32_e32 vcc, s76, v11
	v_mov_b32_e32 v5, 0x7f800001
	s_and_saveexec_b64 s[58:59], vcc
	s_cbranch_execz .LBB6_728
; %bb.727:                              ;   in Loop: Header=BB6_124 Depth=2
	v_and_b32_e32 v5, 7, v10
	v_ffbh_u32_e32 v6, v5
	v_min_u32_e32 v9, 32, v6
	v_subrev_u32_e32 v6, 28, v9
	v_lshlrev_b64 v[6:7], v6, v[10:11]
	v_lshrrev_b32_e32 v8, 3, v11
	v_sub_u32_e32 v7, 29, v9
	v_and_b32_e32 v6, 7, v6
	v_cmp_gt_u32_e32 vcc, 8, v11
	v_cndmask_b32_e32 v7, v8, v7, vcc
	v_cndmask_b32_e32 v5, v5, v6, vcc
	v_lshlrev_b32_e32 v6, 16, v16
	v_lshlrev_b32_e32 v5, 20, v5
	v_and_b32_e32 v6, 0x80000000, v6
	v_lshl_add_u32 v7, v7, 23, v29
	v_or3_b32 v5, v6, v7, v5
.LBB6_728:                              ;   in Loop: Header=BB6_124 Depth=2
	s_or_b64 exec, exec, s[58:59]
.LBB6_729:                              ;   in Loop: Header=BB6_124 Depth=2
	s_or_b64 exec, exec, s[56:57]
.LBB6_730:                              ;   in Loop: Header=BB6_124 Depth=2
	s_or_b64 exec, exec, s[22:23]
	v_lshrrev_b16_e32 v10, 8, v12
	v_cmp_ne_u16_e32 vcc, 0, v10
	s_and_saveexec_b64 s[22:23], vcc
	s_cbranch_execz .LBB6_736
; %bb.731:                              ;   in Loop: Header=BB6_124 Depth=2
	v_cmp_ne_u16_e32 vcc, s75, v10
	v_bfrev_b32_e32 v4, 1
	s_and_saveexec_b64 s[56:57], vcc
	s_cbranch_execz .LBB6_735
; %bb.732:                              ;   in Loop: Header=BB6_124 Depth=2
	v_and_b32_e32 v11, 0x7f, v10
	v_cmp_ne_u32_e32 vcc, s76, v11
	v_mov_b32_e32 v4, 0x7f800001
	s_and_saveexec_b64 s[58:59], vcc
	s_cbranch_execz .LBB6_734
; %bb.733:                              ;   in Loop: Header=BB6_124 Depth=2
	v_and_b32_e32 v4, 7, v10
	v_ffbh_u32_e32 v6, v4
	v_min_u32_e32 v9, 32, v6
	v_subrev_u32_e32 v6, 28, v9
	v_lshlrev_b64 v[6:7], v6, v[10:11]
	v_lshrrev_b32_e32 v8, 3, v11
	v_sub_u32_e32 v7, 29, v9
	v_and_b32_e32 v6, 7, v6
	v_cmp_gt_u32_e32 vcc, 8, v11
	v_cndmask_b32_e32 v7, v8, v7, vcc
	v_cndmask_b32_e32 v4, v4, v6, vcc
	v_lshlrev_b32_e32 v6, 16, v12
	v_lshlrev_b32_e32 v4, 20, v4
	v_and_b32_e32 v6, 0x80000000, v6
	v_lshl_add_u32 v7, v7, 23, v29
	v_or3_b32 v4, v6, v7, v4
.LBB6_734:                              ;   in Loop: Header=BB6_124 Depth=2
	s_or_b64 exec, exec, s[58:59]
.LBB6_735:                              ;   in Loop: Header=BB6_124 Depth=2
	s_or_b64 exec, exec, s[56:57]
.LBB6_736:                              ;   in Loop: Header=BB6_124 Depth=2
	s_or_b64 exec, exec, s[22:23]
	v_add_f32_e32 v5, v5, v4
	v_and_b32_sdwa v4, v5, s75 dst_sel:DWORD dst_unused:UNUSED_PAD src0_sel:BYTE_3 src1_sel:DWORD
	v_and_b32_e32 v6, 0x7f800000, v5
	v_mov_b32_e32 v7, v57
	v_and_b32_e32 v56, 0x7fffff, v5
	v_or_b32_e32 v50, 0x7e, v4
	v_cmp_ne_u64_e32 vcc, s[42:43], v[6:7]
	s_and_saveexec_b64 s[22:23], vcc
	s_xor_b64 s[56:57], exec, s[22:23]
	s_cbranch_execz .LBB6_746
; %bb.737:                              ;   in Loop: Header=BB6_124 Depth=2
	v_and_b32_e32 v6, 0x7fffffff, v5
	v_mov_b32_e32 v7, v57
	v_cmp_gt_u64_e32 vcc, s[44:45], v[6:7]
	s_and_saveexec_b64 s[58:59], vcc
	s_cbranch_execz .LBB6_745
; %bb.738:                              ;   in Loop: Header=BB6_124 Depth=2
	v_cmp_ne_u32_e32 vcc, 0, v5
	v_mov_b32_e32 v50, 0
	s_and_saveexec_b64 s[60:61], vcc
	s_cbranch_execz .LBB6_744
; %bb.739:                              ;   in Loop: Header=BB6_124 Depth=2
	v_bfe_u32 v5, v5, 23, 8
	v_sub_u32_e32 v7, 0x79, v5
	v_cmp_gt_u32_e32 vcc, s77, v5
	v_add_u32_e32 v6, 0xffffff81, v5
	v_cndmask_b32_e32 v7, 0, v7, vcc
	v_cmp_eq_u32_e32 vcc, 0, v5
	v_cndmask_b32_e32 v5, v6, v33, vcc
	v_mov_b32_e32 v6, 0x78
	v_or_b32_e32 v8, 0x800000, v56
	v_cndmask_b32_e32 v14, v7, v6, vcc
	v_cndmask_b32_e32 v56, v8, v56, vcc
	v_add_u32_e32 v6, 20, v14
	v_lshlrev_b64 v[6:7], v6, -1
	v_lshrrev_b64 v[10:11], v14, v[56:57]
	v_not_b32_e32 v7, v7
	v_not_b32_e32 v6, v6
	v_add_u32_e32 v8, 19, v14
	v_lshrrev_b32_e32 v32, 23, v10
	v_and_b32_e32 v7, 0, v7
	v_and_b32_e32 v6, v56, v6
	v_lshlrev_b64 v[8:9], v8, 1
	v_add3_u32 v38, v14, v5, v32
	v_bfe_u32 v5, v10, 20, 1
	v_add_u32_e32 v5, -1, v5
	v_cmp_eq_u64_e32 vcc, v[6:7], v[8:9]
	v_cndmask_b32_e32 v5, 0, v5, vcc
	v_add_u32_e32 v5, v5, v10
	v_and_b32_e32 v5, 0xfffff, v5
	v_add_co_u32_e32 v10, vcc, v5, v10
	v_add_u32_e32 v14, 6, v38
	v_addc_co_u32_e32 v11, vcc, 0, v11, vcc
	v_cmp_ne_u32_e32 vcc, 0, v14
                                        ; implicit-def: $vgpr5
	s_and_saveexec_b64 s[22:23], vcc
	s_xor_b64 s[22:23], exec, s[22:23]
; %bb.740:                              ;   in Loop: Header=BB6_124 Depth=2
	v_cmp_lt_u64_e32 vcc, s[48:49], v[10:11]
	v_add_u32_e32 v5, 7, v38
	v_cndmask_b32_e64 v6, 0, 1, vcc
	v_cndmask_b32_e32 v5, v14, v5, vcc
	v_lshrrev_b64 v[10:11], v6, v[10:11]
; %bb.741:                              ;   in Loop: Header=BB6_124 Depth=2
	s_andn2_saveexec_b64 s[22:23], s[22:23]
; %bb.742:                              ;   in Loop: Header=BB6_124 Depth=2
	v_bfe_u32 v5, v10, 23, 1
; %bb.743:                              ;   in Loop: Header=BB6_124 Depth=2
	s_or_b64 exec, exec, s[22:23]
	v_lshrrev_b64 v[6:7], 20, v[10:11]
	v_cmp_gt_i32_e32 vcc, 16, v5
	v_cndmask_b32_e32 v7, 0, v7, vcc
	v_cndmask_b32_e32 v6, 7, v6, vcc
	v_cmp_eq_u32_e32 vcc, 0, v5
	v_min_i32_e32 v5, 15, v5
	v_cmp_eq_u64_e64 s[22:23], 0, v[6:7]
	v_lshlrev_b32_e32 v5, 3, v5
	v_and_or_b32 v5, v6, 7, v5
	s_and_b64 s[22:23], vcc, s[22:23]
	v_cndmask_b32_e64 v5, v5, 0, s[22:23]
	v_or_b32_e32 v50, v5, v4
.LBB6_744:                              ;   in Loop: Header=BB6_124 Depth=2
	s_or_b64 exec, exec, s[60:61]
.LBB6_745:                              ;   in Loop: Header=BB6_124 Depth=2
	s_or_b64 exec, exec, s[58:59]
                                        ; implicit-def: $vgpr5
.LBB6_746:                              ;   in Loop: Header=BB6_124 Depth=2
	s_andn2_saveexec_b64 s[22:23], s[56:57]
; %bb.747:                              ;   in Loop: Header=BB6_124 Depth=2
	v_or_b32_sdwa v4, v5, s76 dst_sel:DWORD dst_unused:UNUSED_PAD src0_sel:BYTE_3 src1_sel:DWORD
	v_cmp_eq_u64_e32 vcc, 0, v[56:57]
	v_cndmask_b32_e32 v50, v4, v50, vcc
; %bb.748:                              ;   in Loop: Header=BB6_124 Depth=2
	s_or_b64 exec, exec, s[22:23]
	v_lshrrev_b32_e32 v10, 16, v16
	v_cmp_ne_u16_sdwa vcc, v10, v57 src0_sel:BYTE_0 src1_sel:DWORD
	v_mov_b32_e32 v4, 0
	v_mov_b32_e32 v5, 0
	s_and_saveexec_b64 s[22:23], vcc
	s_cbranch_execz .LBB6_754
; %bb.749:                              ;   in Loop: Header=BB6_124 Depth=2
	v_cmp_ne_u16_sdwa vcc, v10, s75 src0_sel:BYTE_0 src1_sel:DWORD
	v_bfrev_b32_e32 v5, 1
	s_and_saveexec_b64 s[56:57], vcc
	s_cbranch_execz .LBB6_753
; %bb.750:                              ;   in Loop: Header=BB6_124 Depth=2
	v_bfe_u32 v11, v16, 16, 7
	v_cmp_ne_u32_e32 vcc, s76, v11
	v_mov_b32_e32 v5, 0x7f800001
	s_and_saveexec_b64 s[58:59], vcc
	s_cbranch_execz .LBB6_752
; %bb.751:                              ;   in Loop: Header=BB6_124 Depth=2
	v_and_b32_e32 v5, 7, v10
	v_ffbh_u32_e32 v6, v5
	v_min_u32_e32 v9, 32, v6
	v_subrev_u32_e32 v6, 28, v9
	v_lshlrev_b64 v[6:7], v6, v[10:11]
	v_lshrrev_b32_e32 v8, 3, v11
	v_sub_u32_e32 v7, 29, v9
	v_and_b32_e32 v6, 7, v6
	v_cmp_gt_u32_e32 vcc, 8, v11
	v_cndmask_b32_e32 v7, v8, v7, vcc
	v_cndmask_b32_e32 v5, v5, v6, vcc
	v_lshlrev_b32_e32 v6, 24, v10
	v_lshlrev_b32_e32 v5, 20, v5
	v_and_b32_e32 v6, 0x80000000, v6
	v_lshl_add_u32 v7, v7, 23, v29
	v_or3_b32 v5, v6, v7, v5
.LBB6_752:                              ;   in Loop: Header=BB6_124 Depth=2
	s_or_b64 exec, exec, s[58:59]
.LBB6_753:                              ;   in Loop: Header=BB6_124 Depth=2
	s_or_b64 exec, exec, s[56:57]
.LBB6_754:                              ;   in Loop: Header=BB6_124 Depth=2
	s_or_b64 exec, exec, s[22:23]
	v_lshrrev_b32_e32 v10, 16, v12
	v_cmp_ne_u16_sdwa vcc, v10, v57 src0_sel:BYTE_0 src1_sel:DWORD
	s_and_saveexec_b64 s[22:23], vcc
	s_cbranch_execz .LBB6_760
; %bb.755:                              ;   in Loop: Header=BB6_124 Depth=2
	v_cmp_ne_u16_sdwa vcc, v10, s75 src0_sel:BYTE_0 src1_sel:DWORD
	v_bfrev_b32_e32 v4, 1
	s_and_saveexec_b64 s[56:57], vcc
	s_cbranch_execz .LBB6_759
; %bb.756:                              ;   in Loop: Header=BB6_124 Depth=2
	v_bfe_u32 v11, v12, 16, 7
	v_cmp_ne_u32_e32 vcc, s76, v11
	v_mov_b32_e32 v4, 0x7f800001
	s_and_saveexec_b64 s[58:59], vcc
	s_cbranch_execz .LBB6_758
; %bb.757:                              ;   in Loop: Header=BB6_124 Depth=2
	v_and_b32_e32 v4, 7, v10
	v_ffbh_u32_e32 v6, v4
	v_min_u32_e32 v9, 32, v6
	v_subrev_u32_e32 v6, 28, v9
	v_lshlrev_b64 v[6:7], v6, v[10:11]
	v_lshrrev_b32_e32 v8, 3, v11
	v_sub_u32_e32 v7, 29, v9
	v_and_b32_e32 v6, 7, v6
	v_cmp_gt_u32_e32 vcc, 8, v11
	v_cndmask_b32_e32 v7, v8, v7, vcc
	v_cndmask_b32_e32 v4, v4, v6, vcc
	v_lshlrev_b32_e32 v6, 8, v12
	v_lshlrev_b32_e32 v4, 20, v4
	v_and_b32_e32 v6, 0x80000000, v6
	v_lshl_add_u32 v7, v7, 23, v29
	v_or3_b32 v4, v6, v7, v4
.LBB6_758:                              ;   in Loop: Header=BB6_124 Depth=2
	s_or_b64 exec, exec, s[58:59]
.LBB6_759:                              ;   in Loop: Header=BB6_124 Depth=2
	s_or_b64 exec, exec, s[56:57]
.LBB6_760:                              ;   in Loop: Header=BB6_124 Depth=2
	s_or_b64 exec, exec, s[22:23]
	v_add_f32_e32 v5, v5, v4
	v_and_b32_sdwa v4, v5, s75 dst_sel:DWORD dst_unused:UNUSED_PAD src0_sel:BYTE_3 src1_sel:DWORD
	v_and_b32_e32 v6, 0x7f800000, v5
	v_mov_b32_e32 v7, v57
	v_and_b32_e32 v56, 0x7fffff, v5
	v_or_b32_e32 v51, 0x7e, v4
	v_cmp_ne_u64_e32 vcc, s[42:43], v[6:7]
	s_and_saveexec_b64 s[22:23], vcc
	s_xor_b64 s[56:57], exec, s[22:23]
	s_cbranch_execz .LBB6_770
; %bb.761:                              ;   in Loop: Header=BB6_124 Depth=2
	v_and_b32_e32 v6, 0x7fffffff, v5
	v_mov_b32_e32 v7, v57
	v_cmp_gt_u64_e32 vcc, s[44:45], v[6:7]
	s_and_saveexec_b64 s[58:59], vcc
	s_cbranch_execz .LBB6_769
; %bb.762:                              ;   in Loop: Header=BB6_124 Depth=2
	v_cmp_ne_u32_e32 vcc, 0, v5
	v_mov_b32_e32 v51, 0
	s_and_saveexec_b64 s[60:61], vcc
	s_cbranch_execz .LBB6_768
; %bb.763:                              ;   in Loop: Header=BB6_124 Depth=2
	v_bfe_u32 v5, v5, 23, 8
	v_sub_u32_e32 v7, 0x79, v5
	v_cmp_gt_u32_e32 vcc, s77, v5
	v_add_u32_e32 v6, 0xffffff81, v5
	v_cndmask_b32_e32 v7, 0, v7, vcc
	v_cmp_eq_u32_e32 vcc, 0, v5
	v_cndmask_b32_e32 v5, v6, v33, vcc
	v_mov_b32_e32 v6, 0x78
	v_or_b32_e32 v8, 0x800000, v56
	v_cndmask_b32_e32 v14, v7, v6, vcc
	v_cndmask_b32_e32 v56, v8, v56, vcc
	v_add_u32_e32 v6, 20, v14
	v_lshlrev_b64 v[6:7], v6, -1
	v_lshrrev_b64 v[10:11], v14, v[56:57]
	v_not_b32_e32 v7, v7
	v_not_b32_e32 v6, v6
	v_add_u32_e32 v8, 19, v14
	v_lshrrev_b32_e32 v32, 23, v10
	v_and_b32_e32 v7, 0, v7
	v_and_b32_e32 v6, v56, v6
	v_lshlrev_b64 v[8:9], v8, 1
	v_add3_u32 v38, v14, v5, v32
	v_bfe_u32 v5, v10, 20, 1
	v_add_u32_e32 v5, -1, v5
	v_cmp_eq_u64_e32 vcc, v[6:7], v[8:9]
	v_cndmask_b32_e32 v5, 0, v5, vcc
	v_add_u32_e32 v5, v5, v10
	v_and_b32_e32 v5, 0xfffff, v5
	v_add_co_u32_e32 v10, vcc, v5, v10
	v_add_u32_e32 v14, 6, v38
	v_addc_co_u32_e32 v11, vcc, 0, v11, vcc
	v_cmp_ne_u32_e32 vcc, 0, v14
                                        ; implicit-def: $vgpr5
	s_and_saveexec_b64 s[22:23], vcc
	s_xor_b64 s[22:23], exec, s[22:23]
; %bb.764:                              ;   in Loop: Header=BB6_124 Depth=2
	v_cmp_lt_u64_e32 vcc, s[48:49], v[10:11]
	v_add_u32_e32 v5, 7, v38
	v_cndmask_b32_e64 v6, 0, 1, vcc
	v_cndmask_b32_e32 v5, v14, v5, vcc
	v_lshrrev_b64 v[10:11], v6, v[10:11]
; %bb.765:                              ;   in Loop: Header=BB6_124 Depth=2
	s_andn2_saveexec_b64 s[22:23], s[22:23]
; %bb.766:                              ;   in Loop: Header=BB6_124 Depth=2
	v_bfe_u32 v5, v10, 23, 1
; %bb.767:                              ;   in Loop: Header=BB6_124 Depth=2
	s_or_b64 exec, exec, s[22:23]
	v_lshrrev_b64 v[6:7], 20, v[10:11]
	v_cmp_gt_i32_e32 vcc, 16, v5
	v_cndmask_b32_e32 v7, 0, v7, vcc
	v_cndmask_b32_e32 v6, 7, v6, vcc
	v_cmp_eq_u32_e32 vcc, 0, v5
	v_min_i32_e32 v5, 15, v5
	v_cmp_eq_u64_e64 s[22:23], 0, v[6:7]
	v_lshlrev_b32_e32 v5, 3, v5
	v_and_or_b32 v5, v6, 7, v5
	s_and_b64 s[22:23], vcc, s[22:23]
	v_cndmask_b32_e64 v5, v5, 0, s[22:23]
	v_or_b32_e32 v51, v5, v4
.LBB6_768:                              ;   in Loop: Header=BB6_124 Depth=2
	s_or_b64 exec, exec, s[60:61]
.LBB6_769:                              ;   in Loop: Header=BB6_124 Depth=2
	s_or_b64 exec, exec, s[58:59]
                                        ; implicit-def: $vgpr5
.LBB6_770:                              ;   in Loop: Header=BB6_124 Depth=2
	s_andn2_saveexec_b64 s[22:23], s[56:57]
; %bb.771:                              ;   in Loop: Header=BB6_124 Depth=2
	v_or_b32_sdwa v4, v5, s76 dst_sel:DWORD dst_unused:UNUSED_PAD src0_sel:BYTE_3 src1_sel:DWORD
	v_cmp_eq_u64_e32 vcc, 0, v[56:57]
	v_cndmask_b32_e32 v51, v4, v51, vcc
; %bb.772:                              ;   in Loop: Header=BB6_124 Depth=2
	s_or_b64 exec, exec, s[22:23]
	v_cmp_lt_u32_e32 vcc, s47, v16
	v_mov_b32_e32 v4, 0
	v_mov_b32_e32 v5, 0
	s_and_saveexec_b64 s[22:23], vcc
	s_cbranch_execz .LBB6_778
; %bb.773:                              ;   in Loop: Header=BB6_124 Depth=2
	v_lshrrev_b32_e32 v10, 24, v16
	v_cmp_ne_u32_e32 vcc, s75, v10
	v_bfrev_b32_e32 v5, 1
	s_and_saveexec_b64 s[56:57], vcc
	s_cbranch_execz .LBB6_777
; %bb.774:                              ;   in Loop: Header=BB6_124 Depth=2
	v_bfe_u32 v11, v16, 24, 7
	v_cmp_ne_u32_e32 vcc, s76, v11
	v_mov_b32_e32 v5, 0x7f800001
	s_and_saveexec_b64 s[58:59], vcc
	s_cbranch_execz .LBB6_776
; %bb.775:                              ;   in Loop: Header=BB6_124 Depth=2
	v_and_b32_e32 v5, 7, v10
	v_ffbh_u32_e32 v6, v5
	v_min_u32_e32 v9, 32, v6
	v_subrev_u32_e32 v6, 28, v9
	v_lshlrev_b64 v[6:7], v6, v[10:11]
	v_lshrrev_b32_e32 v8, 3, v11
	v_sub_u32_e32 v7, 29, v9
	v_and_b32_e32 v6, 7, v6
	v_cmp_gt_u32_e32 vcc, 8, v11
	v_cndmask_b32_e32 v7, v8, v7, vcc
	v_cndmask_b32_e32 v5, v5, v6, vcc
	v_lshlrev_b32_e32 v6, 24, v10
	v_lshlrev_b32_e32 v5, 20, v5
	v_and_b32_e32 v6, 0x80000000, v6
	v_lshl_add_u32 v7, v7, 23, v29
	v_or3_b32 v5, v6, v7, v5
.LBB6_776:                              ;   in Loop: Header=BB6_124 Depth=2
	s_or_b64 exec, exec, s[58:59]
.LBB6_777:                              ;   in Loop: Header=BB6_124 Depth=2
	s_or_b64 exec, exec, s[56:57]
.LBB6_778:                              ;   in Loop: Header=BB6_124 Depth=2
	s_or_b64 exec, exec, s[22:23]
	v_cmp_lt_u32_e32 vcc, s47, v12
	s_and_saveexec_b64 s[22:23], vcc
	s_cbranch_execz .LBB6_784
; %bb.779:                              ;   in Loop: Header=BB6_124 Depth=2
	v_lshrrev_b32_e32 v10, 24, v12
	v_cmp_ne_u32_e32 vcc, s75, v10
	v_bfrev_b32_e32 v4, 1
	s_and_saveexec_b64 s[56:57], vcc
	s_cbranch_execz .LBB6_783
; %bb.780:                              ;   in Loop: Header=BB6_124 Depth=2
	v_bfe_u32 v11, v12, 24, 7
	v_cmp_ne_u32_e32 vcc, s76, v11
	v_mov_b32_e32 v4, 0x7f800001
	s_and_saveexec_b64 s[58:59], vcc
	s_cbranch_execz .LBB6_782
; %bb.781:                              ;   in Loop: Header=BB6_124 Depth=2
	v_and_b32_e32 v4, 7, v10
	v_ffbh_u32_e32 v6, v4
	v_min_u32_e32 v9, 32, v6
	v_subrev_u32_e32 v6, 28, v9
	v_lshlrev_b64 v[6:7], v6, v[10:11]
	v_lshrrev_b32_e32 v8, 3, v11
	v_sub_u32_e32 v7, 29, v9
	v_and_b32_e32 v6, 7, v6
	v_cmp_gt_u32_e32 vcc, 8, v11
	v_cndmask_b32_e32 v7, v8, v7, vcc
	v_cndmask_b32_e32 v4, v4, v6, vcc
	v_lshlrev_b32_e32 v6, 24, v10
	v_lshlrev_b32_e32 v4, 20, v4
	v_and_b32_e32 v6, 0x80000000, v6
	v_lshl_add_u32 v7, v7, 23, v29
	v_or3_b32 v4, v6, v7, v4
.LBB6_782:                              ;   in Loop: Header=BB6_124 Depth=2
	s_or_b64 exec, exec, s[58:59]
.LBB6_783:                              ;   in Loop: Header=BB6_124 Depth=2
	s_or_b64 exec, exec, s[56:57]
.LBB6_784:                              ;   in Loop: Header=BB6_124 Depth=2
	s_or_b64 exec, exec, s[22:23]
	v_add_f32_e32 v10, v5, v4
	v_and_b32_sdwa v5, v10, s75 dst_sel:DWORD dst_unused:UNUSED_PAD src0_sel:BYTE_3 src1_sel:DWORD
	v_and_b32_e32 v6, 0x7f800000, v10
	v_mov_b32_e32 v7, v57
	v_and_b32_e32 v56, 0x7fffff, v10
	v_or_b32_e32 v4, 0x7e, v5
	v_cmp_ne_u64_e32 vcc, s[42:43], v[6:7]
	s_and_saveexec_b64 s[22:23], vcc
	s_xor_b64 s[56:57], exec, s[22:23]
	s_cbranch_execz .LBB6_794
; %bb.785:                              ;   in Loop: Header=BB6_124 Depth=2
	v_and_b32_e32 v6, 0x7fffffff, v10
	v_mov_b32_e32 v7, v57
	v_cmp_gt_u64_e32 vcc, s[44:45], v[6:7]
	s_and_saveexec_b64 s[58:59], vcc
	s_cbranch_execz .LBB6_793
; %bb.786:                              ;   in Loop: Header=BB6_124 Depth=2
	v_cmp_ne_u32_e32 vcc, 0, v10
	v_mov_b32_e32 v4, 0
	s_and_saveexec_b64 s[60:61], vcc
	s_cbranch_execz .LBB6_792
; %bb.787:                              ;   in Loop: Header=BB6_124 Depth=2
	v_bfe_u32 v4, v10, 23, 8
	v_sub_u32_e32 v7, 0x79, v4
	v_cmp_gt_u32_e32 vcc, s77, v4
	v_add_u32_e32 v6, 0xffffff81, v4
	v_cndmask_b32_e32 v7, 0, v7, vcc
	v_cmp_eq_u32_e32 vcc, 0, v4
	v_cndmask_b32_e32 v4, v6, v33, vcc
	v_mov_b32_e32 v6, 0x78
	v_or_b32_e32 v8, 0x800000, v56
	v_cndmask_b32_e32 v14, v7, v6, vcc
	v_cndmask_b32_e32 v56, v8, v56, vcc
	v_add_u32_e32 v6, 20, v14
	v_lshlrev_b64 v[6:7], v6, -1
	v_lshrrev_b64 v[10:11], v14, v[56:57]
	v_not_b32_e32 v7, v7
	v_not_b32_e32 v6, v6
	v_add_u32_e32 v8, 19, v14
	v_lshrrev_b32_e32 v32, 23, v10
	v_and_b32_e32 v7, 0, v7
	v_and_b32_e32 v6, v56, v6
	v_lshlrev_b64 v[8:9], v8, 1
	v_add3_u32 v38, v14, v4, v32
	v_bfe_u32 v4, v10, 20, 1
	v_add_u32_e32 v4, -1, v4
	v_cmp_eq_u64_e32 vcc, v[6:7], v[8:9]
	v_cndmask_b32_e32 v4, 0, v4, vcc
	v_add_u32_e32 v4, v4, v10
	v_and_b32_e32 v4, 0xfffff, v4
	v_add_co_u32_e32 v10, vcc, v4, v10
	v_add_u32_e32 v14, 6, v38
	v_addc_co_u32_e32 v11, vcc, 0, v11, vcc
	v_cmp_ne_u32_e32 vcc, 0, v14
                                        ; implicit-def: $vgpr4
	s_and_saveexec_b64 s[22:23], vcc
	s_xor_b64 s[22:23], exec, s[22:23]
; %bb.788:                              ;   in Loop: Header=BB6_124 Depth=2
	v_cmp_lt_u64_e32 vcc, s[48:49], v[10:11]
	v_add_u32_e32 v4, 7, v38
	v_cndmask_b32_e64 v6, 0, 1, vcc
	v_cndmask_b32_e32 v4, v14, v4, vcc
	v_lshrrev_b64 v[10:11], v6, v[10:11]
; %bb.789:                              ;   in Loop: Header=BB6_124 Depth=2
	s_andn2_saveexec_b64 s[22:23], s[22:23]
; %bb.790:                              ;   in Loop: Header=BB6_124 Depth=2
	v_bfe_u32 v4, v10, 23, 1
; %bb.791:                              ;   in Loop: Header=BB6_124 Depth=2
	s_or_b64 exec, exec, s[22:23]
	v_lshrrev_b64 v[6:7], 20, v[10:11]
	v_cmp_gt_i32_e32 vcc, 16, v4
	v_cndmask_b32_e32 v7, 0, v7, vcc
	v_cndmask_b32_e32 v6, 7, v6, vcc
	v_cmp_eq_u32_e32 vcc, 0, v4
	v_min_i32_e32 v4, 15, v4
	v_cmp_eq_u64_e64 s[22:23], 0, v[6:7]
	v_lshlrev_b32_e32 v4, 3, v4
	v_and_or_b32 v4, v6, 7, v4
	s_and_b64 s[22:23], vcc, s[22:23]
	v_cndmask_b32_e64 v4, v4, 0, s[22:23]
	v_or_b32_e32 v4, v4, v5
.LBB6_792:                              ;   in Loop: Header=BB6_124 Depth=2
	s_or_b64 exec, exec, s[60:61]
.LBB6_793:                              ;   in Loop: Header=BB6_124 Depth=2
	s_or_b64 exec, exec, s[58:59]
                                        ; implicit-def: $vgpr10
.LBB6_794:                              ;   in Loop: Header=BB6_124 Depth=2
	s_andn2_saveexec_b64 s[22:23], s[56:57]
; %bb.795:                              ;   in Loop: Header=BB6_124 Depth=2
	v_or_b32_sdwa v5, v10, s76 dst_sel:DWORD dst_unused:UNUSED_PAD src0_sel:BYTE_3 src1_sel:DWORD
	v_cmp_eq_u64_e32 vcc, 0, v[56:57]
	v_cndmask_b32_e32 v4, v5, v4, vcc
; %bb.796:                              ;   in Loop: Header=BB6_124 Depth=2
	s_or_b64 exec, exec, s[22:23]
	v_mov_b32_e32 v56, v17
	v_cmp_ne_u16_sdwa vcc, v17, v57 src0_sel:BYTE_0 src1_sel:DWORD
	v_mov_b32_e32 v10, 0
	v_mov_b32_e32 v5, 0
	s_and_saveexec_b64 s[22:23], vcc
	s_cbranch_execz .LBB6_802
; %bb.797:                              ;   in Loop: Header=BB6_124 Depth=2
	v_cmp_ne_u16_sdwa vcc, v17, s75 src0_sel:BYTE_0 src1_sel:DWORD
	v_bfrev_b32_e32 v5, 1
	s_and_saveexec_b64 s[56:57], vcc
	s_cbranch_execz .LBB6_801
; %bb.798:                              ;   in Loop: Header=BB6_124 Depth=2
	v_and_b32_e32 v11, 0x7f, v17
	v_cmp_ne_u32_e32 vcc, s76, v11
	v_mov_b32_e32 v5, 0x7f800001
	s_and_saveexec_b64 s[58:59], vcc
	s_cbranch_execz .LBB6_800
; %bb.799:                              ;   in Loop: Header=BB6_124 Depth=2
	v_and_b32_e32 v5, 7, v17
	v_ffbh_u32_e32 v5, v5
	v_min_u32_e32 v5, 32, v5
	v_lshrrev_b32_e32 v6, 3, v11
	v_subrev_u32_e32 v7, 28, v5
	v_sub_u32_e32 v5, 29, v5
	v_cmp_gt_u32_e32 vcc, 8, v11
	v_cndmask_b32_e32 v5, v6, v5, vcc
	v_cndmask_b32_e32 v6, 0, v7, vcc
	v_lshlrev_b64 v[6:7], v6, v[56:57]
	v_lshlrev_b32_e32 v6, 20, v6
	v_lshlrev_b32_e32 v7, 24, v56
	v_and_b32_e32 v6, 0x700000, v6
	v_and_b32_e32 v7, 0x80000000, v7
	v_lshl_add_u32 v5, v5, 23, v29
	v_or3_b32 v5, v7, v5, v6
.LBB6_800:                              ;   in Loop: Header=BB6_124 Depth=2
	s_or_b64 exec, exec, s[58:59]
.LBB6_801:                              ;   in Loop: Header=BB6_124 Depth=2
	s_or_b64 exec, exec, s[56:57]
.LBB6_802:                              ;   in Loop: Header=BB6_124 Depth=2
	s_or_b64 exec, exec, s[22:23]
	v_cmp_ne_u16_sdwa vcc, v13, v57 src0_sel:BYTE_0 src1_sel:DWORD
	s_and_saveexec_b64 s[22:23], vcc
	s_cbranch_execz .LBB6_808
; %bb.803:                              ;   in Loop: Header=BB6_124 Depth=2
	v_cmp_ne_u16_sdwa vcc, v13, s75 src0_sel:BYTE_0 src1_sel:DWORD
	v_bfrev_b32_e32 v10, 1
	s_and_saveexec_b64 s[56:57], vcc
	s_cbranch_execz .LBB6_807
; %bb.804:                              ;   in Loop: Header=BB6_124 Depth=2
	v_and_b32_e32 v11, 0x7f, v13
	v_cmp_ne_u32_e32 vcc, s76, v11
	v_mov_b32_e32 v10, 0x7f800001
	s_and_saveexec_b64 s[58:59], vcc
	s_cbranch_execz .LBB6_806
; %bb.805:                              ;   in Loop: Header=BB6_124 Depth=2
	v_and_b32_e32 v8, 7, v13
	v_ffbh_u32_e32 v8, v8
	v_min_u32_e32 v8, 32, v8
	v_lshrrev_b32_e32 v9, 3, v11
	v_subrev_u32_e32 v10, 28, v8
	v_sub_u32_e32 v8, 29, v8
	v_cmp_gt_u32_e32 vcc, 8, v11
	v_mov_b32_e32 v6, v13
	v_mov_b32_e32 v7, v57
	v_cndmask_b32_e32 v11, v9, v8, vcc
	v_cndmask_b32_e32 v8, 0, v10, vcc
	v_lshlrev_b64 v[8:9], v8, v[6:7]
	v_lshlrev_b32_e32 v7, 20, v8
	v_lshlrev_b32_e32 v6, 24, v6
	v_and_b32_e32 v7, 0x700000, v7
	v_and_b32_e32 v6, 0x80000000, v6
	v_lshl_add_u32 v8, v11, 23, v29
	v_or3_b32 v10, v6, v8, v7
.LBB6_806:                              ;   in Loop: Header=BB6_124 Depth=2
	s_or_b64 exec, exec, s[58:59]
.LBB6_807:                              ;   in Loop: Header=BB6_124 Depth=2
	s_or_b64 exec, exec, s[56:57]
.LBB6_808:                              ;   in Loop: Header=BB6_124 Depth=2
	s_or_b64 exec, exec, s[22:23]
	v_add_f32_e32 v48, v5, v10
	v_and_b32_sdwa v14, v48, s75 dst_sel:DWORD dst_unused:UNUSED_PAD src0_sel:BYTE_3 src1_sel:DWORD
	v_and_b32_e32 v6, 0x7f800000, v48
	v_mov_b32_e32 v7, v57
	v_and_b32_e32 v10, 0x7fffff, v48
	v_mov_b32_e32 v11, v57
	v_or_b32_e32 v5, 0x7e, v14
	v_cmp_ne_u64_e32 vcc, s[42:43], v[6:7]
	s_and_saveexec_b64 s[22:23], vcc
	s_xor_b64 s[56:57], exec, s[22:23]
	s_cbranch_execz .LBB6_818
; %bb.809:                              ;   in Loop: Header=BB6_124 Depth=2
	v_and_b32_e32 v6, 0x7fffffff, v48
	v_mov_b32_e32 v7, v57
	v_cmp_gt_u64_e32 vcc, s[44:45], v[6:7]
	s_and_saveexec_b64 s[58:59], vcc
	s_cbranch_execz .LBB6_817
; %bb.810:                              ;   in Loop: Header=BB6_124 Depth=2
	v_cmp_ne_u32_e32 vcc, 0, v48
	v_mov_b32_e32 v5, 0
	s_and_saveexec_b64 s[60:61], vcc
	s_cbranch_execz .LBB6_816
; %bb.811:                              ;   in Loop: Header=BB6_124 Depth=2
	v_bfe_u32 v5, v48, 23, 8
	v_sub_u32_e32 v7, 0x79, v5
	v_cmp_gt_u32_e32 vcc, s77, v5
	v_add_u32_e32 v6, 0xffffff81, v5
	v_cndmask_b32_e32 v7, 0, v7, vcc
	v_cmp_eq_u32_e32 vcc, 0, v5
	v_cndmask_b32_e32 v5, v6, v33, vcc
	v_mov_b32_e32 v6, 0x78
	v_cndmask_b32_e32 v32, v7, v6, vcc
	v_add_u32_e32 v6, 20, v32
	v_or_b32_e32 v8, 0x800000, v10
	v_lshlrev_b64 v[6:7], v6, -1
	v_cndmask_b32_e32 v10, v8, v10, vcc
	v_not_b32_e32 v6, v6
	v_and_b32_e32 v6, v10, v6
	v_lshrrev_b64 v[10:11], v32, v[10:11]
	v_not_b32_e32 v7, v7
	v_add_u32_e32 v8, 19, v32
	v_lshrrev_b32_e32 v33, 23, v10
	v_and_b32_e32 v7, 0, v7
	v_lshlrev_b64 v[8:9], v8, 1
	v_add3_u32 v38, v32, v5, v33
	v_bfe_u32 v5, v10, 20, 1
	v_add_u32_e32 v5, -1, v5
	v_cmp_eq_u64_e32 vcc, v[6:7], v[8:9]
	v_cndmask_b32_e32 v5, 0, v5, vcc
	v_add_u32_e32 v5, v5, v10
	v_and_b32_e32 v5, 0xfffff, v5
	v_add_co_u32_e32 v10, vcc, v5, v10
	v_add_u32_e32 v48, 6, v38
	v_addc_co_u32_e32 v11, vcc, 0, v11, vcc
	v_cmp_ne_u32_e32 vcc, 0, v48
                                        ; implicit-def: $vgpr5
	s_and_saveexec_b64 s[22:23], vcc
	s_xor_b64 s[22:23], exec, s[22:23]
; %bb.812:                              ;   in Loop: Header=BB6_124 Depth=2
	v_cmp_lt_u64_e32 vcc, s[48:49], v[10:11]
	v_add_u32_e32 v5, 7, v38
	v_cndmask_b32_e64 v6, 0, 1, vcc
	v_cndmask_b32_e32 v5, v48, v5, vcc
	v_lshrrev_b64 v[10:11], v6, v[10:11]
; %bb.813:                              ;   in Loop: Header=BB6_124 Depth=2
	s_andn2_saveexec_b64 s[22:23], s[22:23]
; %bb.814:                              ;   in Loop: Header=BB6_124 Depth=2
	v_bfe_u32 v5, v10, 23, 1
; %bb.815:                              ;   in Loop: Header=BB6_124 Depth=2
	s_or_b64 exec, exec, s[22:23]
	v_lshrrev_b64 v[6:7], 20, v[10:11]
	v_cmp_gt_i32_e32 vcc, 16, v5
	v_cndmask_b32_e32 v7, 0, v7, vcc
	v_cndmask_b32_e32 v6, 7, v6, vcc
	v_cmp_eq_u32_e32 vcc, 0, v5
	v_min_i32_e32 v5, 15, v5
	v_cmp_eq_u64_e64 s[22:23], 0, v[6:7]
	v_lshlrev_b32_e32 v5, 3, v5
	v_and_or_b32 v5, v6, 7, v5
	s_and_b64 s[22:23], vcc, s[22:23]
	v_cndmask_b32_e64 v5, v5, 0, s[22:23]
	v_or_b32_e32 v5, v5, v14
	v_mov_b32_e32 v33, 0xffffff82
.LBB6_816:                              ;   in Loop: Header=BB6_124 Depth=2
	s_or_b64 exec, exec, s[60:61]
.LBB6_817:                              ;   in Loop: Header=BB6_124 Depth=2
	s_or_b64 exec, exec, s[58:59]
                                        ; implicit-def: $vgpr48
                                        ; implicit-def: $vgpr10_vgpr11
.LBB6_818:                              ;   in Loop: Header=BB6_124 Depth=2
	s_andn2_saveexec_b64 s[22:23], s[56:57]
; %bb.819:                              ;   in Loop: Header=BB6_124 Depth=2
	v_or_b32_sdwa v6, v48, s76 dst_sel:DWORD dst_unused:UNUSED_PAD src0_sel:BYTE_3 src1_sel:DWORD
	v_cmp_eq_u64_e32 vcc, 0, v[10:11]
	v_cndmask_b32_e32 v5, v6, v5, vcc
; %bb.820:                              ;   in Loop: Header=BB6_124 Depth=2
	s_or_b64 exec, exec, s[22:23]
	v_lshrrev_b16_e32 v10, 8, v56
	v_cmp_ne_u16_e32 vcc, 0, v10
	v_mov_b32_e32 v11, 0
	v_mov_b32_e32 v48, 0
	s_and_saveexec_b64 s[22:23], vcc
	s_cbranch_execz .LBB6_826
; %bb.821:                              ;   in Loop: Header=BB6_124 Depth=2
	v_cmp_ne_u16_e32 vcc, s75, v10
	v_bfrev_b32_e32 v48, 1
	s_and_saveexec_b64 s[56:57], vcc
	s_cbranch_execz .LBB6_825
; %bb.822:                              ;   in Loop: Header=BB6_124 Depth=2
	v_and_b32_e32 v14, 0x7f, v10
	v_cmp_ne_u32_e32 vcc, s76, v14
	v_mov_b32_e32 v48, 0x7f800001
	s_and_saveexec_b64 s[58:59], vcc
	s_cbranch_execz .LBB6_824
; %bb.823:                              ;   in Loop: Header=BB6_124 Depth=2
	v_and_b32_e32 v8, 7, v10
	v_ffbh_u32_e32 v6, v8
	v_min_u32_e32 v32, 32, v6
	v_subrev_u32_e32 v6, 28, v32
	v_lshlrev_b64 v[6:7], v6, v[10:11]
	v_lshrrev_b32_e32 v9, 3, v14
	v_sub_u32_e32 v7, 29, v32
	v_and_b32_e32 v6, 7, v6
	v_cmp_gt_u32_e32 vcc, 8, v14
	v_cndmask_b32_e32 v7, v9, v7, vcc
	v_cndmask_b32_e32 v6, v8, v6, vcc
	v_lshlrev_b32_e32 v8, 16, v56
	v_lshlrev_b32_e32 v6, 20, v6
	v_and_b32_e32 v8, 0x80000000, v8
	v_lshl_add_u32 v7, v7, 23, v29
	v_or3_b32 v48, v8, v7, v6
.LBB6_824:                              ;   in Loop: Header=BB6_124 Depth=2
	s_or_b64 exec, exec, s[58:59]
.LBB6_825:                              ;   in Loop: Header=BB6_124 Depth=2
	s_or_b64 exec, exec, s[56:57]
.LBB6_826:                              ;   in Loop: Header=BB6_124 Depth=2
	s_or_b64 exec, exec, s[22:23]
	v_mov_b32_e32 v10, v13
	v_lshrrev_b16_e32 v14, 8, v10
	v_cmp_ne_u16_e32 vcc, 0, v14
	s_and_saveexec_b64 s[22:23], vcc
	s_cbranch_execz .LBB6_832
; %bb.827:                              ;   in Loop: Header=BB6_124 Depth=2
	v_cmp_ne_u16_e32 vcc, s75, v14
	v_bfrev_b32_e32 v11, 1
	s_and_saveexec_b64 s[56:57], vcc
	s_cbranch_execz .LBB6_831
; %bb.828:                              ;   in Loop: Header=BB6_124 Depth=2
	v_and_b32_e32 v38, 0x7f, v14
	v_cmp_ne_u32_e32 vcc, s76, v38
	v_mov_b32_e32 v11, 0x7f800001
	s_and_saveexec_b64 s[58:59], vcc
	s_cbranch_execz .LBB6_830
; %bb.829:                              ;   in Loop: Header=BB6_124 Depth=2
	v_and_b32_e32 v8, 7, v14
	v_ffbh_u32_e32 v6, v8
	v_min_u32_e32 v11, 32, v6
	v_subrev_u32_e32 v6, 28, v11
	v_lshlrev_b64 v[6:7], v6, v[14:15]
	v_lshrrev_b32_e32 v9, 3, v38
	v_sub_u32_e32 v7, 29, v11
	v_and_b32_e32 v6, 7, v6
	v_cmp_gt_u32_e32 vcc, 8, v38
	v_cndmask_b32_e32 v7, v9, v7, vcc
	v_cndmask_b32_e32 v6, v8, v6, vcc
	v_lshlrev_b32_e32 v8, 16, v10
	v_lshlrev_b32_e32 v6, 20, v6
	v_and_b32_e32 v8, 0x80000000, v8
	v_lshl_add_u32 v7, v7, 23, v29
	v_or3_b32 v11, v8, v7, v6
.LBB6_830:                              ;   in Loop: Header=BB6_124 Depth=2
	s_or_b64 exec, exec, s[58:59]
.LBB6_831:                              ;   in Loop: Header=BB6_124 Depth=2
	s_or_b64 exec, exec, s[56:57]
.LBB6_832:                              ;   in Loop: Header=BB6_124 Depth=2
	s_or_b64 exec, exec, s[22:23]
	v_add_f32_e32 v10, v48, v11
	v_and_b32_sdwa v48, v10, s75 dst_sel:DWORD dst_unused:UNUSED_PAD src0_sel:BYTE_3 src1_sel:DWORD
	v_and_b32_e32 v6, 0x7f800000, v10
	v_mov_b32_e32 v7, v57
	v_and_b32_e32 v56, 0x7fffff, v10
	v_or_b32_e32 v14, 0x7e, v48
	v_cmp_ne_u64_e32 vcc, s[42:43], v[6:7]
	s_and_saveexec_b64 s[22:23], vcc
	s_xor_b64 s[56:57], exec, s[22:23]
	s_cbranch_execz .LBB6_842
; %bb.833:                              ;   in Loop: Header=BB6_124 Depth=2
	v_and_b32_e32 v6, 0x7fffffff, v10
	v_mov_b32_e32 v7, v57
	v_cmp_gt_u64_e32 vcc, s[44:45], v[6:7]
	s_and_saveexec_b64 s[58:59], vcc
	s_cbranch_execz .LBB6_841
; %bb.834:                              ;   in Loop: Header=BB6_124 Depth=2
	v_cmp_ne_u32_e32 vcc, 0, v10
	v_mov_b32_e32 v14, 0
	s_and_saveexec_b64 s[60:61], vcc
	s_cbranch_execz .LBB6_840
; %bb.835:                              ;   in Loop: Header=BB6_124 Depth=2
	v_bfe_u32 v6, v10, 23, 8
	v_sub_u32_e32 v8, 0x79, v6
	v_cmp_gt_u32_e32 vcc, s77, v6
	v_add_u32_e32 v7, 0xffffff81, v6
	v_cndmask_b32_e32 v8, 0, v8, vcc
	v_cmp_eq_u32_e32 vcc, 0, v6
	v_mov_b32_e32 v6, 0x78
	v_or_b32_e32 v9, 0x800000, v56
	v_cndmask_b32_e32 v32, v8, v6, vcc
	v_cndmask_b32_e32 v56, v9, v56, vcc
	v_add_u32_e32 v6, 20, v32
	v_cndmask_b32_e32 v14, v7, v33, vcc
	v_lshlrev_b64 v[6:7], v6, -1
	v_lshrrev_b64 v[10:11], v32, v[56:57]
	v_not_b32_e32 v7, v7
	v_not_b32_e32 v6, v6
	v_add_u32_e32 v8, 19, v32
	v_lshrrev_b32_e32 v33, 23, v10
	v_and_b32_e32 v7, 0, v7
	v_and_b32_e32 v6, v56, v6
	v_lshlrev_b64 v[8:9], v8, 1
	v_add3_u32 v38, v32, v14, v33
	v_bfe_u32 v14, v10, 20, 1
	v_add_u32_e32 v14, -1, v14
	v_cmp_eq_u64_e32 vcc, v[6:7], v[8:9]
	v_cndmask_b32_e32 v6, 0, v14, vcc
	v_add_u32_e32 v6, v6, v10
	v_and_b32_e32 v6, 0xfffff, v6
	v_add_co_u32_e32 v10, vcc, v6, v10
	v_add_u32_e32 v49, 6, v38
	v_addc_co_u32_e32 v11, vcc, 0, v11, vcc
	v_cmp_ne_u32_e32 vcc, 0, v49
                                        ; implicit-def: $vgpr14
	s_and_saveexec_b64 s[22:23], vcc
	s_xor_b64 s[22:23], exec, s[22:23]
; %bb.836:                              ;   in Loop: Header=BB6_124 Depth=2
	v_add_u32_e32 v6, 7, v38
	v_cmp_lt_u64_e32 vcc, s[48:49], v[10:11]
	v_cndmask_b32_e32 v14, v49, v6, vcc
	v_cndmask_b32_e64 v6, 0, 1, vcc
	v_lshrrev_b64 v[10:11], v6, v[10:11]
; %bb.837:                              ;   in Loop: Header=BB6_124 Depth=2
	s_andn2_saveexec_b64 s[22:23], s[22:23]
; %bb.838:                              ;   in Loop: Header=BB6_124 Depth=2
	v_bfe_u32 v14, v10, 23, 1
; %bb.839:                              ;   in Loop: Header=BB6_124 Depth=2
	s_or_b64 exec, exec, s[22:23]
	v_lshrrev_b64 v[6:7], 20, v[10:11]
	v_cmp_gt_i32_e32 vcc, 16, v14
	v_cndmask_b32_e32 v7, 0, v7, vcc
	v_cndmask_b32_e32 v6, 7, v6, vcc
	v_cmp_eq_u64_e64 s[22:23], 0, v[6:7]
	v_min_i32_e32 v7, 15, v14
	v_cmp_eq_u32_e32 vcc, 0, v14
	v_lshlrev_b32_e32 v7, 3, v7
	v_and_or_b32 v6, v6, 7, v7
	s_and_b64 s[22:23], vcc, s[22:23]
	v_cndmask_b32_e64 v6, v6, 0, s[22:23]
	v_or_b32_e32 v14, v6, v48
	v_mov_b32_e32 v33, 0xffffff82
.LBB6_840:                              ;   in Loop: Header=BB6_124 Depth=2
	s_or_b64 exec, exec, s[60:61]
.LBB6_841:                              ;   in Loop: Header=BB6_124 Depth=2
	s_or_b64 exec, exec, s[58:59]
                                        ; implicit-def: $vgpr10
.LBB6_842:                              ;   in Loop: Header=BB6_124 Depth=2
	s_andn2_saveexec_b64 s[22:23], s[56:57]
; %bb.843:                              ;   in Loop: Header=BB6_124 Depth=2
	v_or_b32_sdwa v6, v10, s76 dst_sel:DWORD dst_unused:UNUSED_PAD src0_sel:BYTE_3 src1_sel:DWORD
	v_cmp_eq_u64_e32 vcc, 0, v[56:57]
	v_cndmask_b32_e32 v14, v6, v14, vcc
; %bb.844:                              ;   in Loop: Header=BB6_124 Depth=2
	s_or_b64 exec, exec, s[22:23]
	v_lshrrev_b32_e32 v10, 16, v17
	v_cmp_ne_u16_sdwa vcc, v10, v57 src0_sel:BYTE_0 src1_sel:DWORD
	v_mov_b32_e32 v11, 0
	v_mov_b32_e32 v48, 0
	s_and_saveexec_b64 s[22:23], vcc
	s_cbranch_execz .LBB6_850
; %bb.845:                              ;   in Loop: Header=BB6_124 Depth=2
	v_cmp_ne_u16_sdwa vcc, v10, s75 src0_sel:BYTE_0 src1_sel:DWORD
	v_bfrev_b32_e32 v48, 1
	s_and_saveexec_b64 s[56:57], vcc
	s_cbranch_execz .LBB6_849
; %bb.846:                              ;   in Loop: Header=BB6_124 Depth=2
	v_bfe_u32 v38, v17, 16, 7
	v_cmp_ne_u32_e32 vcc, s76, v38
	v_mov_b32_e32 v48, 0x7f800001
	s_and_saveexec_b64 s[58:59], vcc
	s_cbranch_execz .LBB6_848
; %bb.847:                              ;   in Loop: Header=BB6_124 Depth=2
	v_and_b32_e32 v8, 7, v10
	v_ffbh_u32_e32 v6, v8
	v_min_u32_e32 v32, 32, v6
	v_subrev_u32_e32 v6, 28, v32
	v_lshlrev_b64 v[6:7], v6, v[10:11]
	v_lshrrev_b32_e32 v9, 3, v38
	v_sub_u32_e32 v7, 29, v32
	v_and_b32_e32 v6, 7, v6
	v_cmp_gt_u32_e32 vcc, 8, v38
	v_cndmask_b32_e32 v7, v9, v7, vcc
	v_cndmask_b32_e32 v6, v8, v6, vcc
	v_lshlrev_b32_e32 v8, 24, v10
	v_lshlrev_b32_e32 v6, 20, v6
	v_and_b32_e32 v8, 0x80000000, v8
	v_lshl_add_u32 v7, v7, 23, v29
	v_or3_b32 v48, v8, v7, v6
.LBB6_848:                              ;   in Loop: Header=BB6_124 Depth=2
	s_or_b64 exec, exec, s[58:59]
.LBB6_849:                              ;   in Loop: Header=BB6_124 Depth=2
	s_or_b64 exec, exec, s[56:57]
.LBB6_850:                              ;   in Loop: Header=BB6_124 Depth=2
	s_or_b64 exec, exec, s[22:23]
	v_lshrrev_b32_e32 v10, 16, v13
	v_cmp_ne_u16_sdwa vcc, v10, v57 src0_sel:BYTE_0 src1_sel:DWORD
	s_and_saveexec_b64 s[22:23], vcc
	s_cbranch_execz .LBB6_856
; %bb.851:                              ;   in Loop: Header=BB6_124 Depth=2
	v_cmp_ne_u16_sdwa vcc, v10, s75 src0_sel:BYTE_0 src1_sel:DWORD
	v_bfrev_b32_e32 v11, 1
	s_and_saveexec_b64 s[56:57], vcc
	s_cbranch_execz .LBB6_855
; %bb.852:                              ;   in Loop: Header=BB6_124 Depth=2
	v_bfe_u32 v38, v13, 16, 7
	v_cmp_ne_u32_e32 vcc, s76, v38
	v_mov_b32_e32 v11, 0x7f800001
	s_and_saveexec_b64 s[58:59], vcc
	s_cbranch_execz .LBB6_854
; %bb.853:                              ;   in Loop: Header=BB6_124 Depth=2
	v_and_b32_e32 v8, 7, v10
	v_ffbh_u32_e32 v6, v8
	v_min_u32_e32 v11, 32, v6
	v_subrev_u32_e32 v6, 28, v11
	v_lshlrev_b64 v[6:7], v6, v[10:11]
	v_lshrrev_b32_e32 v9, 3, v38
	v_sub_u32_e32 v7, 29, v11
	v_and_b32_e32 v6, 7, v6
	v_cmp_gt_u32_e32 vcc, 8, v38
	v_cndmask_b32_e32 v7, v9, v7, vcc
	v_cndmask_b32_e32 v6, v8, v6, vcc
	v_lshlrev_b32_e32 v8, 8, v13
	v_lshlrev_b32_e32 v6, 20, v6
	v_and_b32_e32 v8, 0x80000000, v8
	v_lshl_add_u32 v7, v7, 23, v29
	v_or3_b32 v11, v8, v7, v6
.LBB6_854:                              ;   in Loop: Header=BB6_124 Depth=2
	s_or_b64 exec, exec, s[58:59]
.LBB6_855:                              ;   in Loop: Header=BB6_124 Depth=2
	s_or_b64 exec, exec, s[56:57]
.LBB6_856:                              ;   in Loop: Header=BB6_124 Depth=2
	s_or_b64 exec, exec, s[22:23]
	v_add_f32_e32 v10, v48, v11
	v_and_b32_sdwa v49, v10, s75 dst_sel:DWORD dst_unused:UNUSED_PAD src0_sel:BYTE_3 src1_sel:DWORD
	v_and_b32_e32 v6, 0x7f800000, v10
	v_mov_b32_e32 v7, v57
	v_and_b32_e32 v56, 0x7fffff, v10
	v_or_b32_e32 v48, 0x7e, v49
	v_cmp_ne_u64_e32 vcc, s[42:43], v[6:7]
	s_and_saveexec_b64 s[22:23], vcc
	s_xor_b64 s[56:57], exec, s[22:23]
	s_cbranch_execz .LBB6_866
; %bb.857:                              ;   in Loop: Header=BB6_124 Depth=2
	v_and_b32_e32 v6, 0x7fffffff, v10
	v_mov_b32_e32 v7, v57
	v_cmp_gt_u64_e32 vcc, s[44:45], v[6:7]
	s_and_saveexec_b64 s[58:59], vcc
	s_cbranch_execz .LBB6_865
; %bb.858:                              ;   in Loop: Header=BB6_124 Depth=2
	v_cmp_ne_u32_e32 vcc, 0, v10
	v_mov_b32_e32 v48, 0
	s_and_saveexec_b64 s[60:61], vcc
	s_cbranch_execz .LBB6_864
; %bb.859:                              ;   in Loop: Header=BB6_124 Depth=2
	v_bfe_u32 v6, v10, 23, 8
	v_sub_u32_e32 v8, 0x79, v6
	v_cmp_gt_u32_e32 vcc, s77, v6
	v_add_u32_e32 v7, 0xffffff81, v6
	v_cndmask_b32_e32 v8, 0, v8, vcc
	v_cmp_eq_u32_e32 vcc, 0, v6
	v_mov_b32_e32 v6, 0x78
	v_or_b32_e32 v9, 0x800000, v56
	v_cndmask_b32_e32 v32, v7, v33, vcc
	v_cndmask_b32_e32 v33, v8, v6, vcc
	;; [unrolled: 1-line block ×3, first 2 shown]
	v_add_u32_e32 v6, 20, v33
	v_lshlrev_b64 v[6:7], v6, -1
	v_lshrrev_b64 v[10:11], v33, v[56:57]
	v_not_b32_e32 v7, v7
	v_not_b32_e32 v6, v6
	v_add_u32_e32 v8, 19, v33
	v_lshrrev_b32_e32 v38, 23, v10
	v_and_b32_e32 v7, 0, v7
	v_and_b32_e32 v6, v56, v6
	v_lshlrev_b64 v[8:9], v8, 1
	v_add3_u32 v38, v33, v32, v38
	v_bfe_u32 v32, v10, 20, 1
	v_add_u32_e32 v32, -1, v32
	v_cmp_eq_u64_e32 vcc, v[6:7], v[8:9]
	v_cndmask_b32_e32 v6, 0, v32, vcc
	v_add_u32_e32 v6, v6, v10
	v_and_b32_e32 v6, 0xfffff, v6
	v_add_co_u32_e32 v10, vcc, v6, v10
	v_add_u32_e32 v56, 6, v38
	v_addc_co_u32_e32 v11, vcc, 0, v11, vcc
	v_cmp_ne_u32_e32 vcc, 0, v56
                                        ; implicit-def: $vgpr48
	s_and_saveexec_b64 s[22:23], vcc
	s_xor_b64 s[22:23], exec, s[22:23]
; %bb.860:                              ;   in Loop: Header=BB6_124 Depth=2
	v_add_u32_e32 v6, 7, v38
	v_cmp_lt_u64_e32 vcc, s[48:49], v[10:11]
	v_cndmask_b32_e32 v48, v56, v6, vcc
	v_cndmask_b32_e64 v6, 0, 1, vcc
	v_lshrrev_b64 v[10:11], v6, v[10:11]
; %bb.861:                              ;   in Loop: Header=BB6_124 Depth=2
	s_andn2_saveexec_b64 s[22:23], s[22:23]
; %bb.862:                              ;   in Loop: Header=BB6_124 Depth=2
	v_bfe_u32 v48, v10, 23, 1
; %bb.863:                              ;   in Loop: Header=BB6_124 Depth=2
	s_or_b64 exec, exec, s[22:23]
	v_lshrrev_b64 v[6:7], 20, v[10:11]
	v_cmp_gt_i32_e32 vcc, 16, v48
	v_cndmask_b32_e32 v7, 0, v7, vcc
	v_cndmask_b32_e32 v6, 7, v6, vcc
	v_cmp_eq_u64_e64 s[22:23], 0, v[6:7]
	v_min_i32_e32 v7, 15, v48
	v_lshlrev_b32_e32 v7, 3, v7
	v_cmp_eq_u32_e32 vcc, 0, v48
	v_and_b32_e32 v7, 0xf8, v7
	v_and_or_b32 v6, v6, 7, v7
	s_and_b64 s[22:23], vcc, s[22:23]
	v_cndmask_b32_e64 v6, v6, 0, s[22:23]
	v_or_b32_e32 v48, v6, v49
	v_mov_b32_e32 v33, 0xffffff82
.LBB6_864:                              ;   in Loop: Header=BB6_124 Depth=2
	s_or_b64 exec, exec, s[60:61]
.LBB6_865:                              ;   in Loop: Header=BB6_124 Depth=2
	s_or_b64 exec, exec, s[58:59]
                                        ; implicit-def: $vgpr10
.LBB6_866:                              ;   in Loop: Header=BB6_124 Depth=2
	s_andn2_saveexec_b64 s[22:23], s[56:57]
; %bb.867:                              ;   in Loop: Header=BB6_124 Depth=2
	v_or_b32_sdwa v6, v10, s76 dst_sel:DWORD dst_unused:UNUSED_PAD src0_sel:BYTE_3 src1_sel:DWORD
	v_cmp_eq_u64_e32 vcc, 0, v[56:57]
	v_cndmask_b32_e32 v48, v6, v48, vcc
; %bb.868:                              ;   in Loop: Header=BB6_124 Depth=2
	s_or_b64 exec, exec, s[22:23]
	v_cmp_lt_u64_e32 vcc, s[46:47], v[16:17]
	v_mov_b32_e32 v11, 0
	v_mov_b32_e32 v16, 0
	s_and_saveexec_b64 s[22:23], vcc
	s_cbranch_execz .LBB6_874
; %bb.869:                              ;   in Loop: Header=BB6_124 Depth=2
	v_lshrrev_b32_e32 v10, 24, v17
	v_cmp_ne_u32_e32 vcc, s75, v10
	v_bfrev_b32_e32 v16, 1
	s_and_saveexec_b64 s[56:57], vcc
	s_cbranch_execz .LBB6_873
; %bb.870:                              ;   in Loop: Header=BB6_124 Depth=2
	v_bfe_u32 v17, v17, 24, 7
	v_cmp_ne_u32_e32 vcc, s76, v17
	v_mov_b32_e32 v16, 0x7f800001
	s_and_saveexec_b64 s[58:59], vcc
	s_cbranch_execz .LBB6_872
; %bb.871:                              ;   in Loop: Header=BB6_124 Depth=2
	v_and_b32_e32 v8, 7, v10
	v_ffbh_u32_e32 v6, v8
	v_min_u32_e32 v16, 32, v6
	v_subrev_u32_e32 v6, 28, v16
	v_lshlrev_b64 v[6:7], v6, v[10:11]
	v_lshrrev_b32_e32 v9, 3, v17
	v_sub_u32_e32 v7, 29, v16
	v_and_b32_e32 v6, 7, v6
	v_cmp_gt_u32_e32 vcc, 8, v17
	v_cndmask_b32_e32 v7, v9, v7, vcc
	v_cndmask_b32_e32 v6, v8, v6, vcc
	v_lshlrev_b32_e32 v8, 24, v10
	v_lshlrev_b32_e32 v6, 20, v6
	v_and_b32_e32 v8, 0x80000000, v8
	v_lshl_add_u32 v7, v7, 23, v29
	v_or3_b32 v16, v8, v7, v6
.LBB6_872:                              ;   in Loop: Header=BB6_124 Depth=2
	s_or_b64 exec, exec, s[58:59]
.LBB6_873:                              ;   in Loop: Header=BB6_124 Depth=2
	s_or_b64 exec, exec, s[56:57]
.LBB6_874:                              ;   in Loop: Header=BB6_124 Depth=2
	s_or_b64 exec, exec, s[22:23]
	v_cmp_lt_u64_e32 vcc, s[46:47], v[12:13]
	s_and_saveexec_b64 s[22:23], vcc
	s_cbranch_execz .LBB6_880
; %bb.875:                              ;   in Loop: Header=BB6_124 Depth=2
	v_lshrrev_b32_e32 v10, 24, v13
	v_cmp_ne_u32_e32 vcc, s75, v10
	v_bfrev_b32_e32 v11, 1
	s_and_saveexec_b64 s[56:57], vcc
	s_cbranch_execz .LBB6_879
; %bb.876:                              ;   in Loop: Header=BB6_124 Depth=2
	v_bfe_u32 v12, v13, 24, 7
	v_cmp_ne_u32_e32 vcc, s76, v12
	v_mov_b32_e32 v11, 0x7f800001
	s_and_saveexec_b64 s[58:59], vcc
	s_cbranch_execz .LBB6_878
; %bb.877:                              ;   in Loop: Header=BB6_124 Depth=2
	v_and_b32_e32 v8, 7, v10
	v_ffbh_u32_e32 v6, v8
	v_min_u32_e32 v11, 32, v6
	v_subrev_u32_e32 v6, 28, v11
	v_lshlrev_b64 v[6:7], v6, v[10:11]
	v_lshrrev_b32_e32 v9, 3, v12
	v_sub_u32_e32 v7, 29, v11
	v_and_b32_e32 v6, 7, v6
	v_cmp_gt_u32_e32 vcc, 8, v12
	v_cndmask_b32_e32 v7, v9, v7, vcc
	v_cndmask_b32_e32 v6, v8, v6, vcc
	v_lshlrev_b32_e32 v8, 24, v10
	v_lshlrev_b32_e32 v6, 20, v6
	v_and_b32_e32 v8, 0x80000000, v8
	v_lshl_add_u32 v7, v7, 23, v29
	v_or3_b32 v11, v8, v7, v6
.LBB6_878:                              ;   in Loop: Header=BB6_124 Depth=2
	s_or_b64 exec, exec, s[58:59]
.LBB6_879:                              ;   in Loop: Header=BB6_124 Depth=2
	s_or_b64 exec, exec, s[56:57]
.LBB6_880:                              ;   in Loop: Header=BB6_124 Depth=2
	s_or_b64 exec, exec, s[22:23]
	v_add_f32_e32 v11, v16, v11
	v_and_b32_sdwa v12, v11, s75 dst_sel:DWORD dst_unused:UNUSED_PAD src0_sel:BYTE_3 src1_sel:DWORD
	v_and_b32_e32 v6, 0x7f800000, v11
	v_mov_b32_e32 v7, v57
	v_and_b32_e32 v56, 0x7fffff, v11
	v_or_b32_e32 v10, 0x7e, v12
	v_cmp_ne_u64_e32 vcc, s[42:43], v[6:7]
	s_and_saveexec_b64 s[22:23], vcc
	s_xor_b64 s[56:57], exec, s[22:23]
	s_cbranch_execz .LBB6_890
; %bb.881:                              ;   in Loop: Header=BB6_124 Depth=2
	v_and_b32_e32 v6, 0x7fffffff, v11
	v_mov_b32_e32 v7, v57
	v_cmp_gt_u64_e32 vcc, s[44:45], v[6:7]
	s_and_saveexec_b64 s[58:59], vcc
	s_cbranch_execz .LBB6_889
; %bb.882:                              ;   in Loop: Header=BB6_124 Depth=2
	v_cmp_ne_u32_e32 vcc, 0, v11
	v_mov_b32_e32 v10, 0
	s_and_saveexec_b64 s[60:61], vcc
	s_cbranch_execz .LBB6_888
; %bb.883:                              ;   in Loop: Header=BB6_124 Depth=2
	v_bfe_u32 v6, v11, 23, 8
	v_sub_u32_e32 v8, 0x79, v6
	v_cmp_gt_u32_e32 vcc, s77, v6
	v_add_u32_e32 v7, 0xffffff81, v6
	v_cndmask_b32_e32 v8, 0, v8, vcc
	v_cmp_eq_u32_e32 vcc, 0, v6
	v_mov_b32_e32 v6, 0x78
	v_or_b32_e32 v9, 0x800000, v56
	v_cndmask_b32_e32 v16, v8, v6, vcc
	v_cndmask_b32_e32 v56, v9, v56, vcc
	v_add_u32_e32 v6, 20, v16
	v_cndmask_b32_e32 v13, v7, v33, vcc
	v_lshlrev_b64 v[6:7], v6, -1
	v_lshrrev_b64 v[10:11], v16, v[56:57]
	v_not_b32_e32 v7, v7
	v_not_b32_e32 v6, v6
	v_add_u32_e32 v8, 19, v16
	v_lshrrev_b32_e32 v17, 23, v10
	v_and_b32_e32 v7, 0, v7
	v_and_b32_e32 v6, v56, v6
	v_lshlrev_b64 v[8:9], v8, 1
	v_add3_u32 v17, v16, v13, v17
	v_bfe_u32 v13, v10, 20, 1
	v_add_u32_e32 v13, -1, v13
	v_cmp_eq_u64_e32 vcc, v[6:7], v[8:9]
	v_cndmask_b32_e32 v6, 0, v13, vcc
	v_add_u32_e32 v6, v6, v10
	v_and_b32_e32 v6, 0xfffff, v6
	v_add_co_u32_e32 v10, vcc, v6, v10
	v_add_u32_e32 v16, 6, v17
	v_addc_co_u32_e32 v11, vcc, 0, v11, vcc
	v_cmp_ne_u32_e32 vcc, 0, v16
                                        ; implicit-def: $vgpr13
	s_and_saveexec_b64 s[22:23], vcc
	s_xor_b64 s[22:23], exec, s[22:23]
; %bb.884:                              ;   in Loop: Header=BB6_124 Depth=2
	v_add_u32_e32 v6, 7, v17
	v_cmp_lt_u64_e32 vcc, s[48:49], v[10:11]
	v_cndmask_b32_e32 v13, v16, v6, vcc
	v_cndmask_b32_e64 v6, 0, 1, vcc
	v_lshrrev_b64 v[10:11], v6, v[10:11]
; %bb.885:                              ;   in Loop: Header=BB6_124 Depth=2
	s_andn2_saveexec_b64 s[22:23], s[22:23]
; %bb.886:                              ;   in Loop: Header=BB6_124 Depth=2
	v_bfe_u32 v13, v10, 23, 1
; %bb.887:                              ;   in Loop: Header=BB6_124 Depth=2
	s_or_b64 exec, exec, s[22:23]
	v_lshrrev_b64 v[6:7], 20, v[10:11]
	v_cmp_gt_i32_e32 vcc, 16, v13
	v_cndmask_b32_e32 v7, 0, v7, vcc
	v_cndmask_b32_e32 v6, 7, v6, vcc
	v_cmp_eq_u64_e64 s[22:23], 0, v[6:7]
	v_min_i32_e32 v7, 15, v13
	v_lshlrev_b32_e32 v7, 3, v7
	v_cmp_eq_u32_e32 vcc, 0, v13
	v_and_b32_e32 v7, 0xf8, v7
	v_and_or_b32 v6, v6, 7, v7
	s_and_b64 s[22:23], vcc, s[22:23]
	v_cndmask_b32_e64 v6, v6, 0, s[22:23]
	v_or_b32_e32 v10, v6, v12
.LBB6_888:                              ;   in Loop: Header=BB6_124 Depth=2
	s_or_b64 exec, exec, s[60:61]
.LBB6_889:                              ;   in Loop: Header=BB6_124 Depth=2
	s_or_b64 exec, exec, s[58:59]
                                        ; implicit-def: $vgpr11
.LBB6_890:                              ;   in Loop: Header=BB6_124 Depth=2
	s_andn2_saveexec_b64 s[22:23], s[56:57]
	s_cbranch_execz .LBB6_123
; %bb.891:                              ;   in Loop: Header=BB6_124 Depth=2
	v_or_b32_sdwa v6, v11, s76 dst_sel:DWORD dst_unused:UNUSED_PAD src0_sel:BYTE_3 src1_sel:DWORD
	v_cmp_eq_u64_e32 vcc, 0, v[56:57]
	v_cndmask_b32_e32 v10, v6, v10, vcc
	s_branch .LBB6_123
.LBB6_892:                              ;   in Loop: Header=BB6_49 Depth=1
	s_or_b64 exec, exec, s[54:55]
	v_accvgpr_read_b32 v41, a5
	v_accvgpr_read_b32 v59, a7
	;; [unrolled: 1-line block ×8, first 2 shown]
.LBB6_893:                              ;   in Loop: Header=BB6_49 Depth=1
	s_or_b64 exec, exec, s[24:25]
	v_accvgpr_read_b32 v0, a37
	v_and_b32_e32 v4, 0x3ffff800, v0
	v_cmp_ne_u32_e32 vcc, v4, v0
	s_mov_b64 s[22:23], 0
	v_mov_b32_e32 v0, 0
                                        ; implicit-def: $vgpr1
                                        ; implicit-def: $vgpr3
                                        ; implicit-def: $vgpr2
	s_and_saveexec_b64 s[54:55], vcc
	s_cbranch_execz .LBB6_1285
; %bb.894:                              ;   in Loop: Header=BB6_49 Depth=1
	v_lshlrev_b32_e32 v0, 6, v47
	v_accvgpr_read_b32 v1, a19
	v_sub_u32_e32 v0, v1, v0
	v_ashrrev_i32_e32 v1, 31, v0
	v_lshrrev_b32_e32 v1, 26, v1
	v_add_u32_e32 v1, v0, v1
	v_accvgpr_read_b32 v43, a37
	v_ashrrev_i32_e32 v3, 6, v1
	v_and_b32_e32 v1, 0xffffffc0, v1
	v_and_b32_e32 v2, 0x7ff, v43
	v_sub_u32_e32 v26, v0, v1
	v_and_b32_e32 v6, 0x400, v43
	v_lshlrev_b32_e32 v0, 4, v26
	v_sub_u32_e32 v34, v2, v6
	v_lshl_add_u32 v1, v3, 10, v0
	v_bfe_u32 v5, v43, 10, 1
	v_cmp_lt_i32_e32 vcc, 15, v34
	v_sub_u32_e32 v0, v2, v1
	v_addc_co_u32_e64 v2, s[22:23], 0, v5, vcc
	v_sub_u32_e32 v27, v2, v3
	v_cmp_lt_i32_e64 s[22:23], 15, v0
	s_mov_b64 s[56:57], exec
	s_and_b64 s[22:23], s[56:57], s[22:23]
	v_accvgpr_read_b32 v55, a34
	s_mov_b64 exec, s[22:23]
	s_cbranch_execz .LBB6_1282
; %bb.895:                              ;   in Loop: Header=BB6_49 Depth=1
	s_trap 2
	ds_read_b128 v[6:9], v0
	ds_read_b64 v[2:3], v0
	v_add_u32_e32 v1, v1, v4
	v_ashrrev_i32_e32 v4, 31, v1
	s_mov_b64 s[58:59], 0
	s_waitcnt lgkmcnt(0)
	v_add_co_u32_e64 v18, s[22:23], v6, v1
	v_addc_co_u32_e64 v19, s[22:23], v7, v4, s[22:23]
	v_add_co_u32_e64 v20, s[22:23], v8, v1
	v_addc_co_u32_e64 v21, s[22:23], v9, v4, s[22:23]
	;; [unrolled: 2-line block ×3, first 2 shown]
	s_branch .LBB6_897
.LBB6_896:                              ;   in Loop: Header=BB6_897 Depth=2
	s_or_b64 exec, exec, s[24:25]
	v_lshlrev_b32_e32 v6, 8, v52
	v_perm_b32 v6, v6, v30, s78
	v_lshl_or_b32 v6, v24, 16, v6
	v_and_b32_e32 v2, 0xff, v2
	v_lshlrev_b32_e32 v3, 8, v3
	v_lshl_or_b32 v7, v15, 24, v6
	v_lshlrev_b32_e32 v6, 24, v35
	v_lshlrev_b32_e32 v2, 16, v2
	v_perm_b32 v1, v3, v1, s78
	v_or3_b32 v6, v6, v2, v1
	v_and_b32_e32 v1, 0xff, v51
	v_lshlrev_b32_e32 v3, 8, v50
	v_lshlrev_b32_e32 v2, 24, v4
	;; [unrolled: 1-line block ×3, first 2 shown]
	v_perm_b32 v3, v3, v25, s78
	v_or3_b32 v8, v2, v1, v3
	v_lshlrev_b32_e32 v1, 8, v14
	v_add_co_u32_e64 v18, s[22:23], v18, v31
	v_perm_b32 v1, v1, v5, s78
	v_addc_co_u32_e64 v19, s[22:23], v19, v28, s[22:23]
	v_lshl_or_b32 v1, v48, 16, v1
	v_add_co_u32_e64 v20, s[22:23], v20, v31
	v_lshl_or_b32 v9, v10, 24, v1
	v_addc_co_u32_e64 v21, s[22:23], v21, v28, s[22:23]
	global_store_dwordx4 v[22:23], v[6:9], off glc slc
	v_add_co_u32_e64 v22, s[22:23], v22, v31
	v_addc_co_u32_e64 v23, s[22:23], v23, v28, s[22:23]
	v_sub_u32_e32 v0, v0, v55
	v_cmp_gt_i32_e64 s[22:23], 16, v0
	v_accvgpr_read_b32 v2, a28
	s_or_b64 s[58:59], s[22:23], s[58:59]
	v_sub_u32_e32 v27, v27, v2
	s_andn2_b64 exec, exec, s[58:59]
	s_cbranch_execz .LBB6_1281
.LBB6_897:                              ;   Parent Loop BB6_49 Depth=1
                                        ; =>  This Inner Loop Header: Depth=2
	global_load_dwordx4 v[14:17], v[18:19], off glc slc
	global_load_dwordx4 v[10:13], v[20:21], off glc slc
	v_mov_b32_e32 v1, 0
	v_mov_b32_e32 v2, 0
	s_waitcnt vmcnt(0)
	v_cmp_ne_u16_sdwa s[22:23], v14, v57 src0_sel:BYTE_0 src1_sel:DWORD
	s_and_saveexec_b64 s[24:25], s[22:23]
	s_cbranch_execz .LBB6_903
; %bb.898:                              ;   in Loop: Header=BB6_897 Depth=2
	v_cmp_ne_u16_sdwa s[22:23], v14, s75 src0_sel:BYTE_0 src1_sel:DWORD
	v_bfrev_b32_e32 v2, 1
	s_and_saveexec_b64 s[60:61], s[22:23]
	s_cbranch_execz .LBB6_902
; %bb.899:                              ;   in Loop: Header=BB6_897 Depth=2
	v_and_b32_e32 v3, 0x7f, v14
	v_cmp_ne_u32_e64 s[22:23], s76, v3
	v_mov_b32_e32 v2, 0x7f800001
	s_and_saveexec_b64 s[62:63], s[22:23]
	s_cbranch_execz .LBB6_901
; %bb.900:                              ;   in Loop: Header=BB6_897 Depth=2
	v_and_b32_e32 v2, 7, v14
	v_ffbh_u32_e32 v2, v2
	v_min_u32_e32 v2, 32, v2
	v_lshrrev_b32_e32 v4, 3, v3
	v_subrev_u32_e32 v5, 28, v2
	v_sub_u32_e32 v2, 29, v2
	v_cmp_gt_u32_e64 s[22:23], 8, v3
	v_cndmask_b32_e64 v4, v4, v2, s[22:23]
	v_cndmask_b32_e64 v2, 0, v5, s[22:23]
	v_lshlrev_b64 v[2:3], v2, v[14:15]
	v_lshlrev_b32_e32 v2, 20, v2
	v_lshlrev_b32_e32 v3, 24, v14
	v_and_b32_e32 v2, 0x700000, v2
	v_and_b32_e32 v3, 0x80000000, v3
	v_lshl_add_u32 v4, v4, 23, v29
	v_or3_b32 v2, v3, v4, v2
.LBB6_901:                              ;   in Loop: Header=BB6_897 Depth=2
	s_or_b64 exec, exec, s[62:63]
.LBB6_902:                              ;   in Loop: Header=BB6_897 Depth=2
	s_or_b64 exec, exec, s[60:61]
.LBB6_903:                              ;   in Loop: Header=BB6_897 Depth=2
	s_or_b64 exec, exec, s[24:25]
	v_cmp_ne_u16_sdwa s[22:23], v10, v57 src0_sel:BYTE_0 src1_sel:DWORD
	s_and_saveexec_b64 s[24:25], s[22:23]
	s_cbranch_execz .LBB6_909
; %bb.904:                              ;   in Loop: Header=BB6_897 Depth=2
	v_cmp_ne_u16_sdwa s[22:23], v10, s75 src0_sel:BYTE_0 src1_sel:DWORD
	v_bfrev_b32_e32 v1, 1
	s_and_saveexec_b64 s[60:61], s[22:23]
	s_cbranch_execz .LBB6_908
; %bb.905:                              ;   in Loop: Header=BB6_897 Depth=2
	v_and_b32_e32 v3, 0x7f, v10
	v_cmp_ne_u32_e64 s[22:23], s76, v3
	v_mov_b32_e32 v1, 0x7f800001
	s_and_saveexec_b64 s[62:63], s[22:23]
	s_cbranch_execz .LBB6_907
; %bb.906:                              ;   in Loop: Header=BB6_897 Depth=2
	v_and_b32_e32 v1, 7, v10
	v_ffbh_u32_e32 v1, v1
	v_min_u32_e32 v1, 32, v1
	v_subrev_u32_e32 v5, 28, v1
	v_cmp_gt_u32_e64 s[22:23], 8, v3
	v_lshrrev_b32_e32 v4, 3, v3
	v_sub_u32_e32 v1, 29, v1
	v_cndmask_b32_e64 v3, 0, v5, s[22:23]
	v_cndmask_b32_e64 v1, v4, v1, s[22:23]
	v_lshlrev_b64 v[4:5], v3, v[10:11]
	v_lshlrev_b32_e32 v3, 20, v4
	v_lshlrev_b32_e32 v4, 24, v10
	v_and_b32_e32 v3, 0x700000, v3
	v_and_b32_e32 v4, 0x80000000, v4
	v_lshl_add_u32 v1, v1, 23, v29
	v_or3_b32 v1, v4, v1, v3
.LBB6_907:                              ;   in Loop: Header=BB6_897 Depth=2
	s_or_b64 exec, exec, s[62:63]
.LBB6_908:                              ;   in Loop: Header=BB6_897 Depth=2
	s_or_b64 exec, exec, s[60:61]
.LBB6_909:                              ;   in Loop: Header=BB6_897 Depth=2
	s_or_b64 exec, exec, s[24:25]
	v_add_f32_e32 v3, v2, v1
	v_and_b32_sdwa v2, v3, s75 dst_sel:DWORD dst_unused:UNUSED_PAD src0_sel:BYTE_3 src1_sel:DWORD
	v_and_b32_e32 v4, 0x7f800000, v3
	v_mov_b32_e32 v5, v57
	v_and_b32_e32 v56, 0x7fffff, v3
	v_or_b32_e32 v1, 0x7e, v2
	v_cmp_ne_u64_e64 s[22:23], s[42:43], v[4:5]
	s_and_saveexec_b64 s[24:25], s[22:23]
	s_xor_b64 s[60:61], exec, s[24:25]
	s_cbranch_execz .LBB6_919
; %bb.910:                              ;   in Loop: Header=BB6_897 Depth=2
	v_and_b32_e32 v4, 0x7fffffff, v3
	v_mov_b32_e32 v5, v57
	v_cmp_gt_u64_e64 s[22:23], s[44:45], v[4:5]
	s_and_saveexec_b64 s[62:63], s[22:23]
	s_cbranch_execz .LBB6_918
; %bb.911:                              ;   in Loop: Header=BB6_897 Depth=2
	v_cmp_ne_u32_e64 s[22:23], 0, v3
	v_mov_b32_e32 v1, 0
	s_and_saveexec_b64 s[64:65], s[22:23]
	s_cbranch_execz .LBB6_917
; %bb.912:                              ;   in Loop: Header=BB6_897 Depth=2
	v_bfe_u32 v1, v3, 23, 8
	v_sub_u32_e32 v4, 0x79, v1
	v_cmp_gt_u32_e64 s[22:23], s77, v1
	v_add_u32_e32 v3, 0xffffff81, v1
	v_cndmask_b32_e64 v4, 0, v4, s[22:23]
	v_cmp_eq_u32_e64 s[22:23], 0, v1
	v_cndmask_b32_e64 v1, v3, v33, s[22:23]
	v_mov_b32_e32 v3, 0x78
	v_cndmask_b32_e64 v3, v4, v3, s[22:23]
	v_or_b32_e32 v5, 0x800000, v56
	v_add_u32_e32 v4, 20, v3
	v_cndmask_b32_e64 v56, v5, v56, s[22:23]
	v_lshlrev_b64 v[4:5], v4, -1
	v_not_b32_e32 v4, v4
	v_and_b32_e32 v6, v56, v4
	v_add_u32_e32 v4, 19, v3
	v_lshrrev_b64 v[24:25], v3, v[56:57]
	v_not_b32_e32 v5, v5
	v_lshlrev_b64 v[8:9], v4, 1
	v_lshrrev_b32_e32 v4, 23, v24
	v_and_b32_e32 v7, 0, v5
	v_add3_u32 v4, v3, v1, v4
	v_bfe_u32 v1, v24, 20, 1
	v_add_u32_e32 v1, -1, v1
	v_cmp_eq_u64_e64 s[22:23], v[6:7], v[8:9]
	v_cndmask_b32_e64 v1, 0, v1, s[22:23]
	v_add_u32_e32 v1, v1, v24
	v_and_b32_e32 v1, 0xfffff, v1
	v_add_co_u32_e64 v24, s[22:23], v1, v24
	v_add_u32_e32 v3, 6, v4
	v_addc_co_u32_e64 v25, s[22:23], 0, v25, s[22:23]
	v_cmp_ne_u32_e64 s[22:23], 0, v3
                                        ; implicit-def: $vgpr1
	s_and_saveexec_b64 s[24:25], s[22:23]
	s_xor_b64 s[24:25], exec, s[24:25]
; %bb.913:                              ;   in Loop: Header=BB6_897 Depth=2
	v_add_u32_e32 v1, 7, v4
	v_cmp_lt_u64_e64 s[22:23], s[48:49], v[24:25]
	v_cndmask_b32_e64 v1, v3, v1, s[22:23]
	v_cndmask_b32_e64 v3, 0, 1, s[22:23]
	v_lshrrev_b64 v[24:25], v3, v[24:25]
; %bb.914:                              ;   in Loop: Header=BB6_897 Depth=2
	s_andn2_saveexec_b64 s[22:23], s[24:25]
; %bb.915:                              ;   in Loop: Header=BB6_897 Depth=2
	v_bfe_u32 v1, v24, 23, 1
; %bb.916:                              ;   in Loop: Header=BB6_897 Depth=2
	s_or_b64 exec, exec, s[22:23]
	v_lshrrev_b64 v[4:5], 20, v[24:25]
	v_cmp_gt_i32_e64 s[22:23], 16, v1
	v_cndmask_b32_e64 v5, 0, v5, s[22:23]
	v_cndmask_b32_e64 v4, 7, v4, s[22:23]
	v_cmp_eq_u32_e64 s[22:23], 0, v1
	v_min_i32_e32 v1, 15, v1
	v_cmp_eq_u64_e64 s[24:25], 0, v[4:5]
	v_lshlrev_b32_e32 v1, 3, v1
	v_and_or_b32 v1, v4, 7, v1
	s_and_b64 s[22:23], s[22:23], s[24:25]
	v_cndmask_b32_e64 v1, v1, 0, s[22:23]
	v_or_b32_e32 v1, v1, v2
.LBB6_917:                              ;   in Loop: Header=BB6_897 Depth=2
	s_or_b64 exec, exec, s[64:65]
.LBB6_918:                              ;   in Loop: Header=BB6_897 Depth=2
	s_or_b64 exec, exec, s[62:63]
                                        ; implicit-def: $vgpr3
.LBB6_919:                              ;   in Loop: Header=BB6_897 Depth=2
	s_andn2_saveexec_b64 s[24:25], s[60:61]
; %bb.920:                              ;   in Loop: Header=BB6_897 Depth=2
	v_or_b32_sdwa v2, v3, s76 dst_sel:DWORD dst_unused:UNUSED_PAD src0_sel:BYTE_3 src1_sel:DWORD
	v_cmp_eq_u64_e64 s[22:23], 0, v[56:57]
	v_cndmask_b32_e64 v1, v2, v1, s[22:23]
; %bb.921:                              ;   in Loop: Header=BB6_897 Depth=2
	s_or_b64 exec, exec, s[24:25]
	v_lshrrev_b16_e32 v24, 8, v14
	v_cmp_ne_u16_e64 s[22:23], 0, v24
	v_mov_b32_e32 v2, 0
	v_mov_b32_e32 v3, 0
	s_and_saveexec_b64 s[24:25], s[22:23]
	s_cbranch_execz .LBB6_927
; %bb.922:                              ;   in Loop: Header=BB6_897 Depth=2
	v_cmp_ne_u16_e64 s[22:23], s75, v24
	v_bfrev_b32_e32 v3, 1
	s_and_saveexec_b64 s[60:61], s[22:23]
	s_cbranch_execz .LBB6_926
; %bb.923:                              ;   in Loop: Header=BB6_897 Depth=2
	v_and_b32_e32 v4, 0x7f, v24
	v_cmp_ne_u32_e64 s[22:23], s76, v4
	v_mov_b32_e32 v3, 0x7f800001
	s_and_saveexec_b64 s[62:63], s[22:23]
	s_cbranch_execz .LBB6_925
; %bb.924:                              ;   in Loop: Header=BB6_897 Depth=2
	v_and_b32_e32 v3, 7, v24
	v_ffbh_u32_e32 v6, v3
	v_min_u32_e32 v8, 32, v6
	v_subrev_u32_e32 v6, 28, v8
	v_lshlrev_b64 v[6:7], v6, v[24:25]
	v_lshrrev_b32_e32 v5, 3, v4
	v_sub_u32_e32 v7, 29, v8
	v_and_b32_e32 v6, 7, v6
	v_cmp_gt_u32_e64 s[22:23], 8, v4
	v_cndmask_b32_e64 v4, v5, v7, s[22:23]
	v_cndmask_b32_e64 v3, v3, v6, s[22:23]
	v_lshlrev_b32_e32 v5, 16, v14
	v_lshlrev_b32_e32 v3, 20, v3
	v_and_b32_e32 v5, 0x80000000, v5
	v_lshl_add_u32 v4, v4, 23, v29
	v_or3_b32 v3, v5, v4, v3
.LBB6_925:                              ;   in Loop: Header=BB6_897 Depth=2
	s_or_b64 exec, exec, s[62:63]
.LBB6_926:                              ;   in Loop: Header=BB6_897 Depth=2
	s_or_b64 exec, exec, s[60:61]
.LBB6_927:                              ;   in Loop: Header=BB6_897 Depth=2
	s_or_b64 exec, exec, s[24:25]
	v_lshrrev_b16_e32 v24, 8, v10
	v_cmp_ne_u16_e64 s[22:23], 0, v24
	s_and_saveexec_b64 s[24:25], s[22:23]
	s_cbranch_execz .LBB6_933
; %bb.928:                              ;   in Loop: Header=BB6_897 Depth=2
	v_cmp_ne_u16_e64 s[22:23], s75, v24
	v_bfrev_b32_e32 v2, 1
	s_and_saveexec_b64 s[60:61], s[22:23]
	s_cbranch_execz .LBB6_932
; %bb.929:                              ;   in Loop: Header=BB6_897 Depth=2
	v_and_b32_e32 v4, 0x7f, v24
	v_cmp_ne_u32_e64 s[22:23], s76, v4
	v_mov_b32_e32 v2, 0x7f800001
	s_and_saveexec_b64 s[62:63], s[22:23]
	s_cbranch_execz .LBB6_931
; %bb.930:                              ;   in Loop: Header=BB6_897 Depth=2
	v_and_b32_e32 v2, 7, v24
	v_ffbh_u32_e32 v6, v2
	v_min_u32_e32 v8, 32, v6
	v_subrev_u32_e32 v6, 28, v8
	v_lshlrev_b64 v[6:7], v6, v[24:25]
	v_lshrrev_b32_e32 v5, 3, v4
	v_sub_u32_e32 v7, 29, v8
	v_and_b32_e32 v6, 7, v6
	v_cmp_gt_u32_e64 s[22:23], 8, v4
	v_cndmask_b32_e64 v4, v5, v7, s[22:23]
	v_cndmask_b32_e64 v2, v2, v6, s[22:23]
	v_lshlrev_b32_e32 v5, 16, v10
	v_lshlrev_b32_e32 v2, 20, v2
	v_and_b32_e32 v5, 0x80000000, v5
	v_lshl_add_u32 v4, v4, 23, v29
	v_or3_b32 v2, v5, v4, v2
.LBB6_931:                              ;   in Loop: Header=BB6_897 Depth=2
	s_or_b64 exec, exec, s[62:63]
.LBB6_932:                              ;   in Loop: Header=BB6_897 Depth=2
	s_or_b64 exec, exec, s[60:61]
.LBB6_933:                              ;   in Loop: Header=BB6_897 Depth=2
	s_or_b64 exec, exec, s[24:25]
	v_add_f32_e32 v4, v3, v2
	v_and_b32_sdwa v2, v4, s75 dst_sel:DWORD dst_unused:UNUSED_PAD src0_sel:BYTE_3 src1_sel:DWORD
	v_and_b32_e32 v6, 0x7f800000, v4
	v_mov_b32_e32 v7, v57
	v_and_b32_e32 v56, 0x7fffff, v4
	v_or_b32_e32 v3, 0x7e, v2
	v_cmp_ne_u64_e64 s[22:23], s[42:43], v[6:7]
	s_and_saveexec_b64 s[24:25], s[22:23]
	s_xor_b64 s[60:61], exec, s[24:25]
	s_cbranch_execz .LBB6_943
; %bb.934:                              ;   in Loop: Header=BB6_897 Depth=2
	v_and_b32_e32 v6, 0x7fffffff, v4
	v_mov_b32_e32 v7, v57
	v_cmp_gt_u64_e64 s[22:23], s[44:45], v[6:7]
	s_and_saveexec_b64 s[62:63], s[22:23]
	s_cbranch_execz .LBB6_942
; %bb.935:                              ;   in Loop: Header=BB6_897 Depth=2
	v_cmp_ne_u32_e64 s[22:23], 0, v4
	v_mov_b32_e32 v3, 0
	s_and_saveexec_b64 s[64:65], s[22:23]
	s_cbranch_execz .LBB6_941
; %bb.936:                              ;   in Loop: Header=BB6_897 Depth=2
	v_bfe_u32 v3, v4, 23, 8
	v_sub_u32_e32 v5, 0x79, v3
	v_cmp_gt_u32_e64 s[22:23], s77, v3
	v_add_u32_e32 v4, 0xffffff81, v3
	v_cndmask_b32_e64 v5, 0, v5, s[22:23]
	v_cmp_eq_u32_e64 s[22:23], 0, v3
	v_cndmask_b32_e64 v3, v4, v33, s[22:23]
	v_mov_b32_e32 v4, 0x78
	v_cndmask_b32_e64 v30, v5, v4, s[22:23]
	v_add_u32_e32 v4, 20, v30
	v_or_b32_e32 v6, 0x800000, v56
	v_lshlrev_b64 v[4:5], v4, -1
	v_cndmask_b32_e64 v56, v6, v56, s[22:23]
	v_not_b32_e32 v4, v4
	v_and_b32_e32 v6, v56, v4
	v_add_u32_e32 v4, 19, v30
	v_lshrrev_b64 v[24:25], v30, v[56:57]
	v_not_b32_e32 v5, v5
	v_lshlrev_b64 v[8:9], v4, 1
	v_lshrrev_b32_e32 v4, 23, v24
	v_and_b32_e32 v7, 0, v5
	v_add3_u32 v5, v30, v3, v4
	v_bfe_u32 v3, v24, 20, 1
	v_add_u32_e32 v3, -1, v3
	v_cmp_eq_u64_e64 s[22:23], v[6:7], v[8:9]
	v_cndmask_b32_e64 v3, 0, v3, s[22:23]
	v_add_u32_e32 v3, v3, v24
	v_and_b32_e32 v3, 0xfffff, v3
	v_add_co_u32_e64 v24, s[22:23], v3, v24
	v_add_u32_e32 v4, 6, v5
	v_addc_co_u32_e64 v25, s[22:23], 0, v25, s[22:23]
	v_cmp_ne_u32_e64 s[22:23], 0, v4
                                        ; implicit-def: $vgpr3
	s_and_saveexec_b64 s[24:25], s[22:23]
	s_xor_b64 s[24:25], exec, s[24:25]
; %bb.937:                              ;   in Loop: Header=BB6_897 Depth=2
	v_add_u32_e32 v3, 7, v5
	v_cmp_lt_u64_e64 s[22:23], s[48:49], v[24:25]
	v_cndmask_b32_e64 v3, v4, v3, s[22:23]
	v_cndmask_b32_e64 v4, 0, 1, s[22:23]
	v_lshrrev_b64 v[24:25], v4, v[24:25]
; %bb.938:                              ;   in Loop: Header=BB6_897 Depth=2
	s_andn2_saveexec_b64 s[22:23], s[24:25]
; %bb.939:                              ;   in Loop: Header=BB6_897 Depth=2
	v_bfe_u32 v3, v24, 23, 1
; %bb.940:                              ;   in Loop: Header=BB6_897 Depth=2
	s_or_b64 exec, exec, s[22:23]
	v_lshrrev_b64 v[4:5], 20, v[24:25]
	v_cmp_gt_i32_e64 s[22:23], 16, v3
	v_cndmask_b32_e64 v5, 0, v5, s[22:23]
	v_cndmask_b32_e64 v4, 7, v4, s[22:23]
	v_cmp_eq_u32_e64 s[22:23], 0, v3
	v_min_i32_e32 v3, 15, v3
	v_cmp_eq_u64_e64 s[24:25], 0, v[4:5]
	v_lshlrev_b32_e32 v3, 3, v3
	v_and_or_b32 v3, v4, 7, v3
	s_and_b64 s[22:23], s[22:23], s[24:25]
	v_cndmask_b32_e64 v3, v3, 0, s[22:23]
	v_or_b32_e32 v3, v3, v2
.LBB6_941:                              ;   in Loop: Header=BB6_897 Depth=2
	s_or_b64 exec, exec, s[64:65]
.LBB6_942:                              ;   in Loop: Header=BB6_897 Depth=2
	s_or_b64 exec, exec, s[62:63]
                                        ; implicit-def: $vgpr4
.LBB6_943:                              ;   in Loop: Header=BB6_897 Depth=2
	s_andn2_saveexec_b64 s[24:25], s[60:61]
; %bb.944:                              ;   in Loop: Header=BB6_897 Depth=2
	v_or_b32_sdwa v2, v4, s76 dst_sel:DWORD dst_unused:UNUSED_PAD src0_sel:BYTE_3 src1_sel:DWORD
	v_cmp_eq_u64_e64 s[22:23], 0, v[56:57]
	v_cndmask_b32_e64 v3, v2, v3, s[22:23]
; %bb.945:                              ;   in Loop: Header=BB6_897 Depth=2
	s_or_b64 exec, exec, s[24:25]
	v_lshrrev_b32_e32 v24, 16, v14
	v_cmp_ne_u16_sdwa s[22:23], v24, v57 src0_sel:BYTE_0 src1_sel:DWORD
	v_mov_b32_e32 v2, 0
	v_mov_b32_e32 v4, 0
	s_and_saveexec_b64 s[24:25], s[22:23]
	s_cbranch_execz .LBB6_951
; %bb.946:                              ;   in Loop: Header=BB6_897 Depth=2
	v_cmp_ne_u16_sdwa s[22:23], v24, s75 src0_sel:BYTE_0 src1_sel:DWORD
	v_bfrev_b32_e32 v4, 1
	s_and_saveexec_b64 s[60:61], s[22:23]
	s_cbranch_execz .LBB6_950
; %bb.947:                              ;   in Loop: Header=BB6_897 Depth=2
	v_bfe_u32 v5, v14, 16, 7
	v_cmp_ne_u32_e64 s[22:23], s76, v5
	v_mov_b32_e32 v4, 0x7f800001
	s_and_saveexec_b64 s[62:63], s[22:23]
	s_cbranch_execz .LBB6_949
; %bb.948:                              ;   in Loop: Header=BB6_897 Depth=2
	v_and_b32_e32 v4, 7, v24
	v_ffbh_u32_e32 v6, v4
	v_min_u32_e32 v9, 32, v6
	v_subrev_u32_e32 v6, 28, v9
	v_lshlrev_b64 v[6:7], v6, v[24:25]
	v_lshrrev_b32_e32 v8, 3, v5
	v_sub_u32_e32 v7, 29, v9
	v_and_b32_e32 v6, 7, v6
	v_cmp_gt_u32_e64 s[22:23], 8, v5
	v_cndmask_b32_e64 v5, v8, v7, s[22:23]
	v_cndmask_b32_e64 v4, v4, v6, s[22:23]
	v_lshlrev_b32_e32 v6, 24, v24
	v_lshlrev_b32_e32 v4, 20, v4
	v_and_b32_e32 v6, 0x80000000, v6
	v_lshl_add_u32 v5, v5, 23, v29
	v_or3_b32 v4, v6, v5, v4
.LBB6_949:                              ;   in Loop: Header=BB6_897 Depth=2
	s_or_b64 exec, exec, s[62:63]
.LBB6_950:                              ;   in Loop: Header=BB6_897 Depth=2
	s_or_b64 exec, exec, s[60:61]
.LBB6_951:                              ;   in Loop: Header=BB6_897 Depth=2
	s_or_b64 exec, exec, s[24:25]
	v_lshrrev_b32_e32 v24, 16, v10
	v_cmp_ne_u16_sdwa s[22:23], v24, v57 src0_sel:BYTE_0 src1_sel:DWORD
	s_and_saveexec_b64 s[24:25], s[22:23]
	s_cbranch_execz .LBB6_957
; %bb.952:                              ;   in Loop: Header=BB6_897 Depth=2
	v_cmp_ne_u16_sdwa s[22:23], v24, s75 src0_sel:BYTE_0 src1_sel:DWORD
	v_bfrev_b32_e32 v2, 1
	s_and_saveexec_b64 s[60:61], s[22:23]
	s_cbranch_execz .LBB6_956
; %bb.953:                              ;   in Loop: Header=BB6_897 Depth=2
	v_bfe_u32 v5, v10, 16, 7
	v_cmp_ne_u32_e64 s[22:23], s76, v5
	v_mov_b32_e32 v2, 0x7f800001
	s_and_saveexec_b64 s[62:63], s[22:23]
	s_cbranch_execz .LBB6_955
; %bb.954:                              ;   in Loop: Header=BB6_897 Depth=2
	v_and_b32_e32 v2, 7, v24
	v_ffbh_u32_e32 v6, v2
	v_min_u32_e32 v9, 32, v6
	v_subrev_u32_e32 v6, 28, v9
	v_lshlrev_b64 v[6:7], v6, v[24:25]
	v_lshrrev_b32_e32 v8, 3, v5
	v_sub_u32_e32 v7, 29, v9
	v_and_b32_e32 v6, 7, v6
	v_cmp_gt_u32_e64 s[22:23], 8, v5
	v_cndmask_b32_e64 v5, v8, v7, s[22:23]
	v_cndmask_b32_e64 v2, v2, v6, s[22:23]
	v_lshlrev_b32_e32 v6, 8, v10
	v_lshlrev_b32_e32 v2, 20, v2
	v_and_b32_e32 v6, 0x80000000, v6
	v_lshl_add_u32 v5, v5, 23, v29
	v_or3_b32 v2, v6, v5, v2
.LBB6_955:                              ;   in Loop: Header=BB6_897 Depth=2
	s_or_b64 exec, exec, s[62:63]
.LBB6_956:                              ;   in Loop: Header=BB6_897 Depth=2
	s_or_b64 exec, exec, s[60:61]
.LBB6_957:                              ;   in Loop: Header=BB6_897 Depth=2
	s_or_b64 exec, exec, s[24:25]
	v_add_f32_e32 v5, v4, v2
	v_and_b32_sdwa v4, v5, s75 dst_sel:DWORD dst_unused:UNUSED_PAD src0_sel:BYTE_3 src1_sel:DWORD
	v_and_b32_e32 v6, 0x7f800000, v5
	v_mov_b32_e32 v7, v57
	v_and_b32_e32 v56, 0x7fffff, v5
	v_or_b32_e32 v2, 0x7e, v4
	v_cmp_ne_u64_e64 s[22:23], s[42:43], v[6:7]
	s_and_saveexec_b64 s[24:25], s[22:23]
	s_xor_b64 s[60:61], exec, s[24:25]
	s_cbranch_execz .LBB6_967
; %bb.958:                              ;   in Loop: Header=BB6_897 Depth=2
	v_and_b32_e32 v6, 0x7fffffff, v5
	v_mov_b32_e32 v7, v57
	v_cmp_gt_u64_e64 s[22:23], s[44:45], v[6:7]
	s_and_saveexec_b64 s[62:63], s[22:23]
	s_cbranch_execz .LBB6_966
; %bb.959:                              ;   in Loop: Header=BB6_897 Depth=2
	v_cmp_ne_u32_e64 s[22:23], 0, v5
	v_mov_b32_e32 v2, 0
	s_and_saveexec_b64 s[64:65], s[22:23]
	s_cbranch_execz .LBB6_965
; %bb.960:                              ;   in Loop: Header=BB6_897 Depth=2
	v_bfe_u32 v2, v5, 23, 8
	v_sub_u32_e32 v6, 0x79, v2
	v_cmp_gt_u32_e64 s[22:23], s77, v2
	v_add_u32_e32 v5, 0xffffff81, v2
	v_cndmask_b32_e64 v6, 0, v6, s[22:23]
	v_cmp_eq_u32_e64 s[22:23], 0, v2
	v_cndmask_b32_e64 v2, v5, v33, s[22:23]
	v_mov_b32_e32 v5, 0x78
	v_or_b32_e32 v7, 0x800000, v56
	v_cndmask_b32_e64 v5, v6, v5, s[22:23]
	v_cndmask_b32_e64 v56, v7, v56, s[22:23]
	v_add_u32_e32 v6, 20, v5
	v_lshlrev_b64 v[6:7], v6, -1
	v_lshrrev_b64 v[24:25], v5, v[56:57]
	v_not_b32_e32 v7, v7
	v_not_b32_e32 v6, v6
	v_add_u32_e32 v8, 19, v5
	v_lshrrev_b32_e32 v30, 23, v24
	v_and_b32_e32 v7, 0, v7
	v_and_b32_e32 v6, v56, v6
	v_lshlrev_b64 v[8:9], v8, 1
	v_add3_u32 v30, v5, v2, v30
	v_bfe_u32 v2, v24, 20, 1
	v_add_u32_e32 v2, -1, v2
	v_cmp_eq_u64_e64 s[22:23], v[6:7], v[8:9]
	v_cndmask_b32_e64 v2, 0, v2, s[22:23]
	v_add_u32_e32 v2, v2, v24
	v_and_b32_e32 v2, 0xfffff, v2
	v_add_co_u32_e64 v24, s[22:23], v2, v24
	v_add_u32_e32 v5, 6, v30
	v_addc_co_u32_e64 v25, s[22:23], 0, v25, s[22:23]
	v_cmp_ne_u32_e64 s[22:23], 0, v5
                                        ; implicit-def: $vgpr2
	s_and_saveexec_b64 s[24:25], s[22:23]
	s_xor_b64 s[24:25], exec, s[24:25]
; %bb.961:                              ;   in Loop: Header=BB6_897 Depth=2
	v_add_u32_e32 v2, 7, v30
	v_cmp_lt_u64_e64 s[22:23], s[48:49], v[24:25]
	v_cndmask_b32_e64 v2, v5, v2, s[22:23]
	v_cndmask_b32_e64 v5, 0, 1, s[22:23]
	v_lshrrev_b64 v[24:25], v5, v[24:25]
; %bb.962:                              ;   in Loop: Header=BB6_897 Depth=2
	s_andn2_saveexec_b64 s[22:23], s[24:25]
; %bb.963:                              ;   in Loop: Header=BB6_897 Depth=2
	v_bfe_u32 v2, v24, 23, 1
; %bb.964:                              ;   in Loop: Header=BB6_897 Depth=2
	s_or_b64 exec, exec, s[22:23]
	v_lshrrev_b64 v[6:7], 20, v[24:25]
	v_cmp_gt_i32_e64 s[22:23], 16, v2
	v_cndmask_b32_e64 v7, 0, v7, s[22:23]
	v_cndmask_b32_e64 v6, 7, v6, s[22:23]
	v_cmp_eq_u32_e64 s[22:23], 0, v2
	v_min_i32_e32 v2, 15, v2
	v_cmp_eq_u64_e64 s[24:25], 0, v[6:7]
	v_lshlrev_b32_e32 v2, 3, v2
	v_and_or_b32 v2, v6, 7, v2
	s_and_b64 s[22:23], s[22:23], s[24:25]
	v_cndmask_b32_e64 v2, v2, 0, s[22:23]
	v_or_b32_e32 v2, v2, v4
.LBB6_965:                              ;   in Loop: Header=BB6_897 Depth=2
	s_or_b64 exec, exec, s[64:65]
.LBB6_966:                              ;   in Loop: Header=BB6_897 Depth=2
	s_or_b64 exec, exec, s[62:63]
                                        ; implicit-def: $vgpr5
.LBB6_967:                              ;   in Loop: Header=BB6_897 Depth=2
	s_andn2_saveexec_b64 s[24:25], s[60:61]
; %bb.968:                              ;   in Loop: Header=BB6_897 Depth=2
	v_or_b32_sdwa v4, v5, s76 dst_sel:DWORD dst_unused:UNUSED_PAD src0_sel:BYTE_3 src1_sel:DWORD
	v_cmp_eq_u64_e64 s[22:23], 0, v[56:57]
	v_cndmask_b32_e64 v2, v4, v2, s[22:23]
; %bb.969:                              ;   in Loop: Header=BB6_897 Depth=2
	s_or_b64 exec, exec, s[24:25]
	v_cmp_lt_u32_e64 s[22:23], s47, v14
	v_mov_b32_e32 v4, 0
	v_mov_b32_e32 v5, 0
	s_and_saveexec_b64 s[24:25], s[22:23]
	s_cbranch_execz .LBB6_975
; %bb.970:                              ;   in Loop: Header=BB6_897 Depth=2
	v_lshrrev_b32_e32 v24, 24, v14
	v_cmp_ne_u32_e64 s[22:23], s75, v24
	v_bfrev_b32_e32 v5, 1
	s_and_saveexec_b64 s[60:61], s[22:23]
	s_cbranch_execz .LBB6_974
; %bb.971:                              ;   in Loop: Header=BB6_897 Depth=2
	v_bfe_u32 v25, v14, 24, 7
	v_cmp_ne_u32_e64 s[22:23], s76, v25
	v_mov_b32_e32 v5, 0x7f800001
	s_and_saveexec_b64 s[62:63], s[22:23]
	s_cbranch_execz .LBB6_973
; %bb.972:                              ;   in Loop: Header=BB6_897 Depth=2
	v_and_b32_e32 v5, 7, v24
	v_ffbh_u32_e32 v6, v5
	v_min_u32_e32 v9, 32, v6
	v_subrev_u32_e32 v6, 28, v9
	v_lshlrev_b64 v[6:7], v6, v[24:25]
	v_lshrrev_b32_e32 v8, 3, v25
	v_sub_u32_e32 v7, 29, v9
	v_and_b32_e32 v6, 7, v6
	v_cmp_gt_u32_e64 s[22:23], 8, v25
	v_cndmask_b32_e64 v7, v8, v7, s[22:23]
	v_cndmask_b32_e64 v5, v5, v6, s[22:23]
	v_lshlrev_b32_e32 v6, 24, v24
	v_lshlrev_b32_e32 v5, 20, v5
	v_and_b32_e32 v6, 0x80000000, v6
	v_lshl_add_u32 v7, v7, 23, v29
	v_or3_b32 v5, v6, v7, v5
.LBB6_973:                              ;   in Loop: Header=BB6_897 Depth=2
	s_or_b64 exec, exec, s[62:63]
.LBB6_974:                              ;   in Loop: Header=BB6_897 Depth=2
	s_or_b64 exec, exec, s[60:61]
.LBB6_975:                              ;   in Loop: Header=BB6_897 Depth=2
	s_or_b64 exec, exec, s[24:25]
	v_cmp_lt_u32_e64 s[22:23], s47, v10
	s_and_saveexec_b64 s[24:25], s[22:23]
	s_cbranch_execz .LBB6_981
; %bb.976:                              ;   in Loop: Header=BB6_897 Depth=2
	v_lshrrev_b32_e32 v24, 24, v10
	v_cmp_ne_u32_e64 s[22:23], s75, v24
	v_bfrev_b32_e32 v4, 1
	s_and_saveexec_b64 s[60:61], s[22:23]
	s_cbranch_execz .LBB6_980
; %bb.977:                              ;   in Loop: Header=BB6_897 Depth=2
	v_bfe_u32 v25, v10, 24, 7
	v_cmp_ne_u32_e64 s[22:23], s76, v25
	v_mov_b32_e32 v4, 0x7f800001
	s_and_saveexec_b64 s[62:63], s[22:23]
	s_cbranch_execz .LBB6_979
; %bb.978:                              ;   in Loop: Header=BB6_897 Depth=2
	v_and_b32_e32 v4, 7, v24
	v_ffbh_u32_e32 v6, v4
	v_min_u32_e32 v9, 32, v6
	v_subrev_u32_e32 v6, 28, v9
	v_lshlrev_b64 v[6:7], v6, v[24:25]
	v_lshrrev_b32_e32 v8, 3, v25
	v_sub_u32_e32 v7, 29, v9
	v_and_b32_e32 v6, 7, v6
	v_cmp_gt_u32_e64 s[22:23], 8, v25
	v_cndmask_b32_e64 v7, v8, v7, s[22:23]
	v_cndmask_b32_e64 v4, v4, v6, s[22:23]
	v_lshlrev_b32_e32 v6, 24, v24
	v_lshlrev_b32_e32 v4, 20, v4
	v_and_b32_e32 v6, 0x80000000, v6
	v_lshl_add_u32 v7, v7, 23, v29
	v_or3_b32 v4, v6, v7, v4
.LBB6_979:                              ;   in Loop: Header=BB6_897 Depth=2
	s_or_b64 exec, exec, s[62:63]
.LBB6_980:                              ;   in Loop: Header=BB6_897 Depth=2
	s_or_b64 exec, exec, s[60:61]
.LBB6_981:                              ;   in Loop: Header=BB6_897 Depth=2
	s_or_b64 exec, exec, s[24:25]
	v_add_f32_e32 v5, v5, v4
	v_and_b32_sdwa v4, v5, s75 dst_sel:DWORD dst_unused:UNUSED_PAD src0_sel:BYTE_3 src1_sel:DWORD
	v_and_b32_e32 v6, 0x7f800000, v5
	v_mov_b32_e32 v7, v57
	v_and_b32_e32 v56, 0x7fffff, v5
	v_or_b32_e32 v35, 0x7e, v4
	v_cmp_ne_u64_e64 s[22:23], s[42:43], v[6:7]
	s_and_saveexec_b64 s[24:25], s[22:23]
	s_xor_b64 s[60:61], exec, s[24:25]
	s_cbranch_execz .LBB6_991
; %bb.982:                              ;   in Loop: Header=BB6_897 Depth=2
	v_and_b32_e32 v6, 0x7fffffff, v5
	v_mov_b32_e32 v7, v57
	v_cmp_gt_u64_e64 s[22:23], s[44:45], v[6:7]
	s_and_saveexec_b64 s[62:63], s[22:23]
	s_cbranch_execz .LBB6_990
; %bb.983:                              ;   in Loop: Header=BB6_897 Depth=2
	v_cmp_ne_u32_e64 s[22:23], 0, v5
	v_mov_b32_e32 v35, 0
	s_and_saveexec_b64 s[64:65], s[22:23]
	s_cbranch_execz .LBB6_989
; %bb.984:                              ;   in Loop: Header=BB6_897 Depth=2
	v_bfe_u32 v5, v5, 23, 8
	v_sub_u32_e32 v7, 0x79, v5
	v_cmp_gt_u32_e64 s[22:23], s77, v5
	v_add_u32_e32 v6, 0xffffff81, v5
	v_cndmask_b32_e64 v7, 0, v7, s[22:23]
	v_cmp_eq_u32_e64 s[22:23], 0, v5
	v_cndmask_b32_e64 v5, v6, v33, s[22:23]
	v_mov_b32_e32 v6, 0x78
	v_or_b32_e32 v8, 0x800000, v56
	v_cndmask_b32_e64 v30, v7, v6, s[22:23]
	v_cndmask_b32_e64 v56, v8, v56, s[22:23]
	v_add_u32_e32 v6, 20, v30
	v_lshlrev_b64 v[6:7], v6, -1
	v_lshrrev_b64 v[24:25], v30, v[56:57]
	v_not_b32_e32 v7, v7
	v_not_b32_e32 v6, v6
	v_add_u32_e32 v8, 19, v30
	v_lshrrev_b32_e32 v32, 23, v24
	v_and_b32_e32 v7, 0, v7
	v_and_b32_e32 v6, v56, v6
	v_lshlrev_b64 v[8:9], v8, 1
	v_add3_u32 v35, v30, v5, v32
	v_bfe_u32 v5, v24, 20, 1
	v_add_u32_e32 v5, -1, v5
	v_cmp_eq_u64_e64 s[22:23], v[6:7], v[8:9]
	v_cndmask_b32_e64 v5, 0, v5, s[22:23]
	v_add_u32_e32 v5, v5, v24
	v_and_b32_e32 v5, 0xfffff, v5
	v_add_co_u32_e64 v24, s[22:23], v5, v24
	v_add_u32_e32 v30, 6, v35
	v_addc_co_u32_e64 v25, s[22:23], 0, v25, s[22:23]
	v_cmp_ne_u32_e64 s[22:23], 0, v30
                                        ; implicit-def: $vgpr5
	s_and_saveexec_b64 s[24:25], s[22:23]
	s_xor_b64 s[24:25], exec, s[24:25]
; %bb.985:                              ;   in Loop: Header=BB6_897 Depth=2
	v_cmp_lt_u64_e64 s[22:23], s[48:49], v[24:25]
	v_add_u32_e32 v5, 7, v35
	v_cndmask_b32_e64 v6, 0, 1, s[22:23]
	v_cndmask_b32_e64 v5, v30, v5, s[22:23]
	v_lshrrev_b64 v[24:25], v6, v[24:25]
; %bb.986:                              ;   in Loop: Header=BB6_897 Depth=2
	s_andn2_saveexec_b64 s[22:23], s[24:25]
; %bb.987:                              ;   in Loop: Header=BB6_897 Depth=2
	v_bfe_u32 v5, v24, 23, 1
; %bb.988:                              ;   in Loop: Header=BB6_897 Depth=2
	s_or_b64 exec, exec, s[22:23]
	v_lshrrev_b64 v[6:7], 20, v[24:25]
	v_cmp_gt_i32_e64 s[22:23], 16, v5
	v_cndmask_b32_e64 v7, 0, v7, s[22:23]
	v_cndmask_b32_e64 v6, 7, v6, s[22:23]
	v_cmp_eq_u32_e64 s[22:23], 0, v5
	v_min_i32_e32 v5, 15, v5
	v_cmp_eq_u64_e64 s[24:25], 0, v[6:7]
	v_lshlrev_b32_e32 v5, 3, v5
	v_and_or_b32 v5, v6, 7, v5
	s_and_b64 s[22:23], s[22:23], s[24:25]
	v_cndmask_b32_e64 v5, v5, 0, s[22:23]
	v_or_b32_e32 v35, v5, v4
.LBB6_989:                              ;   in Loop: Header=BB6_897 Depth=2
	s_or_b64 exec, exec, s[64:65]
.LBB6_990:                              ;   in Loop: Header=BB6_897 Depth=2
	s_or_b64 exec, exec, s[62:63]
                                        ; implicit-def: $vgpr5
.LBB6_991:                              ;   in Loop: Header=BB6_897 Depth=2
	s_andn2_saveexec_b64 s[24:25], s[60:61]
; %bb.992:                              ;   in Loop: Header=BB6_897 Depth=2
	v_or_b32_sdwa v4, v5, s76 dst_sel:DWORD dst_unused:UNUSED_PAD src0_sel:BYTE_3 src1_sel:DWORD
	v_cmp_eq_u64_e64 s[22:23], 0, v[56:57]
	v_cndmask_b32_e64 v35, v4, v35, s[22:23]
; %bb.993:                              ;   in Loop: Header=BB6_897 Depth=2
	s_or_b64 exec, exec, s[24:25]
	v_mov_b32_e32 v56, v15
	v_cmp_ne_u16_sdwa s[22:23], v15, v57 src0_sel:BYTE_0 src1_sel:DWORD
	v_mov_b32_e32 v5, 0
	v_mov_b32_e32 v4, 0
	s_and_saveexec_b64 s[24:25], s[22:23]
	s_cbranch_execz .LBB6_999
; %bb.994:                              ;   in Loop: Header=BB6_897 Depth=2
	v_cmp_ne_u16_sdwa s[22:23], v15, s75 src0_sel:BYTE_0 src1_sel:DWORD
	v_bfrev_b32_e32 v4, 1
	s_and_saveexec_b64 s[60:61], s[22:23]
	s_cbranch_execz .LBB6_998
; %bb.995:                              ;   in Loop: Header=BB6_897 Depth=2
	v_and_b32_e32 v24, 0x7f, v15
	v_cmp_ne_u32_e64 s[22:23], s76, v24
	v_mov_b32_e32 v4, 0x7f800001
	s_and_saveexec_b64 s[62:63], s[22:23]
	s_cbranch_execz .LBB6_997
; %bb.996:                              ;   in Loop: Header=BB6_897 Depth=2
	v_and_b32_e32 v4, 7, v15
	v_ffbh_u32_e32 v4, v4
	v_min_u32_e32 v4, 32, v4
	v_lshrrev_b32_e32 v6, 3, v24
	v_subrev_u32_e32 v7, 28, v4
	v_sub_u32_e32 v4, 29, v4
	v_cmp_gt_u32_e64 s[22:23], 8, v24
	v_cndmask_b32_e64 v4, v6, v4, s[22:23]
	v_cndmask_b32_e64 v6, 0, v7, s[22:23]
	v_lshlrev_b64 v[6:7], v6, v[56:57]
	v_lshlrev_b32_e32 v6, 20, v6
	v_lshlrev_b32_e32 v7, 24, v56
	v_and_b32_e32 v6, 0x700000, v6
	v_and_b32_e32 v7, 0x80000000, v7
	v_lshl_add_u32 v4, v4, 23, v29
	v_or3_b32 v4, v7, v4, v6
.LBB6_997:                              ;   in Loop: Header=BB6_897 Depth=2
	s_or_b64 exec, exec, s[62:63]
.LBB6_998:                              ;   in Loop: Header=BB6_897 Depth=2
	s_or_b64 exec, exec, s[60:61]
.LBB6_999:                              ;   in Loop: Header=BB6_897 Depth=2
	s_or_b64 exec, exec, s[24:25]
	v_cmp_ne_u16_sdwa s[22:23], v11, v57 src0_sel:BYTE_0 src1_sel:DWORD
	s_and_saveexec_b64 s[24:25], s[22:23]
	s_cbranch_execz .LBB6_1005
; %bb.1000:                             ;   in Loop: Header=BB6_897 Depth=2
	v_cmp_ne_u16_sdwa s[22:23], v11, s75 src0_sel:BYTE_0 src1_sel:DWORD
	v_bfrev_b32_e32 v5, 1
	s_and_saveexec_b64 s[60:61], s[22:23]
	s_cbranch_execz .LBB6_1004
; %bb.1001:                             ;   in Loop: Header=BB6_897 Depth=2
	v_and_b32_e32 v24, 0x7f, v11
	v_cmp_ne_u32_e64 s[22:23], s76, v24
	v_mov_b32_e32 v5, 0x7f800001
	s_and_saveexec_b64 s[62:63], s[22:23]
	s_cbranch_execz .LBB6_1003
; %bb.1002:                             ;   in Loop: Header=BB6_897 Depth=2
	v_and_b32_e32 v5, 7, v11
	v_ffbh_u32_e32 v5, v5
	v_min_u32_e32 v5, 32, v5
	v_lshrrev_b32_e32 v8, 3, v24
	v_subrev_u32_e32 v9, 28, v5
	v_sub_u32_e32 v5, 29, v5
	v_cmp_gt_u32_e64 s[22:23], 8, v24
	v_mov_b32_e32 v6, v11
	v_mov_b32_e32 v7, v57
	v_cndmask_b32_e64 v5, v8, v5, s[22:23]
	v_cndmask_b32_e64 v8, 0, v9, s[22:23]
	v_lshlrev_b64 v[8:9], v8, v[6:7]
	v_lshlrev_b32_e32 v7, 20, v8
	v_lshlrev_b32_e32 v6, 24, v6
	v_and_b32_e32 v7, 0x700000, v7
	v_and_b32_e32 v6, 0x80000000, v6
	v_lshl_add_u32 v5, v5, 23, v29
	v_or3_b32 v5, v6, v5, v7
.LBB6_1003:                             ;   in Loop: Header=BB6_897 Depth=2
	s_or_b64 exec, exec, s[62:63]
.LBB6_1004:                             ;   in Loop: Header=BB6_897 Depth=2
	s_or_b64 exec, exec, s[60:61]
.LBB6_1005:                             ;   in Loop: Header=BB6_897 Depth=2
	s_or_b64 exec, exec, s[24:25]
	v_add_f32_e32 v5, v4, v5
	v_and_b32_sdwa v4, v5, s75 dst_sel:DWORD dst_unused:UNUSED_PAD src0_sel:BYTE_3 src1_sel:DWORD
	v_and_b32_e32 v6, 0x7f800000, v5
	v_mov_b32_e32 v7, v57
	v_and_b32_e32 v24, 0x7fffff, v5
	v_mov_b32_e32 v25, v57
	v_or_b32_e32 v30, 0x7e, v4
	v_cmp_ne_u64_e64 s[22:23], s[42:43], v[6:7]
	s_and_saveexec_b64 s[24:25], s[22:23]
	s_xor_b64 s[60:61], exec, s[24:25]
	s_cbranch_execz .LBB6_1015
; %bb.1006:                             ;   in Loop: Header=BB6_897 Depth=2
	v_and_b32_e32 v6, 0x7fffffff, v5
	v_mov_b32_e32 v7, v57
	v_cmp_gt_u64_e64 s[22:23], s[44:45], v[6:7]
	s_and_saveexec_b64 s[62:63], s[22:23]
	s_cbranch_execz .LBB6_1014
; %bb.1007:                             ;   in Loop: Header=BB6_897 Depth=2
	v_cmp_ne_u32_e64 s[22:23], 0, v5
	v_mov_b32_e32 v30, 0
	s_and_saveexec_b64 s[64:65], s[22:23]
	s_cbranch_execz .LBB6_1013
; %bb.1008:                             ;   in Loop: Header=BB6_897 Depth=2
	v_bfe_u32 v5, v5, 23, 8
	v_sub_u32_e32 v7, 0x79, v5
	v_cmp_gt_u32_e64 s[22:23], s77, v5
	v_add_u32_e32 v6, 0xffffff81, v5
	v_cndmask_b32_e64 v7, 0, v7, s[22:23]
	v_cmp_eq_u32_e64 s[22:23], 0, v5
	v_cndmask_b32_e64 v5, v6, v33, s[22:23]
	v_mov_b32_e32 v6, 0x78
	v_cndmask_b32_e64 v30, v7, v6, s[22:23]
	v_add_u32_e32 v6, 20, v30
	v_or_b32_e32 v8, 0x800000, v24
	v_lshlrev_b64 v[6:7], v6, -1
	v_cndmask_b32_e64 v24, v8, v24, s[22:23]
	v_not_b32_e32 v6, v6
	v_and_b32_e32 v6, v24, v6
	v_lshrrev_b64 v[24:25], v30, v[24:25]
	v_not_b32_e32 v7, v7
	v_add_u32_e32 v8, 19, v30
	v_lshrrev_b32_e32 v32, 23, v24
	v_and_b32_e32 v7, 0, v7
	v_lshlrev_b64 v[8:9], v8, 1
	v_add3_u32 v38, v30, v5, v32
	v_bfe_u32 v5, v24, 20, 1
	v_add_u32_e32 v5, -1, v5
	v_cmp_eq_u64_e64 s[22:23], v[6:7], v[8:9]
	v_cndmask_b32_e64 v5, 0, v5, s[22:23]
	v_add_u32_e32 v5, v5, v24
	v_and_b32_e32 v5, 0xfffff, v5
	v_add_co_u32_e64 v24, s[22:23], v5, v24
	v_add_u32_e32 v30, 6, v38
	v_addc_co_u32_e64 v25, s[22:23], 0, v25, s[22:23]
	v_cmp_ne_u32_e64 s[22:23], 0, v30
                                        ; implicit-def: $vgpr5
	s_and_saveexec_b64 s[24:25], s[22:23]
	s_xor_b64 s[24:25], exec, s[24:25]
; %bb.1009:                             ;   in Loop: Header=BB6_897 Depth=2
	v_cmp_lt_u64_e64 s[22:23], s[48:49], v[24:25]
	v_add_u32_e32 v5, 7, v38
	v_cndmask_b32_e64 v6, 0, 1, s[22:23]
	v_cndmask_b32_e64 v5, v30, v5, s[22:23]
	v_lshrrev_b64 v[24:25], v6, v[24:25]
; %bb.1010:                             ;   in Loop: Header=BB6_897 Depth=2
	s_andn2_saveexec_b64 s[22:23], s[24:25]
; %bb.1011:                             ;   in Loop: Header=BB6_897 Depth=2
	v_bfe_u32 v5, v24, 23, 1
; %bb.1012:                             ;   in Loop: Header=BB6_897 Depth=2
	s_or_b64 exec, exec, s[22:23]
	v_lshrrev_b64 v[6:7], 20, v[24:25]
	v_cmp_gt_i32_e64 s[22:23], 16, v5
	v_cndmask_b32_e64 v7, 0, v7, s[22:23]
	v_cndmask_b32_e64 v6, 7, v6, s[22:23]
	v_cmp_eq_u32_e64 s[22:23], 0, v5
	v_min_i32_e32 v5, 15, v5
	v_cmp_eq_u64_e64 s[24:25], 0, v[6:7]
	v_lshlrev_b32_e32 v5, 3, v5
	v_and_or_b32 v5, v6, 7, v5
	s_and_b64 s[22:23], s[22:23], s[24:25]
	v_cndmask_b32_e64 v5, v5, 0, s[22:23]
	v_or_b32_e32 v30, v5, v4
.LBB6_1013:                             ;   in Loop: Header=BB6_897 Depth=2
	s_or_b64 exec, exec, s[64:65]
.LBB6_1014:                             ;   in Loop: Header=BB6_897 Depth=2
	s_or_b64 exec, exec, s[62:63]
                                        ; implicit-def: $vgpr5
                                        ; implicit-def: $vgpr24_vgpr25
.LBB6_1015:                             ;   in Loop: Header=BB6_897 Depth=2
	s_andn2_saveexec_b64 s[24:25], s[60:61]
; %bb.1016:                             ;   in Loop: Header=BB6_897 Depth=2
	v_or_b32_sdwa v4, v5, s76 dst_sel:DWORD dst_unused:UNUSED_PAD src0_sel:BYTE_3 src1_sel:DWORD
	v_cmp_eq_u64_e64 s[22:23], 0, v[24:25]
	v_cndmask_b32_e64 v30, v4, v30, s[22:23]
; %bb.1017:                             ;   in Loop: Header=BB6_897 Depth=2
	s_or_b64 exec, exec, s[24:25]
	v_lshrrev_b16_e32 v24, 8, v56
	v_cmp_ne_u16_e64 s[22:23], 0, v24
	v_mov_b32_e32 v4, 0
	v_mov_b32_e32 v5, 0
	s_and_saveexec_b64 s[24:25], s[22:23]
	s_cbranch_execz .LBB6_1023
; %bb.1018:                             ;   in Loop: Header=BB6_897 Depth=2
	v_cmp_ne_u16_e64 s[22:23], s75, v24
	v_bfrev_b32_e32 v5, 1
	s_and_saveexec_b64 s[60:61], s[22:23]
	s_cbranch_execz .LBB6_1022
; %bb.1019:                             ;   in Loop: Header=BB6_897 Depth=2
	v_and_b32_e32 v25, 0x7f, v24
	v_cmp_ne_u32_e64 s[22:23], s76, v25
	v_mov_b32_e32 v5, 0x7f800001
	s_and_saveexec_b64 s[62:63], s[22:23]
	s_cbranch_execz .LBB6_1021
; %bb.1020:                             ;   in Loop: Header=BB6_897 Depth=2
	v_and_b32_e32 v5, 7, v24
	v_ffbh_u32_e32 v6, v5
	v_min_u32_e32 v9, 32, v6
	v_subrev_u32_e32 v6, 28, v9
	v_lshlrev_b64 v[6:7], v6, v[24:25]
	v_lshrrev_b32_e32 v8, 3, v25
	v_sub_u32_e32 v7, 29, v9
	v_and_b32_e32 v6, 7, v6
	v_cmp_gt_u32_e64 s[22:23], 8, v25
	v_cndmask_b32_e64 v7, v8, v7, s[22:23]
	v_cndmask_b32_e64 v5, v5, v6, s[22:23]
	v_lshlrev_b32_e32 v6, 16, v56
	v_lshlrev_b32_e32 v5, 20, v5
	v_and_b32_e32 v6, 0x80000000, v6
	v_lshl_add_u32 v7, v7, 23, v29
	v_or3_b32 v5, v6, v7, v5
.LBB6_1021:                             ;   in Loop: Header=BB6_897 Depth=2
	s_or_b64 exec, exec, s[62:63]
.LBB6_1022:                             ;   in Loop: Header=BB6_897 Depth=2
	s_or_b64 exec, exec, s[60:61]
.LBB6_1023:                             ;   in Loop: Header=BB6_897 Depth=2
	s_or_b64 exec, exec, s[24:25]
	v_mov_b32_e32 v24, v11
	v_lshrrev_b16_e32 v54, 8, v24
	v_cmp_ne_u16_e64 s[22:23], 0, v54
	s_and_saveexec_b64 s[24:25], s[22:23]
	s_cbranch_execz .LBB6_1029
; %bb.1024:                             ;   in Loop: Header=BB6_897 Depth=2
	v_cmp_ne_u16_e64 s[22:23], s75, v54
	v_bfrev_b32_e32 v4, 1
	s_and_saveexec_b64 s[60:61], s[22:23]
	s_cbranch_execz .LBB6_1028
; %bb.1025:                             ;   in Loop: Header=BB6_897 Depth=2
	v_and_b32_e32 v25, 0x7f, v54
	v_cmp_ne_u32_e64 s[22:23], s76, v25
	v_mov_b32_e32 v4, 0x7f800001
	s_and_saveexec_b64 s[62:63], s[22:23]
	s_cbranch_execz .LBB6_1027
; %bb.1026:                             ;   in Loop: Header=BB6_897 Depth=2
	v_and_b32_e32 v4, 7, v54
	v_ffbh_u32_e32 v6, v4
	v_min_u32_e32 v9, 32, v6
	v_subrev_u32_e32 v6, 28, v9
	v_lshlrev_b64 v[6:7], v6, v[54:55]
	v_lshrrev_b32_e32 v8, 3, v25
	v_sub_u32_e32 v7, 29, v9
	v_and_b32_e32 v6, 7, v6
	v_cmp_gt_u32_e64 s[22:23], 8, v25
	v_cndmask_b32_e64 v7, v8, v7, s[22:23]
	v_cndmask_b32_e64 v4, v4, v6, s[22:23]
	v_lshlrev_b32_e32 v6, 16, v24
	v_lshlrev_b32_e32 v4, 20, v4
	v_and_b32_e32 v6, 0x80000000, v6
	v_lshl_add_u32 v7, v7, 23, v29
	v_or3_b32 v4, v6, v7, v4
.LBB6_1027:                             ;   in Loop: Header=BB6_897 Depth=2
	s_or_b64 exec, exec, s[62:63]
.LBB6_1028:                             ;   in Loop: Header=BB6_897 Depth=2
	s_or_b64 exec, exec, s[60:61]
.LBB6_1029:                             ;   in Loop: Header=BB6_897 Depth=2
	s_or_b64 exec, exec, s[24:25]
	v_add_f32_e32 v5, v5, v4
	v_and_b32_sdwa v4, v5, s75 dst_sel:DWORD dst_unused:UNUSED_PAD src0_sel:BYTE_3 src1_sel:DWORD
	v_and_b32_e32 v6, 0x7f800000, v5
	v_mov_b32_e32 v7, v57
	v_and_b32_e32 v56, 0x7fffff, v5
	v_or_b32_e32 v52, 0x7e, v4
	v_cmp_ne_u64_e64 s[22:23], s[42:43], v[6:7]
	s_and_saveexec_b64 s[24:25], s[22:23]
	s_xor_b64 s[60:61], exec, s[24:25]
	s_cbranch_execz .LBB6_1039
; %bb.1030:                             ;   in Loop: Header=BB6_897 Depth=2
	v_and_b32_e32 v6, 0x7fffffff, v5
	v_mov_b32_e32 v7, v57
	v_cmp_gt_u64_e64 s[22:23], s[44:45], v[6:7]
	s_and_saveexec_b64 s[62:63], s[22:23]
	s_cbranch_execz .LBB6_1038
; %bb.1031:                             ;   in Loop: Header=BB6_897 Depth=2
	v_cmp_ne_u32_e64 s[22:23], 0, v5
	v_mov_b32_e32 v52, 0
	s_and_saveexec_b64 s[64:65], s[22:23]
	s_cbranch_execz .LBB6_1037
; %bb.1032:                             ;   in Loop: Header=BB6_897 Depth=2
	v_bfe_u32 v5, v5, 23, 8
	v_sub_u32_e32 v7, 0x79, v5
	v_cmp_gt_u32_e64 s[22:23], s77, v5
	v_add_u32_e32 v6, 0xffffff81, v5
	v_cndmask_b32_e64 v7, 0, v7, s[22:23]
	v_cmp_eq_u32_e64 s[22:23], 0, v5
	v_cndmask_b32_e64 v5, v6, v33, s[22:23]
	v_mov_b32_e32 v6, 0x78
	v_or_b32_e32 v8, 0x800000, v56
	v_cndmask_b32_e64 v32, v7, v6, s[22:23]
	v_cndmask_b32_e64 v56, v8, v56, s[22:23]
	v_add_u32_e32 v6, 20, v32
	v_lshlrev_b64 v[6:7], v6, -1
	v_lshrrev_b64 v[24:25], v32, v[56:57]
	v_not_b32_e32 v7, v7
	v_not_b32_e32 v6, v6
	v_add_u32_e32 v8, 19, v32
	v_lshrrev_b32_e32 v33, 23, v24
	v_and_b32_e32 v7, 0, v7
	v_and_b32_e32 v6, v56, v6
	v_lshlrev_b64 v[8:9], v8, 1
	v_add3_u32 v38, v32, v5, v33
	v_bfe_u32 v5, v24, 20, 1
	v_add_u32_e32 v5, -1, v5
	v_cmp_eq_u64_e64 s[22:23], v[6:7], v[8:9]
	v_cndmask_b32_e64 v5, 0, v5, s[22:23]
	v_add_u32_e32 v5, v5, v24
	v_and_b32_e32 v5, 0xfffff, v5
	v_add_co_u32_e64 v24, s[22:23], v5, v24
	v_add_u32_e32 v48, 6, v38
	v_addc_co_u32_e64 v25, s[22:23], 0, v25, s[22:23]
	v_cmp_ne_u32_e64 s[22:23], 0, v48
                                        ; implicit-def: $vgpr5
	s_and_saveexec_b64 s[24:25], s[22:23]
	s_xor_b64 s[24:25], exec, s[24:25]
; %bb.1033:                             ;   in Loop: Header=BB6_897 Depth=2
	v_cmp_lt_u64_e64 s[22:23], s[48:49], v[24:25]
	v_add_u32_e32 v5, 7, v38
	v_cndmask_b32_e64 v6, 0, 1, s[22:23]
	v_cndmask_b32_e64 v5, v48, v5, s[22:23]
	v_lshrrev_b64 v[24:25], v6, v[24:25]
; %bb.1034:                             ;   in Loop: Header=BB6_897 Depth=2
	s_andn2_saveexec_b64 s[22:23], s[24:25]
; %bb.1035:                             ;   in Loop: Header=BB6_897 Depth=2
	v_bfe_u32 v5, v24, 23, 1
; %bb.1036:                             ;   in Loop: Header=BB6_897 Depth=2
	s_or_b64 exec, exec, s[22:23]
	v_lshrrev_b64 v[6:7], 20, v[24:25]
	v_cmp_gt_i32_e64 s[22:23], 16, v5
	v_cndmask_b32_e64 v7, 0, v7, s[22:23]
	v_cndmask_b32_e64 v6, 7, v6, s[22:23]
	v_cmp_eq_u32_e64 s[22:23], 0, v5
	v_min_i32_e32 v5, 15, v5
	v_cmp_eq_u64_e64 s[24:25], 0, v[6:7]
	v_lshlrev_b32_e32 v5, 3, v5
	v_and_or_b32 v5, v6, 7, v5
	s_and_b64 s[22:23], s[22:23], s[24:25]
	v_cndmask_b32_e64 v5, v5, 0, s[22:23]
	v_or_b32_e32 v52, v5, v4
	v_mov_b32_e32 v33, 0xffffff82
.LBB6_1037:                             ;   in Loop: Header=BB6_897 Depth=2
	s_or_b64 exec, exec, s[64:65]
.LBB6_1038:                             ;   in Loop: Header=BB6_897 Depth=2
	s_or_b64 exec, exec, s[62:63]
                                        ; implicit-def: $vgpr5
.LBB6_1039:                             ;   in Loop: Header=BB6_897 Depth=2
	s_andn2_saveexec_b64 s[24:25], s[60:61]
; %bb.1040:                             ;   in Loop: Header=BB6_897 Depth=2
	v_or_b32_sdwa v4, v5, s76 dst_sel:DWORD dst_unused:UNUSED_PAD src0_sel:BYTE_3 src1_sel:DWORD
	v_cmp_eq_u64_e64 s[22:23], 0, v[56:57]
	v_cndmask_b32_e64 v52, v4, v52, s[22:23]
; %bb.1041:                             ;   in Loop: Header=BB6_897 Depth=2
	s_or_b64 exec, exec, s[24:25]
	v_lshrrev_b32_e32 v24, 16, v15
	v_cmp_ne_u16_sdwa s[22:23], v24, v57 src0_sel:BYTE_0 src1_sel:DWORD
	v_mov_b32_e32 v4, 0
	v_mov_b32_e32 v5, 0
	s_and_saveexec_b64 s[24:25], s[22:23]
	s_cbranch_execz .LBB6_1047
; %bb.1042:                             ;   in Loop: Header=BB6_897 Depth=2
	v_cmp_ne_u16_sdwa s[22:23], v24, s75 src0_sel:BYTE_0 src1_sel:DWORD
	v_bfrev_b32_e32 v5, 1
	s_and_saveexec_b64 s[60:61], s[22:23]
	s_cbranch_execz .LBB6_1046
; %bb.1043:                             ;   in Loop: Header=BB6_897 Depth=2
	v_bfe_u32 v25, v15, 16, 7
	v_cmp_ne_u32_e64 s[22:23], s76, v25
	v_mov_b32_e32 v5, 0x7f800001
	s_and_saveexec_b64 s[62:63], s[22:23]
	s_cbranch_execz .LBB6_1045
; %bb.1044:                             ;   in Loop: Header=BB6_897 Depth=2
	v_and_b32_e32 v5, 7, v24
	v_ffbh_u32_e32 v6, v5
	v_min_u32_e32 v9, 32, v6
	v_subrev_u32_e32 v6, 28, v9
	v_lshlrev_b64 v[6:7], v6, v[24:25]
	v_lshrrev_b32_e32 v8, 3, v25
	v_sub_u32_e32 v7, 29, v9
	v_and_b32_e32 v6, 7, v6
	v_cmp_gt_u32_e64 s[22:23], 8, v25
	v_cndmask_b32_e64 v7, v8, v7, s[22:23]
	v_cndmask_b32_e64 v5, v5, v6, s[22:23]
	v_lshlrev_b32_e32 v6, 24, v24
	v_lshlrev_b32_e32 v5, 20, v5
	v_and_b32_e32 v6, 0x80000000, v6
	v_lshl_add_u32 v7, v7, 23, v29
	v_or3_b32 v5, v6, v7, v5
.LBB6_1045:                             ;   in Loop: Header=BB6_897 Depth=2
	s_or_b64 exec, exec, s[62:63]
.LBB6_1046:                             ;   in Loop: Header=BB6_897 Depth=2
	s_or_b64 exec, exec, s[60:61]
.LBB6_1047:                             ;   in Loop: Header=BB6_897 Depth=2
	s_or_b64 exec, exec, s[24:25]
	v_lshrrev_b32_e32 v24, 16, v11
	v_cmp_ne_u16_sdwa s[22:23], v24, v57 src0_sel:BYTE_0 src1_sel:DWORD
	s_and_saveexec_b64 s[24:25], s[22:23]
	s_cbranch_execz .LBB6_1053
; %bb.1048:                             ;   in Loop: Header=BB6_897 Depth=2
	v_cmp_ne_u16_sdwa s[22:23], v24, s75 src0_sel:BYTE_0 src1_sel:DWORD
	v_bfrev_b32_e32 v4, 1
	s_and_saveexec_b64 s[60:61], s[22:23]
	s_cbranch_execz .LBB6_1052
; %bb.1049:                             ;   in Loop: Header=BB6_897 Depth=2
	v_bfe_u32 v25, v11, 16, 7
	v_cmp_ne_u32_e64 s[22:23], s76, v25
	v_mov_b32_e32 v4, 0x7f800001
	s_and_saveexec_b64 s[62:63], s[22:23]
	s_cbranch_execz .LBB6_1051
; %bb.1050:                             ;   in Loop: Header=BB6_897 Depth=2
	v_and_b32_e32 v4, 7, v24
	v_ffbh_u32_e32 v6, v4
	v_min_u32_e32 v9, 32, v6
	v_subrev_u32_e32 v6, 28, v9
	v_lshlrev_b64 v[6:7], v6, v[24:25]
	v_lshrrev_b32_e32 v8, 3, v25
	v_sub_u32_e32 v7, 29, v9
	v_and_b32_e32 v6, 7, v6
	v_cmp_gt_u32_e64 s[22:23], 8, v25
	v_cndmask_b32_e64 v7, v8, v7, s[22:23]
	v_cndmask_b32_e64 v4, v4, v6, s[22:23]
	v_lshlrev_b32_e32 v6, 8, v11
	v_lshlrev_b32_e32 v4, 20, v4
	v_and_b32_e32 v6, 0x80000000, v6
	v_lshl_add_u32 v7, v7, 23, v29
	v_or3_b32 v4, v6, v7, v4
.LBB6_1051:                             ;   in Loop: Header=BB6_897 Depth=2
	s_or_b64 exec, exec, s[62:63]
.LBB6_1052:                             ;   in Loop: Header=BB6_897 Depth=2
	s_or_b64 exec, exec, s[60:61]
.LBB6_1053:                             ;   in Loop: Header=BB6_897 Depth=2
	s_or_b64 exec, exec, s[24:25]
	v_add_f32_e32 v5, v5, v4
	v_and_b32_sdwa v4, v5, s75 dst_sel:DWORD dst_unused:UNUSED_PAD src0_sel:BYTE_3 src1_sel:DWORD
	v_and_b32_e32 v6, 0x7f800000, v5
	v_mov_b32_e32 v7, v57
	v_and_b32_e32 v56, 0x7fffff, v5
	v_or_b32_e32 v24, 0x7e, v4
	v_cmp_ne_u64_e64 s[22:23], s[42:43], v[6:7]
	s_and_saveexec_b64 s[24:25], s[22:23]
	s_xor_b64 s[60:61], exec, s[24:25]
	s_cbranch_execz .LBB6_1063
; %bb.1054:                             ;   in Loop: Header=BB6_897 Depth=2
	v_and_b32_e32 v6, 0x7fffffff, v5
	v_mov_b32_e32 v7, v57
	v_cmp_gt_u64_e64 s[22:23], s[44:45], v[6:7]
	s_and_saveexec_b64 s[62:63], s[22:23]
	s_cbranch_execz .LBB6_1062
; %bb.1055:                             ;   in Loop: Header=BB6_897 Depth=2
	v_cmp_ne_u32_e64 s[22:23], 0, v5
	v_mov_b32_e32 v24, 0
	s_and_saveexec_b64 s[64:65], s[22:23]
	s_cbranch_execz .LBB6_1061
; %bb.1056:                             ;   in Loop: Header=BB6_897 Depth=2
	v_bfe_u32 v5, v5, 23, 8
	v_sub_u32_e32 v7, 0x79, v5
	v_cmp_gt_u32_e64 s[22:23], s77, v5
	v_add_u32_e32 v6, 0xffffff81, v5
	v_cndmask_b32_e64 v7, 0, v7, s[22:23]
	v_cmp_eq_u32_e64 s[22:23], 0, v5
	v_cndmask_b32_e64 v5, v6, v33, s[22:23]
	v_mov_b32_e32 v6, 0x78
	v_or_b32_e32 v8, 0x800000, v56
	v_cndmask_b32_e64 v32, v7, v6, s[22:23]
	v_cndmask_b32_e64 v56, v8, v56, s[22:23]
	v_add_u32_e32 v6, 20, v32
	v_lshlrev_b64 v[6:7], v6, -1
	v_lshrrev_b64 v[24:25], v32, v[56:57]
	v_not_b32_e32 v7, v7
	v_not_b32_e32 v6, v6
	v_add_u32_e32 v8, 19, v32
	v_lshrrev_b32_e32 v33, 23, v24
	v_and_b32_e32 v7, 0, v7
	v_and_b32_e32 v6, v56, v6
	v_lshlrev_b64 v[8:9], v8, 1
	v_add3_u32 v38, v32, v5, v33
	v_bfe_u32 v5, v24, 20, 1
	v_add_u32_e32 v5, -1, v5
	v_cmp_eq_u64_e64 s[22:23], v[6:7], v[8:9]
	v_cndmask_b32_e64 v5, 0, v5, s[22:23]
	v_add_u32_e32 v5, v5, v24
	v_and_b32_e32 v5, 0xfffff, v5
	v_add_co_u32_e64 v24, s[22:23], v5, v24
	v_add_u32_e32 v48, 6, v38
	v_addc_co_u32_e64 v25, s[22:23], 0, v25, s[22:23]
	v_cmp_ne_u32_e64 s[22:23], 0, v48
                                        ; implicit-def: $vgpr5
	s_and_saveexec_b64 s[24:25], s[22:23]
	s_xor_b64 s[24:25], exec, s[24:25]
; %bb.1057:                             ;   in Loop: Header=BB6_897 Depth=2
	v_cmp_lt_u64_e64 s[22:23], s[48:49], v[24:25]
	v_add_u32_e32 v5, 7, v38
	v_cndmask_b32_e64 v6, 0, 1, s[22:23]
	v_cndmask_b32_e64 v5, v48, v5, s[22:23]
	v_lshrrev_b64 v[24:25], v6, v[24:25]
; %bb.1058:                             ;   in Loop: Header=BB6_897 Depth=2
	s_andn2_saveexec_b64 s[22:23], s[24:25]
; %bb.1059:                             ;   in Loop: Header=BB6_897 Depth=2
	v_bfe_u32 v5, v24, 23, 1
; %bb.1060:                             ;   in Loop: Header=BB6_897 Depth=2
	s_or_b64 exec, exec, s[22:23]
	v_lshrrev_b64 v[6:7], 20, v[24:25]
	v_cmp_gt_i32_e64 s[22:23], 16, v5
	v_cndmask_b32_e64 v7, 0, v7, s[22:23]
	v_cndmask_b32_e64 v6, 7, v6, s[22:23]
	v_cmp_eq_u32_e64 s[22:23], 0, v5
	v_min_i32_e32 v5, 15, v5
	v_lshlrev_b32_e32 v5, 3, v5
	v_cmp_eq_u64_e64 s[24:25], 0, v[6:7]
	v_and_b32_e32 v5, 0xf8, v5
	v_and_or_b32 v5, v6, 7, v5
	s_and_b64 s[22:23], s[22:23], s[24:25]
	v_cndmask_b32_e64 v5, v5, 0, s[22:23]
	v_or_b32_e32 v24, v5, v4
	v_mov_b32_e32 v33, 0xffffff82
.LBB6_1061:                             ;   in Loop: Header=BB6_897 Depth=2
	s_or_b64 exec, exec, s[64:65]
.LBB6_1062:                             ;   in Loop: Header=BB6_897 Depth=2
	s_or_b64 exec, exec, s[62:63]
                                        ; implicit-def: $vgpr5
.LBB6_1063:                             ;   in Loop: Header=BB6_897 Depth=2
	s_andn2_saveexec_b64 s[24:25], s[60:61]
; %bb.1064:                             ;   in Loop: Header=BB6_897 Depth=2
	v_or_b32_sdwa v4, v5, s76 dst_sel:DWORD dst_unused:UNUSED_PAD src0_sel:BYTE_3 src1_sel:DWORD
	v_cmp_eq_u64_e64 s[22:23], 0, v[56:57]
	v_cndmask_b32_e64 v24, v4, v24, s[22:23]
; %bb.1065:                             ;   in Loop: Header=BB6_897 Depth=2
	s_or_b64 exec, exec, s[24:25]
	v_cmp_lt_u64_e64 s[22:23], s[46:47], v[14:15]
	v_mov_b32_e32 v4, 0
	v_mov_b32_e32 v5, 0
	s_and_saveexec_b64 s[24:25], s[22:23]
	s_cbranch_execz .LBB6_1071
; %bb.1066:                             ;   in Loop: Header=BB6_897 Depth=2
	v_lshrrev_b32_e32 v14, 24, v15
	v_cmp_ne_u32_e64 s[22:23], s75, v14
	v_bfrev_b32_e32 v5, 1
	s_and_saveexec_b64 s[60:61], s[22:23]
	s_cbranch_execz .LBB6_1070
; %bb.1067:                             ;   in Loop: Header=BB6_897 Depth=2
	v_bfe_u32 v15, v15, 24, 7
	v_cmp_ne_u32_e64 s[22:23], s76, v15
	v_mov_b32_e32 v5, 0x7f800001
	s_and_saveexec_b64 s[62:63], s[22:23]
	s_cbranch_execz .LBB6_1069
; %bb.1068:                             ;   in Loop: Header=BB6_897 Depth=2
	v_and_b32_e32 v5, 7, v14
	v_ffbh_u32_e32 v6, v5
	v_min_u32_e32 v9, 32, v6
	v_subrev_u32_e32 v6, 28, v9
	v_lshlrev_b64 v[6:7], v6, v[14:15]
	v_lshrrev_b32_e32 v8, 3, v15
	v_sub_u32_e32 v7, 29, v9
	v_and_b32_e32 v6, 7, v6
	v_cmp_gt_u32_e64 s[22:23], 8, v15
	v_cndmask_b32_e64 v7, v8, v7, s[22:23]
	v_cndmask_b32_e64 v5, v5, v6, s[22:23]
	v_lshlrev_b32_e32 v6, 24, v14
	v_lshlrev_b32_e32 v5, 20, v5
	v_and_b32_e32 v6, 0x80000000, v6
	v_lshl_add_u32 v7, v7, 23, v29
	v_or3_b32 v5, v6, v7, v5
.LBB6_1069:                             ;   in Loop: Header=BB6_897 Depth=2
	s_or_b64 exec, exec, s[62:63]
.LBB6_1070:                             ;   in Loop: Header=BB6_897 Depth=2
	s_or_b64 exec, exec, s[60:61]
.LBB6_1071:                             ;   in Loop: Header=BB6_897 Depth=2
	s_or_b64 exec, exec, s[24:25]
	v_cmp_lt_u64_e64 s[22:23], s[46:47], v[10:11]
	s_and_saveexec_b64 s[24:25], s[22:23]
	s_cbranch_execz .LBB6_1077
; %bb.1072:                             ;   in Loop: Header=BB6_897 Depth=2
	v_lshrrev_b32_e32 v10, 24, v11
	v_cmp_ne_u32_e64 s[22:23], s75, v10
	v_bfrev_b32_e32 v4, 1
	s_and_saveexec_b64 s[60:61], s[22:23]
	s_cbranch_execz .LBB6_1076
; %bb.1073:                             ;   in Loop: Header=BB6_897 Depth=2
	v_bfe_u32 v11, v11, 24, 7
	v_cmp_ne_u32_e64 s[22:23], s76, v11
	v_mov_b32_e32 v4, 0x7f800001
	s_and_saveexec_b64 s[62:63], s[22:23]
	s_cbranch_execz .LBB6_1075
; %bb.1074:                             ;   in Loop: Header=BB6_897 Depth=2
	v_and_b32_e32 v4, 7, v10
	v_ffbh_u32_e32 v6, v4
	v_min_u32_e32 v9, 32, v6
	v_subrev_u32_e32 v6, 28, v9
	v_lshlrev_b64 v[6:7], v6, v[10:11]
	v_lshrrev_b32_e32 v8, 3, v11
	v_sub_u32_e32 v7, 29, v9
	v_and_b32_e32 v6, 7, v6
	v_cmp_gt_u32_e64 s[22:23], 8, v11
	v_cndmask_b32_e64 v7, v8, v7, s[22:23]
	v_cndmask_b32_e64 v4, v4, v6, s[22:23]
	v_lshlrev_b32_e32 v6, 24, v10
	v_lshlrev_b32_e32 v4, 20, v4
	v_and_b32_e32 v6, 0x80000000, v6
	v_lshl_add_u32 v7, v7, 23, v29
	v_or3_b32 v4, v6, v7, v4
.LBB6_1075:                             ;   in Loop: Header=BB6_897 Depth=2
	s_or_b64 exec, exec, s[62:63]
.LBB6_1076:                             ;   in Loop: Header=BB6_897 Depth=2
	s_or_b64 exec, exec, s[60:61]
.LBB6_1077:                             ;   in Loop: Header=BB6_897 Depth=2
	s_or_b64 exec, exec, s[24:25]
	v_add_f32_e32 v5, v5, v4
	v_and_b32_sdwa v4, v5, s75 dst_sel:DWORD dst_unused:UNUSED_PAD src0_sel:BYTE_3 src1_sel:DWORD
	v_and_b32_e32 v6, 0x7f800000, v5
	v_mov_b32_e32 v7, v57
	v_and_b32_e32 v56, 0x7fffff, v5
	v_or_b32_e32 v15, 0x7e, v4
	v_cmp_ne_u64_e64 s[22:23], s[42:43], v[6:7]
	s_and_saveexec_b64 s[24:25], s[22:23]
	s_xor_b64 s[60:61], exec, s[24:25]
	s_cbranch_execz .LBB6_1087
; %bb.1078:                             ;   in Loop: Header=BB6_897 Depth=2
	v_and_b32_e32 v6, 0x7fffffff, v5
	v_mov_b32_e32 v7, v57
	v_cmp_gt_u64_e64 s[22:23], s[44:45], v[6:7]
	s_and_saveexec_b64 s[62:63], s[22:23]
	s_cbranch_execz .LBB6_1086
; %bb.1079:                             ;   in Loop: Header=BB6_897 Depth=2
	v_cmp_ne_u32_e64 s[22:23], 0, v5
	v_mov_b32_e32 v15, 0
	s_and_saveexec_b64 s[64:65], s[22:23]
	s_cbranch_execz .LBB6_1085
; %bb.1080:                             ;   in Loop: Header=BB6_897 Depth=2
	v_bfe_u32 v5, v5, 23, 8
	v_sub_u32_e32 v7, 0x79, v5
	v_cmp_gt_u32_e64 s[22:23], s77, v5
	v_add_u32_e32 v6, 0xffffff81, v5
	v_cndmask_b32_e64 v7, 0, v7, s[22:23]
	v_cmp_eq_u32_e64 s[22:23], 0, v5
	v_cndmask_b32_e64 v5, v6, v33, s[22:23]
	v_mov_b32_e32 v6, 0x78
	v_or_b32_e32 v8, 0x800000, v56
	v_cndmask_b32_e64 v14, v7, v6, s[22:23]
	v_cndmask_b32_e64 v56, v8, v56, s[22:23]
	v_add_u32_e32 v6, 20, v14
	v_lshlrev_b64 v[6:7], v6, -1
	v_lshrrev_b64 v[10:11], v14, v[56:57]
	v_not_b32_e32 v7, v7
	v_not_b32_e32 v6, v6
	v_add_u32_e32 v8, 19, v14
	v_lshrrev_b32_e32 v15, 23, v10
	v_and_b32_e32 v7, 0, v7
	v_and_b32_e32 v6, v56, v6
	v_lshlrev_b64 v[8:9], v8, 1
	v_add3_u32 v15, v14, v5, v15
	v_bfe_u32 v5, v10, 20, 1
	v_add_u32_e32 v5, -1, v5
	v_cmp_eq_u64_e64 s[22:23], v[6:7], v[8:9]
	v_cndmask_b32_e64 v5, 0, v5, s[22:23]
	v_add_u32_e32 v5, v5, v10
	v_and_b32_e32 v5, 0xfffff, v5
	v_add_co_u32_e64 v10, s[22:23], v5, v10
	v_add_u32_e32 v14, 6, v15
	v_addc_co_u32_e64 v11, s[22:23], 0, v11, s[22:23]
	v_cmp_ne_u32_e64 s[22:23], 0, v14
                                        ; implicit-def: $vgpr5
	s_and_saveexec_b64 s[24:25], s[22:23]
	s_xor_b64 s[24:25], exec, s[24:25]
; %bb.1081:                             ;   in Loop: Header=BB6_897 Depth=2
	v_cmp_lt_u64_e64 s[22:23], s[48:49], v[10:11]
	v_add_u32_e32 v5, 7, v15
	v_cndmask_b32_e64 v6, 0, 1, s[22:23]
	v_cndmask_b32_e64 v5, v14, v5, s[22:23]
	v_lshrrev_b64 v[10:11], v6, v[10:11]
; %bb.1082:                             ;   in Loop: Header=BB6_897 Depth=2
	s_andn2_saveexec_b64 s[22:23], s[24:25]
; %bb.1083:                             ;   in Loop: Header=BB6_897 Depth=2
	v_bfe_u32 v5, v10, 23, 1
; %bb.1084:                             ;   in Loop: Header=BB6_897 Depth=2
	s_or_b64 exec, exec, s[22:23]
	v_lshrrev_b64 v[6:7], 20, v[10:11]
	v_cmp_gt_i32_e64 s[22:23], 16, v5
	v_cndmask_b32_e64 v7, 0, v7, s[22:23]
	v_cndmask_b32_e64 v6, 7, v6, s[22:23]
	v_cmp_eq_u32_e64 s[22:23], 0, v5
	v_min_i32_e32 v5, 15, v5
	v_lshlrev_b32_e32 v5, 3, v5
	v_cmp_eq_u64_e64 s[24:25], 0, v[6:7]
	v_and_b32_e32 v5, 0xf8, v5
	v_and_or_b32 v5, v6, 7, v5
	s_and_b64 s[22:23], s[22:23], s[24:25]
	v_cndmask_b32_e64 v5, v5, 0, s[22:23]
	v_or_b32_e32 v15, v5, v4
.LBB6_1085:                             ;   in Loop: Header=BB6_897 Depth=2
	s_or_b64 exec, exec, s[64:65]
.LBB6_1086:                             ;   in Loop: Header=BB6_897 Depth=2
	s_or_b64 exec, exec, s[62:63]
                                        ; implicit-def: $vgpr5
.LBB6_1087:                             ;   in Loop: Header=BB6_897 Depth=2
	s_andn2_saveexec_b64 s[24:25], s[60:61]
; %bb.1088:                             ;   in Loop: Header=BB6_897 Depth=2
	v_or_b32_sdwa v4, v5, s76 dst_sel:DWORD dst_unused:UNUSED_PAD src0_sel:BYTE_3 src1_sel:DWORD
	v_cmp_eq_u64_e64 s[22:23], 0, v[56:57]
	v_cndmask_b32_e64 v15, v4, v15, s[22:23]
; %bb.1089:                             ;   in Loop: Header=BB6_897 Depth=2
	s_or_b64 exec, exec, s[24:25]
	v_cmp_ne_u16_sdwa s[22:23], v16, v57 src0_sel:BYTE_0 src1_sel:DWORD
	v_mov_b32_e32 v4, 0
	v_mov_b32_e32 v5, 0
	s_and_saveexec_b64 s[24:25], s[22:23]
	s_cbranch_execz .LBB6_1095
; %bb.1090:                             ;   in Loop: Header=BB6_897 Depth=2
	v_cmp_ne_u16_sdwa s[22:23], v16, s75 src0_sel:BYTE_0 src1_sel:DWORD
	v_bfrev_b32_e32 v5, 1
	s_and_saveexec_b64 s[60:61], s[22:23]
	s_cbranch_execz .LBB6_1094
; %bb.1091:                             ;   in Loop: Header=BB6_897 Depth=2
	v_and_b32_e32 v10, 0x7f, v16
	v_cmp_ne_u32_e64 s[22:23], s76, v10
	v_mov_b32_e32 v5, 0x7f800001
	s_and_saveexec_b64 s[62:63], s[22:23]
	s_cbranch_execz .LBB6_1093
; %bb.1092:                             ;   in Loop: Header=BB6_897 Depth=2
	v_and_b32_e32 v5, 7, v16
	v_ffbh_u32_e32 v5, v5
	v_min_u32_e32 v5, 32, v5
	v_lshrrev_b32_e32 v6, 3, v10
	v_subrev_u32_e32 v7, 28, v5
	v_sub_u32_e32 v5, 29, v5
	v_cmp_gt_u32_e64 s[22:23], 8, v10
	v_cndmask_b32_e64 v5, v6, v5, s[22:23]
	v_cndmask_b32_e64 v6, 0, v7, s[22:23]
	v_lshlrev_b64 v[6:7], v6, v[16:17]
	v_lshlrev_b32_e32 v6, 20, v6
	v_lshlrev_b32_e32 v7, 24, v16
	v_and_b32_e32 v6, 0x700000, v6
	v_and_b32_e32 v7, 0x80000000, v7
	v_lshl_add_u32 v5, v5, 23, v29
	v_or3_b32 v5, v7, v5, v6
.LBB6_1093:                             ;   in Loop: Header=BB6_897 Depth=2
	s_or_b64 exec, exec, s[62:63]
.LBB6_1094:                             ;   in Loop: Header=BB6_897 Depth=2
	s_or_b64 exec, exec, s[60:61]
.LBB6_1095:                             ;   in Loop: Header=BB6_897 Depth=2
	s_or_b64 exec, exec, s[24:25]
	v_cmp_ne_u16_sdwa s[22:23], v12, v57 src0_sel:BYTE_0 src1_sel:DWORD
	s_and_saveexec_b64 s[24:25], s[22:23]
	s_cbranch_execz .LBB6_1101
; %bb.1096:                             ;   in Loop: Header=BB6_897 Depth=2
	v_cmp_ne_u16_sdwa s[22:23], v12, s75 src0_sel:BYTE_0 src1_sel:DWORD
	v_bfrev_b32_e32 v4, 1
	s_and_saveexec_b64 s[60:61], s[22:23]
	s_cbranch_execz .LBB6_1100
; %bb.1097:                             ;   in Loop: Header=BB6_897 Depth=2
	v_and_b32_e32 v10, 0x7f, v12
	v_cmp_ne_u32_e64 s[22:23], s76, v10
	v_mov_b32_e32 v4, 0x7f800001
	s_and_saveexec_b64 s[62:63], s[22:23]
	s_cbranch_execz .LBB6_1099
; %bb.1098:                             ;   in Loop: Header=BB6_897 Depth=2
	v_and_b32_e32 v4, 7, v12
	v_ffbh_u32_e32 v4, v4
	v_min_u32_e32 v4, 32, v4
	v_lshrrev_b32_e32 v6, 3, v10
	v_subrev_u32_e32 v7, 28, v4
	v_sub_u32_e32 v4, 29, v4
	v_cmp_gt_u32_e64 s[22:23], 8, v10
	v_cndmask_b32_e64 v4, v6, v4, s[22:23]
	v_cndmask_b32_e64 v6, 0, v7, s[22:23]
	v_lshlrev_b64 v[6:7], v6, v[12:13]
	v_lshlrev_b32_e32 v6, 20, v6
	v_lshlrev_b32_e32 v7, 24, v12
	v_and_b32_e32 v6, 0x700000, v6
	v_and_b32_e32 v7, 0x80000000, v7
	v_lshl_add_u32 v4, v4, 23, v29
	v_or3_b32 v4, v7, v4, v6
.LBB6_1099:                             ;   in Loop: Header=BB6_897 Depth=2
	s_or_b64 exec, exec, s[62:63]
.LBB6_1100:                             ;   in Loop: Header=BB6_897 Depth=2
	s_or_b64 exec, exec, s[60:61]
.LBB6_1101:                             ;   in Loop: Header=BB6_897 Depth=2
	s_or_b64 exec, exec, s[24:25]
	v_add_f32_e32 v5, v5, v4
	v_and_b32_sdwa v4, v5, s75 dst_sel:DWORD dst_unused:UNUSED_PAD src0_sel:BYTE_3 src1_sel:DWORD
	v_and_b32_e32 v6, 0x7f800000, v5
	v_mov_b32_e32 v7, v57
	v_and_b32_e32 v56, 0x7fffff, v5
	v_or_b32_e32 v25, 0x7e, v4
	v_cmp_ne_u64_e64 s[22:23], s[42:43], v[6:7]
	s_and_saveexec_b64 s[24:25], s[22:23]
	s_xor_b64 s[60:61], exec, s[24:25]
	s_cbranch_execz .LBB6_1111
; %bb.1102:                             ;   in Loop: Header=BB6_897 Depth=2
	v_and_b32_e32 v6, 0x7fffffff, v5
	v_mov_b32_e32 v7, v57
	v_cmp_gt_u64_e64 s[22:23], s[44:45], v[6:7]
	s_and_saveexec_b64 s[62:63], s[22:23]
	s_cbranch_execz .LBB6_1110
; %bb.1103:                             ;   in Loop: Header=BB6_897 Depth=2
	v_cmp_ne_u32_e64 s[22:23], 0, v5
	v_mov_b32_e32 v25, 0
	s_and_saveexec_b64 s[64:65], s[22:23]
	s_cbranch_execz .LBB6_1109
; %bb.1104:                             ;   in Loop: Header=BB6_897 Depth=2
	v_bfe_u32 v5, v5, 23, 8
	v_sub_u32_e32 v7, 0x79, v5
	v_cmp_gt_u32_e64 s[22:23], s77, v5
	v_add_u32_e32 v6, 0xffffff81, v5
	v_cndmask_b32_e64 v7, 0, v7, s[22:23]
	v_cmp_eq_u32_e64 s[22:23], 0, v5
	v_cndmask_b32_e64 v5, v6, v33, s[22:23]
	v_mov_b32_e32 v6, 0x78
	v_or_b32_e32 v8, 0x800000, v56
	v_cndmask_b32_e64 v14, v7, v6, s[22:23]
	v_cndmask_b32_e64 v56, v8, v56, s[22:23]
	v_add_u32_e32 v6, 20, v14
	v_lshlrev_b64 v[6:7], v6, -1
	v_lshrrev_b64 v[10:11], v14, v[56:57]
	v_not_b32_e32 v7, v7
	v_not_b32_e32 v6, v6
	v_add_u32_e32 v8, 19, v14
	v_lshrrev_b32_e32 v25, 23, v10
	v_and_b32_e32 v7, 0, v7
	v_and_b32_e32 v6, v56, v6
	v_lshlrev_b64 v[8:9], v8, 1
	v_add3_u32 v25, v14, v5, v25
	v_bfe_u32 v5, v10, 20, 1
	v_add_u32_e32 v5, -1, v5
	v_cmp_eq_u64_e64 s[22:23], v[6:7], v[8:9]
	v_cndmask_b32_e64 v5, 0, v5, s[22:23]
	v_add_u32_e32 v5, v5, v10
	v_and_b32_e32 v5, 0xfffff, v5
	v_add_co_u32_e64 v10, s[22:23], v5, v10
	v_add_u32_e32 v14, 6, v25
	v_addc_co_u32_e64 v11, s[22:23], 0, v11, s[22:23]
	v_cmp_ne_u32_e64 s[22:23], 0, v14
                                        ; implicit-def: $vgpr5
	s_and_saveexec_b64 s[24:25], s[22:23]
	s_xor_b64 s[24:25], exec, s[24:25]
; %bb.1105:                             ;   in Loop: Header=BB6_897 Depth=2
	v_cmp_lt_u64_e64 s[22:23], s[48:49], v[10:11]
	v_add_u32_e32 v5, 7, v25
	v_cndmask_b32_e64 v6, 0, 1, s[22:23]
	v_cndmask_b32_e64 v5, v14, v5, s[22:23]
	v_lshrrev_b64 v[10:11], v6, v[10:11]
; %bb.1106:                             ;   in Loop: Header=BB6_897 Depth=2
	s_andn2_saveexec_b64 s[22:23], s[24:25]
; %bb.1107:                             ;   in Loop: Header=BB6_897 Depth=2
	v_bfe_u32 v5, v10, 23, 1
; %bb.1108:                             ;   in Loop: Header=BB6_897 Depth=2
	s_or_b64 exec, exec, s[22:23]
	v_lshrrev_b64 v[6:7], 20, v[10:11]
	v_cmp_gt_i32_e64 s[22:23], 16, v5
	v_cndmask_b32_e64 v7, 0, v7, s[22:23]
	v_cndmask_b32_e64 v6, 7, v6, s[22:23]
	v_cmp_eq_u32_e64 s[22:23], 0, v5
	v_min_i32_e32 v5, 15, v5
	v_cmp_eq_u64_e64 s[24:25], 0, v[6:7]
	v_lshlrev_b32_e32 v5, 3, v5
	v_and_or_b32 v5, v6, 7, v5
	s_and_b64 s[22:23], s[22:23], s[24:25]
	v_cndmask_b32_e64 v5, v5, 0, s[22:23]
	v_or_b32_e32 v25, v5, v4
.LBB6_1109:                             ;   in Loop: Header=BB6_897 Depth=2
	s_or_b64 exec, exec, s[64:65]
.LBB6_1110:                             ;   in Loop: Header=BB6_897 Depth=2
	s_or_b64 exec, exec, s[62:63]
                                        ; implicit-def: $vgpr5
.LBB6_1111:                             ;   in Loop: Header=BB6_897 Depth=2
	s_andn2_saveexec_b64 s[24:25], s[60:61]
; %bb.1112:                             ;   in Loop: Header=BB6_897 Depth=2
	v_or_b32_sdwa v4, v5, s76 dst_sel:DWORD dst_unused:UNUSED_PAD src0_sel:BYTE_3 src1_sel:DWORD
	v_cmp_eq_u64_e64 s[22:23], 0, v[56:57]
	v_cndmask_b32_e64 v25, v4, v25, s[22:23]
; %bb.1113:                             ;   in Loop: Header=BB6_897 Depth=2
	s_or_b64 exec, exec, s[24:25]
	v_lshrrev_b16_e32 v10, 8, v16
	v_cmp_ne_u16_e64 s[22:23], 0, v10
	v_mov_b32_e32 v4, 0
	v_mov_b32_e32 v5, 0
	s_and_saveexec_b64 s[24:25], s[22:23]
	s_cbranch_execz .LBB6_1119
; %bb.1114:                             ;   in Loop: Header=BB6_897 Depth=2
	v_cmp_ne_u16_e64 s[22:23], s75, v10
	v_bfrev_b32_e32 v5, 1
	s_and_saveexec_b64 s[60:61], s[22:23]
	s_cbranch_execz .LBB6_1118
; %bb.1115:                             ;   in Loop: Header=BB6_897 Depth=2
	v_and_b32_e32 v11, 0x7f, v10
	v_cmp_ne_u32_e64 s[22:23], s76, v11
	v_mov_b32_e32 v5, 0x7f800001
	s_and_saveexec_b64 s[62:63], s[22:23]
	s_cbranch_execz .LBB6_1117
; %bb.1116:                             ;   in Loop: Header=BB6_897 Depth=2
	v_and_b32_e32 v5, 7, v10
	v_ffbh_u32_e32 v6, v5
	v_min_u32_e32 v9, 32, v6
	v_subrev_u32_e32 v6, 28, v9
	v_lshlrev_b64 v[6:7], v6, v[10:11]
	v_lshrrev_b32_e32 v8, 3, v11
	v_sub_u32_e32 v7, 29, v9
	v_and_b32_e32 v6, 7, v6
	v_cmp_gt_u32_e64 s[22:23], 8, v11
	v_cndmask_b32_e64 v7, v8, v7, s[22:23]
	v_cndmask_b32_e64 v5, v5, v6, s[22:23]
	v_lshlrev_b32_e32 v6, 16, v16
	v_lshlrev_b32_e32 v5, 20, v5
	v_and_b32_e32 v6, 0x80000000, v6
	v_lshl_add_u32 v7, v7, 23, v29
	v_or3_b32 v5, v6, v7, v5
.LBB6_1117:                             ;   in Loop: Header=BB6_897 Depth=2
	s_or_b64 exec, exec, s[62:63]
.LBB6_1118:                             ;   in Loop: Header=BB6_897 Depth=2
	s_or_b64 exec, exec, s[60:61]
.LBB6_1119:                             ;   in Loop: Header=BB6_897 Depth=2
	s_or_b64 exec, exec, s[24:25]
	v_lshrrev_b16_e32 v10, 8, v12
	v_cmp_ne_u16_e64 s[22:23], 0, v10
	s_and_saveexec_b64 s[24:25], s[22:23]
	s_cbranch_execz .LBB6_1125
; %bb.1120:                             ;   in Loop: Header=BB6_897 Depth=2
	v_cmp_ne_u16_e64 s[22:23], s75, v10
	v_bfrev_b32_e32 v4, 1
	s_and_saveexec_b64 s[60:61], s[22:23]
	s_cbranch_execz .LBB6_1124
; %bb.1121:                             ;   in Loop: Header=BB6_897 Depth=2
	v_and_b32_e32 v11, 0x7f, v10
	v_cmp_ne_u32_e64 s[22:23], s76, v11
	v_mov_b32_e32 v4, 0x7f800001
	s_and_saveexec_b64 s[62:63], s[22:23]
	s_cbranch_execz .LBB6_1123
; %bb.1122:                             ;   in Loop: Header=BB6_897 Depth=2
	v_and_b32_e32 v4, 7, v10
	v_ffbh_u32_e32 v6, v4
	v_min_u32_e32 v9, 32, v6
	v_subrev_u32_e32 v6, 28, v9
	v_lshlrev_b64 v[6:7], v6, v[10:11]
	v_lshrrev_b32_e32 v8, 3, v11
	v_sub_u32_e32 v7, 29, v9
	v_and_b32_e32 v6, 7, v6
	v_cmp_gt_u32_e64 s[22:23], 8, v11
	v_cndmask_b32_e64 v7, v8, v7, s[22:23]
	v_cndmask_b32_e64 v4, v4, v6, s[22:23]
	v_lshlrev_b32_e32 v6, 16, v12
	v_lshlrev_b32_e32 v4, 20, v4
	v_and_b32_e32 v6, 0x80000000, v6
	v_lshl_add_u32 v7, v7, 23, v29
	v_or3_b32 v4, v6, v7, v4
.LBB6_1123:                             ;   in Loop: Header=BB6_897 Depth=2
	s_or_b64 exec, exec, s[62:63]
.LBB6_1124:                             ;   in Loop: Header=BB6_897 Depth=2
	s_or_b64 exec, exec, s[60:61]
.LBB6_1125:                             ;   in Loop: Header=BB6_897 Depth=2
	s_or_b64 exec, exec, s[24:25]
	v_add_f32_e32 v5, v5, v4
	v_and_b32_sdwa v4, v5, s75 dst_sel:DWORD dst_unused:UNUSED_PAD src0_sel:BYTE_3 src1_sel:DWORD
	v_and_b32_e32 v6, 0x7f800000, v5
	v_mov_b32_e32 v7, v57
	v_and_b32_e32 v56, 0x7fffff, v5
	v_or_b32_e32 v50, 0x7e, v4
	v_cmp_ne_u64_e64 s[22:23], s[42:43], v[6:7]
	s_and_saveexec_b64 s[24:25], s[22:23]
	s_xor_b64 s[60:61], exec, s[24:25]
	s_cbranch_execz .LBB6_1135
; %bb.1126:                             ;   in Loop: Header=BB6_897 Depth=2
	v_and_b32_e32 v6, 0x7fffffff, v5
	v_mov_b32_e32 v7, v57
	v_cmp_gt_u64_e64 s[22:23], s[44:45], v[6:7]
	s_and_saveexec_b64 s[62:63], s[22:23]
	s_cbranch_execz .LBB6_1134
; %bb.1127:                             ;   in Loop: Header=BB6_897 Depth=2
	v_cmp_ne_u32_e64 s[22:23], 0, v5
	v_mov_b32_e32 v50, 0
	s_and_saveexec_b64 s[64:65], s[22:23]
	s_cbranch_execz .LBB6_1133
; %bb.1128:                             ;   in Loop: Header=BB6_897 Depth=2
	v_bfe_u32 v5, v5, 23, 8
	v_sub_u32_e32 v7, 0x79, v5
	v_cmp_gt_u32_e64 s[22:23], s77, v5
	v_add_u32_e32 v6, 0xffffff81, v5
	v_cndmask_b32_e64 v7, 0, v7, s[22:23]
	v_cmp_eq_u32_e64 s[22:23], 0, v5
	v_cndmask_b32_e64 v5, v6, v33, s[22:23]
	v_mov_b32_e32 v6, 0x78
	v_or_b32_e32 v8, 0x800000, v56
	v_cndmask_b32_e64 v14, v7, v6, s[22:23]
	v_cndmask_b32_e64 v56, v8, v56, s[22:23]
	v_add_u32_e32 v6, 20, v14
	v_lshlrev_b64 v[6:7], v6, -1
	v_lshrrev_b64 v[10:11], v14, v[56:57]
	v_not_b32_e32 v7, v7
	v_not_b32_e32 v6, v6
	v_add_u32_e32 v8, 19, v14
	v_lshrrev_b32_e32 v32, 23, v10
	v_and_b32_e32 v7, 0, v7
	v_and_b32_e32 v6, v56, v6
	v_lshlrev_b64 v[8:9], v8, 1
	v_add3_u32 v38, v14, v5, v32
	v_bfe_u32 v5, v10, 20, 1
	v_add_u32_e32 v5, -1, v5
	v_cmp_eq_u64_e64 s[22:23], v[6:7], v[8:9]
	v_cndmask_b32_e64 v5, 0, v5, s[22:23]
	v_add_u32_e32 v5, v5, v10
	v_and_b32_e32 v5, 0xfffff, v5
	v_add_co_u32_e64 v10, s[22:23], v5, v10
	v_add_u32_e32 v14, 6, v38
	v_addc_co_u32_e64 v11, s[22:23], 0, v11, s[22:23]
	v_cmp_ne_u32_e64 s[22:23], 0, v14
                                        ; implicit-def: $vgpr5
	s_and_saveexec_b64 s[24:25], s[22:23]
	s_xor_b64 s[24:25], exec, s[24:25]
; %bb.1129:                             ;   in Loop: Header=BB6_897 Depth=2
	v_cmp_lt_u64_e64 s[22:23], s[48:49], v[10:11]
	v_add_u32_e32 v5, 7, v38
	v_cndmask_b32_e64 v6, 0, 1, s[22:23]
	v_cndmask_b32_e64 v5, v14, v5, s[22:23]
	v_lshrrev_b64 v[10:11], v6, v[10:11]
; %bb.1130:                             ;   in Loop: Header=BB6_897 Depth=2
	s_andn2_saveexec_b64 s[22:23], s[24:25]
; %bb.1131:                             ;   in Loop: Header=BB6_897 Depth=2
	v_bfe_u32 v5, v10, 23, 1
; %bb.1132:                             ;   in Loop: Header=BB6_897 Depth=2
	s_or_b64 exec, exec, s[22:23]
	v_lshrrev_b64 v[6:7], 20, v[10:11]
	v_cmp_gt_i32_e64 s[22:23], 16, v5
	v_cndmask_b32_e64 v7, 0, v7, s[22:23]
	v_cndmask_b32_e64 v6, 7, v6, s[22:23]
	v_cmp_eq_u32_e64 s[22:23], 0, v5
	v_min_i32_e32 v5, 15, v5
	v_cmp_eq_u64_e64 s[24:25], 0, v[6:7]
	v_lshlrev_b32_e32 v5, 3, v5
	v_and_or_b32 v5, v6, 7, v5
	s_and_b64 s[22:23], s[22:23], s[24:25]
	v_cndmask_b32_e64 v5, v5, 0, s[22:23]
	v_or_b32_e32 v50, v5, v4
.LBB6_1133:                             ;   in Loop: Header=BB6_897 Depth=2
	s_or_b64 exec, exec, s[64:65]
.LBB6_1134:                             ;   in Loop: Header=BB6_897 Depth=2
	s_or_b64 exec, exec, s[62:63]
                                        ; implicit-def: $vgpr5
.LBB6_1135:                             ;   in Loop: Header=BB6_897 Depth=2
	s_andn2_saveexec_b64 s[24:25], s[60:61]
; %bb.1136:                             ;   in Loop: Header=BB6_897 Depth=2
	v_or_b32_sdwa v4, v5, s76 dst_sel:DWORD dst_unused:UNUSED_PAD src0_sel:BYTE_3 src1_sel:DWORD
	v_cmp_eq_u64_e64 s[22:23], 0, v[56:57]
	v_cndmask_b32_e64 v50, v4, v50, s[22:23]
; %bb.1137:                             ;   in Loop: Header=BB6_897 Depth=2
	s_or_b64 exec, exec, s[24:25]
	v_lshrrev_b32_e32 v10, 16, v16
	v_cmp_ne_u16_sdwa s[22:23], v10, v57 src0_sel:BYTE_0 src1_sel:DWORD
	v_mov_b32_e32 v4, 0
	v_mov_b32_e32 v5, 0
	s_and_saveexec_b64 s[24:25], s[22:23]
	s_cbranch_execz .LBB6_1143
; %bb.1138:                             ;   in Loop: Header=BB6_897 Depth=2
	v_cmp_ne_u16_sdwa s[22:23], v10, s75 src0_sel:BYTE_0 src1_sel:DWORD
	v_bfrev_b32_e32 v5, 1
	s_and_saveexec_b64 s[60:61], s[22:23]
	s_cbranch_execz .LBB6_1142
; %bb.1139:                             ;   in Loop: Header=BB6_897 Depth=2
	v_bfe_u32 v11, v16, 16, 7
	v_cmp_ne_u32_e64 s[22:23], s76, v11
	v_mov_b32_e32 v5, 0x7f800001
	s_and_saveexec_b64 s[62:63], s[22:23]
	s_cbranch_execz .LBB6_1141
; %bb.1140:                             ;   in Loop: Header=BB6_897 Depth=2
	v_and_b32_e32 v5, 7, v10
	v_ffbh_u32_e32 v6, v5
	v_min_u32_e32 v9, 32, v6
	v_subrev_u32_e32 v6, 28, v9
	v_lshlrev_b64 v[6:7], v6, v[10:11]
	v_lshrrev_b32_e32 v8, 3, v11
	v_sub_u32_e32 v7, 29, v9
	v_and_b32_e32 v6, 7, v6
	v_cmp_gt_u32_e64 s[22:23], 8, v11
	v_cndmask_b32_e64 v7, v8, v7, s[22:23]
	v_cndmask_b32_e64 v5, v5, v6, s[22:23]
	v_lshlrev_b32_e32 v6, 24, v10
	v_lshlrev_b32_e32 v5, 20, v5
	v_and_b32_e32 v6, 0x80000000, v6
	v_lshl_add_u32 v7, v7, 23, v29
	v_or3_b32 v5, v6, v7, v5
.LBB6_1141:                             ;   in Loop: Header=BB6_897 Depth=2
	s_or_b64 exec, exec, s[62:63]
.LBB6_1142:                             ;   in Loop: Header=BB6_897 Depth=2
	s_or_b64 exec, exec, s[60:61]
.LBB6_1143:                             ;   in Loop: Header=BB6_897 Depth=2
	s_or_b64 exec, exec, s[24:25]
	v_lshrrev_b32_e32 v10, 16, v12
	v_cmp_ne_u16_sdwa s[22:23], v10, v57 src0_sel:BYTE_0 src1_sel:DWORD
	s_and_saveexec_b64 s[24:25], s[22:23]
	s_cbranch_execz .LBB6_1149
; %bb.1144:                             ;   in Loop: Header=BB6_897 Depth=2
	v_cmp_ne_u16_sdwa s[22:23], v10, s75 src0_sel:BYTE_0 src1_sel:DWORD
	v_bfrev_b32_e32 v4, 1
	s_and_saveexec_b64 s[60:61], s[22:23]
	s_cbranch_execz .LBB6_1148
; %bb.1145:                             ;   in Loop: Header=BB6_897 Depth=2
	v_bfe_u32 v11, v12, 16, 7
	v_cmp_ne_u32_e64 s[22:23], s76, v11
	v_mov_b32_e32 v4, 0x7f800001
	s_and_saveexec_b64 s[62:63], s[22:23]
	s_cbranch_execz .LBB6_1147
; %bb.1146:                             ;   in Loop: Header=BB6_897 Depth=2
	v_and_b32_e32 v4, 7, v10
	v_ffbh_u32_e32 v6, v4
	v_min_u32_e32 v9, 32, v6
	v_subrev_u32_e32 v6, 28, v9
	v_lshlrev_b64 v[6:7], v6, v[10:11]
	v_lshrrev_b32_e32 v8, 3, v11
	v_sub_u32_e32 v7, 29, v9
	v_and_b32_e32 v6, 7, v6
	v_cmp_gt_u32_e64 s[22:23], 8, v11
	v_cndmask_b32_e64 v7, v8, v7, s[22:23]
	v_cndmask_b32_e64 v4, v4, v6, s[22:23]
	v_lshlrev_b32_e32 v6, 8, v12
	v_lshlrev_b32_e32 v4, 20, v4
	v_and_b32_e32 v6, 0x80000000, v6
	v_lshl_add_u32 v7, v7, 23, v29
	v_or3_b32 v4, v6, v7, v4
.LBB6_1147:                             ;   in Loop: Header=BB6_897 Depth=2
	s_or_b64 exec, exec, s[62:63]
.LBB6_1148:                             ;   in Loop: Header=BB6_897 Depth=2
	s_or_b64 exec, exec, s[60:61]
.LBB6_1149:                             ;   in Loop: Header=BB6_897 Depth=2
	s_or_b64 exec, exec, s[24:25]
	v_add_f32_e32 v5, v5, v4
	v_and_b32_sdwa v4, v5, s75 dst_sel:DWORD dst_unused:UNUSED_PAD src0_sel:BYTE_3 src1_sel:DWORD
	v_and_b32_e32 v6, 0x7f800000, v5
	v_mov_b32_e32 v7, v57
	v_and_b32_e32 v56, 0x7fffff, v5
	v_or_b32_e32 v51, 0x7e, v4
	v_cmp_ne_u64_e64 s[22:23], s[42:43], v[6:7]
	s_and_saveexec_b64 s[24:25], s[22:23]
	s_xor_b64 s[60:61], exec, s[24:25]
	s_cbranch_execz .LBB6_1159
; %bb.1150:                             ;   in Loop: Header=BB6_897 Depth=2
	v_and_b32_e32 v6, 0x7fffffff, v5
	v_mov_b32_e32 v7, v57
	v_cmp_gt_u64_e64 s[22:23], s[44:45], v[6:7]
	s_and_saveexec_b64 s[62:63], s[22:23]
	s_cbranch_execz .LBB6_1158
; %bb.1151:                             ;   in Loop: Header=BB6_897 Depth=2
	v_cmp_ne_u32_e64 s[22:23], 0, v5
	v_mov_b32_e32 v51, 0
	s_and_saveexec_b64 s[64:65], s[22:23]
	s_cbranch_execz .LBB6_1157
; %bb.1152:                             ;   in Loop: Header=BB6_897 Depth=2
	v_bfe_u32 v5, v5, 23, 8
	v_sub_u32_e32 v7, 0x79, v5
	v_cmp_gt_u32_e64 s[22:23], s77, v5
	v_add_u32_e32 v6, 0xffffff81, v5
	v_cndmask_b32_e64 v7, 0, v7, s[22:23]
	v_cmp_eq_u32_e64 s[22:23], 0, v5
	v_cndmask_b32_e64 v5, v6, v33, s[22:23]
	v_mov_b32_e32 v6, 0x78
	v_or_b32_e32 v8, 0x800000, v56
	v_cndmask_b32_e64 v14, v7, v6, s[22:23]
	v_cndmask_b32_e64 v56, v8, v56, s[22:23]
	v_add_u32_e32 v6, 20, v14
	v_lshlrev_b64 v[6:7], v6, -1
	v_lshrrev_b64 v[10:11], v14, v[56:57]
	v_not_b32_e32 v7, v7
	v_not_b32_e32 v6, v6
	v_add_u32_e32 v8, 19, v14
	v_lshrrev_b32_e32 v32, 23, v10
	v_and_b32_e32 v7, 0, v7
	v_and_b32_e32 v6, v56, v6
	v_lshlrev_b64 v[8:9], v8, 1
	v_add3_u32 v38, v14, v5, v32
	v_bfe_u32 v5, v10, 20, 1
	v_add_u32_e32 v5, -1, v5
	v_cmp_eq_u64_e64 s[22:23], v[6:7], v[8:9]
	v_cndmask_b32_e64 v5, 0, v5, s[22:23]
	v_add_u32_e32 v5, v5, v10
	v_and_b32_e32 v5, 0xfffff, v5
	v_add_co_u32_e64 v10, s[22:23], v5, v10
	v_add_u32_e32 v14, 6, v38
	v_addc_co_u32_e64 v11, s[22:23], 0, v11, s[22:23]
	v_cmp_ne_u32_e64 s[22:23], 0, v14
                                        ; implicit-def: $vgpr5
	s_and_saveexec_b64 s[24:25], s[22:23]
	s_xor_b64 s[24:25], exec, s[24:25]
; %bb.1153:                             ;   in Loop: Header=BB6_897 Depth=2
	v_cmp_lt_u64_e64 s[22:23], s[48:49], v[10:11]
	v_add_u32_e32 v5, 7, v38
	v_cndmask_b32_e64 v6, 0, 1, s[22:23]
	v_cndmask_b32_e64 v5, v14, v5, s[22:23]
	v_lshrrev_b64 v[10:11], v6, v[10:11]
; %bb.1154:                             ;   in Loop: Header=BB6_897 Depth=2
	s_andn2_saveexec_b64 s[22:23], s[24:25]
; %bb.1155:                             ;   in Loop: Header=BB6_897 Depth=2
	v_bfe_u32 v5, v10, 23, 1
; %bb.1156:                             ;   in Loop: Header=BB6_897 Depth=2
	s_or_b64 exec, exec, s[22:23]
	v_lshrrev_b64 v[6:7], 20, v[10:11]
	v_cmp_gt_i32_e64 s[22:23], 16, v5
	v_cndmask_b32_e64 v7, 0, v7, s[22:23]
	v_cndmask_b32_e64 v6, 7, v6, s[22:23]
	v_cmp_eq_u32_e64 s[22:23], 0, v5
	v_min_i32_e32 v5, 15, v5
	v_cmp_eq_u64_e64 s[24:25], 0, v[6:7]
	v_lshlrev_b32_e32 v5, 3, v5
	v_and_or_b32 v5, v6, 7, v5
	s_and_b64 s[22:23], s[22:23], s[24:25]
	v_cndmask_b32_e64 v5, v5, 0, s[22:23]
	v_or_b32_e32 v51, v5, v4
.LBB6_1157:                             ;   in Loop: Header=BB6_897 Depth=2
	s_or_b64 exec, exec, s[64:65]
.LBB6_1158:                             ;   in Loop: Header=BB6_897 Depth=2
	s_or_b64 exec, exec, s[62:63]
                                        ; implicit-def: $vgpr5
.LBB6_1159:                             ;   in Loop: Header=BB6_897 Depth=2
	s_andn2_saveexec_b64 s[24:25], s[60:61]
; %bb.1160:                             ;   in Loop: Header=BB6_897 Depth=2
	v_or_b32_sdwa v4, v5, s76 dst_sel:DWORD dst_unused:UNUSED_PAD src0_sel:BYTE_3 src1_sel:DWORD
	v_cmp_eq_u64_e64 s[22:23], 0, v[56:57]
	v_cndmask_b32_e64 v51, v4, v51, s[22:23]
; %bb.1161:                             ;   in Loop: Header=BB6_897 Depth=2
	s_or_b64 exec, exec, s[24:25]
	v_cmp_lt_u32_e64 s[22:23], s47, v16
	v_mov_b32_e32 v4, 0
	v_mov_b32_e32 v5, 0
	s_and_saveexec_b64 s[24:25], s[22:23]
	s_cbranch_execz .LBB6_1167
; %bb.1162:                             ;   in Loop: Header=BB6_897 Depth=2
	v_lshrrev_b32_e32 v10, 24, v16
	v_cmp_ne_u32_e64 s[22:23], s75, v10
	v_bfrev_b32_e32 v5, 1
	s_and_saveexec_b64 s[60:61], s[22:23]
	s_cbranch_execz .LBB6_1166
; %bb.1163:                             ;   in Loop: Header=BB6_897 Depth=2
	v_bfe_u32 v11, v16, 24, 7
	v_cmp_ne_u32_e64 s[22:23], s76, v11
	v_mov_b32_e32 v5, 0x7f800001
	s_and_saveexec_b64 s[62:63], s[22:23]
	s_cbranch_execz .LBB6_1165
; %bb.1164:                             ;   in Loop: Header=BB6_897 Depth=2
	v_and_b32_e32 v5, 7, v10
	v_ffbh_u32_e32 v6, v5
	v_min_u32_e32 v9, 32, v6
	v_subrev_u32_e32 v6, 28, v9
	v_lshlrev_b64 v[6:7], v6, v[10:11]
	v_lshrrev_b32_e32 v8, 3, v11
	v_sub_u32_e32 v7, 29, v9
	v_and_b32_e32 v6, 7, v6
	v_cmp_gt_u32_e64 s[22:23], 8, v11
	v_cndmask_b32_e64 v7, v8, v7, s[22:23]
	v_cndmask_b32_e64 v5, v5, v6, s[22:23]
	v_lshlrev_b32_e32 v6, 24, v10
	v_lshlrev_b32_e32 v5, 20, v5
	v_and_b32_e32 v6, 0x80000000, v6
	v_lshl_add_u32 v7, v7, 23, v29
	v_or3_b32 v5, v6, v7, v5
.LBB6_1165:                             ;   in Loop: Header=BB6_897 Depth=2
	s_or_b64 exec, exec, s[62:63]
.LBB6_1166:                             ;   in Loop: Header=BB6_897 Depth=2
	s_or_b64 exec, exec, s[60:61]
.LBB6_1167:                             ;   in Loop: Header=BB6_897 Depth=2
	s_or_b64 exec, exec, s[24:25]
	v_cmp_lt_u32_e64 s[22:23], s47, v12
	s_and_saveexec_b64 s[24:25], s[22:23]
	s_cbranch_execz .LBB6_1173
; %bb.1168:                             ;   in Loop: Header=BB6_897 Depth=2
	v_lshrrev_b32_e32 v10, 24, v12
	v_cmp_ne_u32_e64 s[22:23], s75, v10
	v_bfrev_b32_e32 v4, 1
	s_and_saveexec_b64 s[60:61], s[22:23]
	s_cbranch_execz .LBB6_1172
; %bb.1169:                             ;   in Loop: Header=BB6_897 Depth=2
	v_bfe_u32 v11, v12, 24, 7
	v_cmp_ne_u32_e64 s[22:23], s76, v11
	v_mov_b32_e32 v4, 0x7f800001
	s_and_saveexec_b64 s[62:63], s[22:23]
	s_cbranch_execz .LBB6_1171
; %bb.1170:                             ;   in Loop: Header=BB6_897 Depth=2
	v_and_b32_e32 v4, 7, v10
	v_ffbh_u32_e32 v6, v4
	v_min_u32_e32 v9, 32, v6
	v_subrev_u32_e32 v6, 28, v9
	v_lshlrev_b64 v[6:7], v6, v[10:11]
	v_lshrrev_b32_e32 v8, 3, v11
	v_sub_u32_e32 v7, 29, v9
	v_and_b32_e32 v6, 7, v6
	v_cmp_gt_u32_e64 s[22:23], 8, v11
	v_cndmask_b32_e64 v7, v8, v7, s[22:23]
	v_cndmask_b32_e64 v4, v4, v6, s[22:23]
	v_lshlrev_b32_e32 v6, 24, v10
	v_lshlrev_b32_e32 v4, 20, v4
	v_and_b32_e32 v6, 0x80000000, v6
	v_lshl_add_u32 v7, v7, 23, v29
	v_or3_b32 v4, v6, v7, v4
.LBB6_1171:                             ;   in Loop: Header=BB6_897 Depth=2
	s_or_b64 exec, exec, s[62:63]
.LBB6_1172:                             ;   in Loop: Header=BB6_897 Depth=2
	s_or_b64 exec, exec, s[60:61]
.LBB6_1173:                             ;   in Loop: Header=BB6_897 Depth=2
	s_or_b64 exec, exec, s[24:25]
	v_add_f32_e32 v10, v5, v4
	v_and_b32_sdwa v5, v10, s75 dst_sel:DWORD dst_unused:UNUSED_PAD src0_sel:BYTE_3 src1_sel:DWORD
	v_and_b32_e32 v6, 0x7f800000, v10
	v_mov_b32_e32 v7, v57
	v_and_b32_e32 v56, 0x7fffff, v10
	v_or_b32_e32 v4, 0x7e, v5
	v_cmp_ne_u64_e64 s[22:23], s[42:43], v[6:7]
	s_and_saveexec_b64 s[24:25], s[22:23]
	s_xor_b64 s[60:61], exec, s[24:25]
	s_cbranch_execz .LBB6_1183
; %bb.1174:                             ;   in Loop: Header=BB6_897 Depth=2
	v_and_b32_e32 v6, 0x7fffffff, v10
	v_mov_b32_e32 v7, v57
	v_cmp_gt_u64_e64 s[22:23], s[44:45], v[6:7]
	s_and_saveexec_b64 s[62:63], s[22:23]
	s_cbranch_execz .LBB6_1182
; %bb.1175:                             ;   in Loop: Header=BB6_897 Depth=2
	v_cmp_ne_u32_e64 s[22:23], 0, v10
	v_mov_b32_e32 v4, 0
	s_and_saveexec_b64 s[64:65], s[22:23]
	s_cbranch_execz .LBB6_1181
; %bb.1176:                             ;   in Loop: Header=BB6_897 Depth=2
	v_bfe_u32 v4, v10, 23, 8
	v_sub_u32_e32 v7, 0x79, v4
	v_cmp_gt_u32_e64 s[22:23], s77, v4
	v_add_u32_e32 v6, 0xffffff81, v4
	v_cndmask_b32_e64 v7, 0, v7, s[22:23]
	v_cmp_eq_u32_e64 s[22:23], 0, v4
	v_cndmask_b32_e64 v4, v6, v33, s[22:23]
	v_mov_b32_e32 v6, 0x78
	v_or_b32_e32 v8, 0x800000, v56
	v_cndmask_b32_e64 v14, v7, v6, s[22:23]
	v_cndmask_b32_e64 v56, v8, v56, s[22:23]
	v_add_u32_e32 v6, 20, v14
	v_lshlrev_b64 v[6:7], v6, -1
	v_lshrrev_b64 v[10:11], v14, v[56:57]
	v_not_b32_e32 v7, v7
	v_not_b32_e32 v6, v6
	v_add_u32_e32 v8, 19, v14
	v_lshrrev_b32_e32 v32, 23, v10
	v_and_b32_e32 v7, 0, v7
	v_and_b32_e32 v6, v56, v6
	v_lshlrev_b64 v[8:9], v8, 1
	v_add3_u32 v38, v14, v4, v32
	v_bfe_u32 v4, v10, 20, 1
	v_add_u32_e32 v4, -1, v4
	v_cmp_eq_u64_e64 s[22:23], v[6:7], v[8:9]
	v_cndmask_b32_e64 v4, 0, v4, s[22:23]
	v_add_u32_e32 v4, v4, v10
	v_and_b32_e32 v4, 0xfffff, v4
	v_add_co_u32_e64 v10, s[22:23], v4, v10
	v_add_u32_e32 v14, 6, v38
	v_addc_co_u32_e64 v11, s[22:23], 0, v11, s[22:23]
	v_cmp_ne_u32_e64 s[22:23], 0, v14
                                        ; implicit-def: $vgpr4
	s_and_saveexec_b64 s[24:25], s[22:23]
	s_xor_b64 s[24:25], exec, s[24:25]
; %bb.1177:                             ;   in Loop: Header=BB6_897 Depth=2
	v_cmp_lt_u64_e64 s[22:23], s[48:49], v[10:11]
	v_add_u32_e32 v4, 7, v38
	v_cndmask_b32_e64 v6, 0, 1, s[22:23]
	v_cndmask_b32_e64 v4, v14, v4, s[22:23]
	v_lshrrev_b64 v[10:11], v6, v[10:11]
; %bb.1178:                             ;   in Loop: Header=BB6_897 Depth=2
	s_andn2_saveexec_b64 s[22:23], s[24:25]
; %bb.1179:                             ;   in Loop: Header=BB6_897 Depth=2
	v_bfe_u32 v4, v10, 23, 1
; %bb.1180:                             ;   in Loop: Header=BB6_897 Depth=2
	s_or_b64 exec, exec, s[22:23]
	v_lshrrev_b64 v[6:7], 20, v[10:11]
	v_cmp_gt_i32_e64 s[22:23], 16, v4
	v_cndmask_b32_e64 v7, 0, v7, s[22:23]
	v_cndmask_b32_e64 v6, 7, v6, s[22:23]
	v_cmp_eq_u32_e64 s[22:23], 0, v4
	v_min_i32_e32 v4, 15, v4
	v_cmp_eq_u64_e64 s[24:25], 0, v[6:7]
	v_lshlrev_b32_e32 v4, 3, v4
	v_and_or_b32 v4, v6, 7, v4
	s_and_b64 s[22:23], s[22:23], s[24:25]
	v_cndmask_b32_e64 v4, v4, 0, s[22:23]
	v_or_b32_e32 v4, v4, v5
.LBB6_1181:                             ;   in Loop: Header=BB6_897 Depth=2
	s_or_b64 exec, exec, s[64:65]
.LBB6_1182:                             ;   in Loop: Header=BB6_897 Depth=2
	s_or_b64 exec, exec, s[62:63]
                                        ; implicit-def: $vgpr10
.LBB6_1183:                             ;   in Loop: Header=BB6_897 Depth=2
	s_andn2_saveexec_b64 s[24:25], s[60:61]
; %bb.1184:                             ;   in Loop: Header=BB6_897 Depth=2
	v_or_b32_sdwa v5, v10, s76 dst_sel:DWORD dst_unused:UNUSED_PAD src0_sel:BYTE_3 src1_sel:DWORD
	v_cmp_eq_u64_e64 s[22:23], 0, v[56:57]
	v_cndmask_b32_e64 v4, v5, v4, s[22:23]
; %bb.1185:                             ;   in Loop: Header=BB6_897 Depth=2
	s_or_b64 exec, exec, s[24:25]
	v_mov_b32_e32 v56, v17
	v_cmp_ne_u16_sdwa s[22:23], v17, v57 src0_sel:BYTE_0 src1_sel:DWORD
	v_mov_b32_e32 v10, 0
	v_mov_b32_e32 v5, 0
	s_and_saveexec_b64 s[24:25], s[22:23]
	s_cbranch_execz .LBB6_1191
; %bb.1186:                             ;   in Loop: Header=BB6_897 Depth=2
	v_cmp_ne_u16_sdwa s[22:23], v17, s75 src0_sel:BYTE_0 src1_sel:DWORD
	v_bfrev_b32_e32 v5, 1
	s_and_saveexec_b64 s[60:61], s[22:23]
	s_cbranch_execz .LBB6_1190
; %bb.1187:                             ;   in Loop: Header=BB6_897 Depth=2
	v_and_b32_e32 v11, 0x7f, v17
	v_cmp_ne_u32_e64 s[22:23], s76, v11
	v_mov_b32_e32 v5, 0x7f800001
	s_and_saveexec_b64 s[62:63], s[22:23]
	s_cbranch_execz .LBB6_1189
; %bb.1188:                             ;   in Loop: Header=BB6_897 Depth=2
	v_and_b32_e32 v5, 7, v17
	v_ffbh_u32_e32 v5, v5
	v_min_u32_e32 v5, 32, v5
	v_lshrrev_b32_e32 v6, 3, v11
	v_subrev_u32_e32 v7, 28, v5
	v_sub_u32_e32 v5, 29, v5
	v_cmp_gt_u32_e64 s[22:23], 8, v11
	v_cndmask_b32_e64 v5, v6, v5, s[22:23]
	v_cndmask_b32_e64 v6, 0, v7, s[22:23]
	v_lshlrev_b64 v[6:7], v6, v[56:57]
	v_lshlrev_b32_e32 v6, 20, v6
	v_lshlrev_b32_e32 v7, 24, v56
	v_and_b32_e32 v6, 0x700000, v6
	v_and_b32_e32 v7, 0x80000000, v7
	v_lshl_add_u32 v5, v5, 23, v29
	v_or3_b32 v5, v7, v5, v6
.LBB6_1189:                             ;   in Loop: Header=BB6_897 Depth=2
	s_or_b64 exec, exec, s[62:63]
.LBB6_1190:                             ;   in Loop: Header=BB6_897 Depth=2
	s_or_b64 exec, exec, s[60:61]
.LBB6_1191:                             ;   in Loop: Header=BB6_897 Depth=2
	s_or_b64 exec, exec, s[24:25]
	v_cmp_ne_u16_sdwa s[22:23], v13, v57 src0_sel:BYTE_0 src1_sel:DWORD
	s_and_saveexec_b64 s[24:25], s[22:23]
	s_cbranch_execz .LBB6_1197
; %bb.1192:                             ;   in Loop: Header=BB6_897 Depth=2
	v_cmp_ne_u16_sdwa s[22:23], v13, s75 src0_sel:BYTE_0 src1_sel:DWORD
	v_bfrev_b32_e32 v10, 1
	s_and_saveexec_b64 s[60:61], s[22:23]
	s_cbranch_execz .LBB6_1196
; %bb.1193:                             ;   in Loop: Header=BB6_897 Depth=2
	v_and_b32_e32 v11, 0x7f, v13
	v_cmp_ne_u32_e64 s[22:23], s76, v11
	v_mov_b32_e32 v10, 0x7f800001
	s_and_saveexec_b64 s[62:63], s[22:23]
	s_cbranch_execz .LBB6_1195
; %bb.1194:                             ;   in Loop: Header=BB6_897 Depth=2
	v_and_b32_e32 v8, 7, v13
	v_ffbh_u32_e32 v8, v8
	v_min_u32_e32 v8, 32, v8
	v_lshrrev_b32_e32 v9, 3, v11
	v_subrev_u32_e32 v10, 28, v8
	v_sub_u32_e32 v8, 29, v8
	v_cmp_gt_u32_e64 s[22:23], 8, v11
	v_mov_b32_e32 v6, v13
	v_mov_b32_e32 v7, v57
	v_cndmask_b32_e64 v11, v9, v8, s[22:23]
	v_cndmask_b32_e64 v8, 0, v10, s[22:23]
	v_lshlrev_b64 v[8:9], v8, v[6:7]
	v_lshlrev_b32_e32 v7, 20, v8
	v_lshlrev_b32_e32 v6, 24, v6
	v_and_b32_e32 v7, 0x700000, v7
	v_and_b32_e32 v6, 0x80000000, v6
	v_lshl_add_u32 v8, v11, 23, v29
	v_or3_b32 v10, v6, v8, v7
.LBB6_1195:                             ;   in Loop: Header=BB6_897 Depth=2
	s_or_b64 exec, exec, s[62:63]
.LBB6_1196:                             ;   in Loop: Header=BB6_897 Depth=2
	s_or_b64 exec, exec, s[60:61]
.LBB6_1197:                             ;   in Loop: Header=BB6_897 Depth=2
	s_or_b64 exec, exec, s[24:25]
	v_add_f32_e32 v48, v5, v10
	v_and_b32_sdwa v14, v48, s75 dst_sel:DWORD dst_unused:UNUSED_PAD src0_sel:BYTE_3 src1_sel:DWORD
	v_and_b32_e32 v6, 0x7f800000, v48
	v_mov_b32_e32 v7, v57
	v_and_b32_e32 v10, 0x7fffff, v48
	v_mov_b32_e32 v11, v57
	v_or_b32_e32 v5, 0x7e, v14
	v_cmp_ne_u64_e64 s[22:23], s[42:43], v[6:7]
	s_and_saveexec_b64 s[24:25], s[22:23]
	s_xor_b64 s[60:61], exec, s[24:25]
	s_cbranch_execz .LBB6_1207
; %bb.1198:                             ;   in Loop: Header=BB6_897 Depth=2
	v_and_b32_e32 v6, 0x7fffffff, v48
	v_mov_b32_e32 v7, v57
	v_cmp_gt_u64_e64 s[22:23], s[44:45], v[6:7]
	s_and_saveexec_b64 s[62:63], s[22:23]
	s_cbranch_execz .LBB6_1206
; %bb.1199:                             ;   in Loop: Header=BB6_897 Depth=2
	v_cmp_ne_u32_e64 s[22:23], 0, v48
	v_mov_b32_e32 v5, 0
	s_and_saveexec_b64 s[64:65], s[22:23]
	s_cbranch_execz .LBB6_1205
; %bb.1200:                             ;   in Loop: Header=BB6_897 Depth=2
	v_bfe_u32 v5, v48, 23, 8
	v_sub_u32_e32 v7, 0x79, v5
	v_cmp_gt_u32_e64 s[22:23], s77, v5
	v_add_u32_e32 v6, 0xffffff81, v5
	v_cndmask_b32_e64 v7, 0, v7, s[22:23]
	v_cmp_eq_u32_e64 s[22:23], 0, v5
	v_cndmask_b32_e64 v5, v6, v33, s[22:23]
	v_mov_b32_e32 v6, 0x78
	v_cndmask_b32_e64 v32, v7, v6, s[22:23]
	v_add_u32_e32 v6, 20, v32
	v_or_b32_e32 v8, 0x800000, v10
	v_lshlrev_b64 v[6:7], v6, -1
	v_cndmask_b32_e64 v10, v8, v10, s[22:23]
	v_not_b32_e32 v6, v6
	v_and_b32_e32 v6, v10, v6
	v_lshrrev_b64 v[10:11], v32, v[10:11]
	v_not_b32_e32 v7, v7
	v_add_u32_e32 v8, 19, v32
	v_lshrrev_b32_e32 v33, 23, v10
	v_and_b32_e32 v7, 0, v7
	v_lshlrev_b64 v[8:9], v8, 1
	v_add3_u32 v38, v32, v5, v33
	v_bfe_u32 v5, v10, 20, 1
	v_add_u32_e32 v5, -1, v5
	v_cmp_eq_u64_e64 s[22:23], v[6:7], v[8:9]
	v_cndmask_b32_e64 v5, 0, v5, s[22:23]
	v_add_u32_e32 v5, v5, v10
	v_and_b32_e32 v5, 0xfffff, v5
	v_add_co_u32_e64 v10, s[22:23], v5, v10
	v_add_u32_e32 v48, 6, v38
	v_addc_co_u32_e64 v11, s[22:23], 0, v11, s[22:23]
	v_cmp_ne_u32_e64 s[22:23], 0, v48
                                        ; implicit-def: $vgpr5
	s_and_saveexec_b64 s[24:25], s[22:23]
	s_xor_b64 s[24:25], exec, s[24:25]
; %bb.1201:                             ;   in Loop: Header=BB6_897 Depth=2
	v_cmp_lt_u64_e64 s[22:23], s[48:49], v[10:11]
	v_add_u32_e32 v5, 7, v38
	v_cndmask_b32_e64 v6, 0, 1, s[22:23]
	v_cndmask_b32_e64 v5, v48, v5, s[22:23]
	v_lshrrev_b64 v[10:11], v6, v[10:11]
; %bb.1202:                             ;   in Loop: Header=BB6_897 Depth=2
	s_andn2_saveexec_b64 s[22:23], s[24:25]
; %bb.1203:                             ;   in Loop: Header=BB6_897 Depth=2
	v_bfe_u32 v5, v10, 23, 1
; %bb.1204:                             ;   in Loop: Header=BB6_897 Depth=2
	s_or_b64 exec, exec, s[22:23]
	v_lshrrev_b64 v[6:7], 20, v[10:11]
	v_cmp_gt_i32_e64 s[22:23], 16, v5
	v_cndmask_b32_e64 v7, 0, v7, s[22:23]
	v_cndmask_b32_e64 v6, 7, v6, s[22:23]
	v_cmp_eq_u32_e64 s[22:23], 0, v5
	v_min_i32_e32 v5, 15, v5
	v_cmp_eq_u64_e64 s[24:25], 0, v[6:7]
	v_lshlrev_b32_e32 v5, 3, v5
	v_and_or_b32 v5, v6, 7, v5
	s_and_b64 s[22:23], s[22:23], s[24:25]
	v_cndmask_b32_e64 v5, v5, 0, s[22:23]
	v_or_b32_e32 v5, v5, v14
	v_mov_b32_e32 v33, 0xffffff82
.LBB6_1205:                             ;   in Loop: Header=BB6_897 Depth=2
	s_or_b64 exec, exec, s[64:65]
.LBB6_1206:                             ;   in Loop: Header=BB6_897 Depth=2
	s_or_b64 exec, exec, s[62:63]
                                        ; implicit-def: $vgpr48
                                        ; implicit-def: $vgpr10_vgpr11
.LBB6_1207:                             ;   in Loop: Header=BB6_897 Depth=2
	s_andn2_saveexec_b64 s[24:25], s[60:61]
; %bb.1208:                             ;   in Loop: Header=BB6_897 Depth=2
	v_or_b32_sdwa v6, v48, s76 dst_sel:DWORD dst_unused:UNUSED_PAD src0_sel:BYTE_3 src1_sel:DWORD
	v_cmp_eq_u64_e64 s[22:23], 0, v[10:11]
	v_cndmask_b32_e64 v5, v6, v5, s[22:23]
; %bb.1209:                             ;   in Loop: Header=BB6_897 Depth=2
	s_or_b64 exec, exec, s[24:25]
	v_lshrrev_b16_e32 v10, 8, v56
	v_cmp_ne_u16_e64 s[22:23], 0, v10
	v_mov_b32_e32 v11, 0
	v_mov_b32_e32 v48, 0
	s_and_saveexec_b64 s[24:25], s[22:23]
	s_cbranch_execz .LBB6_1215
; %bb.1210:                             ;   in Loop: Header=BB6_897 Depth=2
	v_cmp_ne_u16_e64 s[22:23], s75, v10
	v_bfrev_b32_e32 v48, 1
	s_and_saveexec_b64 s[60:61], s[22:23]
	s_cbranch_execz .LBB6_1214
; %bb.1211:                             ;   in Loop: Header=BB6_897 Depth=2
	v_and_b32_e32 v14, 0x7f, v10
	v_cmp_ne_u32_e64 s[22:23], s76, v14
	v_mov_b32_e32 v48, 0x7f800001
	s_and_saveexec_b64 s[62:63], s[22:23]
	s_cbranch_execz .LBB6_1213
; %bb.1212:                             ;   in Loop: Header=BB6_897 Depth=2
	v_and_b32_e32 v8, 7, v10
	v_ffbh_u32_e32 v6, v8
	v_min_u32_e32 v32, 32, v6
	v_subrev_u32_e32 v6, 28, v32
	v_lshlrev_b64 v[6:7], v6, v[10:11]
	v_lshrrev_b32_e32 v9, 3, v14
	v_sub_u32_e32 v7, 29, v32
	v_and_b32_e32 v6, 7, v6
	v_cmp_gt_u32_e64 s[22:23], 8, v14
	v_cndmask_b32_e64 v7, v9, v7, s[22:23]
	v_cndmask_b32_e64 v6, v8, v6, s[22:23]
	v_lshlrev_b32_e32 v8, 16, v56
	v_lshlrev_b32_e32 v6, 20, v6
	v_and_b32_e32 v8, 0x80000000, v8
	v_lshl_add_u32 v7, v7, 23, v29
	v_or3_b32 v48, v8, v7, v6
.LBB6_1213:                             ;   in Loop: Header=BB6_897 Depth=2
	s_or_b64 exec, exec, s[62:63]
.LBB6_1214:                             ;   in Loop: Header=BB6_897 Depth=2
	s_or_b64 exec, exec, s[60:61]
.LBB6_1215:                             ;   in Loop: Header=BB6_897 Depth=2
	s_or_b64 exec, exec, s[24:25]
	v_mov_b32_e32 v10, v13
	v_lshrrev_b16_e32 v14, 8, v10
	v_cmp_ne_u16_e64 s[22:23], 0, v14
	s_and_saveexec_b64 s[24:25], s[22:23]
	s_cbranch_execz .LBB6_1221
; %bb.1216:                             ;   in Loop: Header=BB6_897 Depth=2
	v_cmp_ne_u16_e64 s[22:23], s75, v14
	v_bfrev_b32_e32 v11, 1
	s_and_saveexec_b64 s[60:61], s[22:23]
	s_cbranch_execz .LBB6_1220
; %bb.1217:                             ;   in Loop: Header=BB6_897 Depth=2
	v_and_b32_e32 v38, 0x7f, v14
	v_cmp_ne_u32_e64 s[22:23], s76, v38
	v_mov_b32_e32 v11, 0x7f800001
	s_and_saveexec_b64 s[62:63], s[22:23]
	s_cbranch_execz .LBB6_1219
; %bb.1218:                             ;   in Loop: Header=BB6_897 Depth=2
	v_and_b32_e32 v8, 7, v14
	v_ffbh_u32_e32 v6, v8
	v_min_u32_e32 v11, 32, v6
	v_subrev_u32_e32 v6, 28, v11
	v_lshlrev_b64 v[6:7], v6, v[14:15]
	v_lshrrev_b32_e32 v9, 3, v38
	v_sub_u32_e32 v7, 29, v11
	v_and_b32_e32 v6, 7, v6
	v_cmp_gt_u32_e64 s[22:23], 8, v38
	v_cndmask_b32_e64 v7, v9, v7, s[22:23]
	v_cndmask_b32_e64 v6, v8, v6, s[22:23]
	v_lshlrev_b32_e32 v8, 16, v10
	v_lshlrev_b32_e32 v6, 20, v6
	v_and_b32_e32 v8, 0x80000000, v8
	v_lshl_add_u32 v7, v7, 23, v29
	v_or3_b32 v11, v8, v7, v6
.LBB6_1219:                             ;   in Loop: Header=BB6_897 Depth=2
	s_or_b64 exec, exec, s[62:63]
.LBB6_1220:                             ;   in Loop: Header=BB6_897 Depth=2
	s_or_b64 exec, exec, s[60:61]
.LBB6_1221:                             ;   in Loop: Header=BB6_897 Depth=2
	s_or_b64 exec, exec, s[24:25]
	v_add_f32_e32 v10, v48, v11
	v_and_b32_sdwa v48, v10, s75 dst_sel:DWORD dst_unused:UNUSED_PAD src0_sel:BYTE_3 src1_sel:DWORD
	v_and_b32_e32 v6, 0x7f800000, v10
	v_mov_b32_e32 v7, v57
	v_and_b32_e32 v56, 0x7fffff, v10
	v_or_b32_e32 v14, 0x7e, v48
	v_cmp_ne_u64_e64 s[22:23], s[42:43], v[6:7]
	s_and_saveexec_b64 s[24:25], s[22:23]
	s_xor_b64 s[60:61], exec, s[24:25]
	s_cbranch_execz .LBB6_1231
; %bb.1222:                             ;   in Loop: Header=BB6_897 Depth=2
	v_and_b32_e32 v6, 0x7fffffff, v10
	v_mov_b32_e32 v7, v57
	v_cmp_gt_u64_e64 s[22:23], s[44:45], v[6:7]
	s_and_saveexec_b64 s[62:63], s[22:23]
	s_cbranch_execz .LBB6_1230
; %bb.1223:                             ;   in Loop: Header=BB6_897 Depth=2
	v_cmp_ne_u32_e64 s[22:23], 0, v10
	v_mov_b32_e32 v14, 0
	s_and_saveexec_b64 s[64:65], s[22:23]
	s_cbranch_execz .LBB6_1229
; %bb.1224:                             ;   in Loop: Header=BB6_897 Depth=2
	v_bfe_u32 v6, v10, 23, 8
	v_sub_u32_e32 v8, 0x79, v6
	v_cmp_gt_u32_e64 s[22:23], s77, v6
	v_add_u32_e32 v7, 0xffffff81, v6
	v_cndmask_b32_e64 v8, 0, v8, s[22:23]
	v_cmp_eq_u32_e64 s[22:23], 0, v6
	v_mov_b32_e32 v6, 0x78
	v_or_b32_e32 v9, 0x800000, v56
	v_cndmask_b32_e64 v32, v8, v6, s[22:23]
	v_cndmask_b32_e64 v56, v9, v56, s[22:23]
	v_add_u32_e32 v6, 20, v32
	v_cndmask_b32_e64 v14, v7, v33, s[22:23]
	v_lshlrev_b64 v[6:7], v6, -1
	v_lshrrev_b64 v[10:11], v32, v[56:57]
	v_not_b32_e32 v7, v7
	v_not_b32_e32 v6, v6
	v_add_u32_e32 v8, 19, v32
	v_lshrrev_b32_e32 v33, 23, v10
	v_and_b32_e32 v7, 0, v7
	v_and_b32_e32 v6, v56, v6
	v_lshlrev_b64 v[8:9], v8, 1
	v_add3_u32 v38, v32, v14, v33
	v_bfe_u32 v14, v10, 20, 1
	v_add_u32_e32 v14, -1, v14
	v_cmp_eq_u64_e64 s[22:23], v[6:7], v[8:9]
	v_cndmask_b32_e64 v6, 0, v14, s[22:23]
	v_add_u32_e32 v6, v6, v10
	v_and_b32_e32 v6, 0xfffff, v6
	v_add_co_u32_e64 v10, s[22:23], v6, v10
	v_add_u32_e32 v49, 6, v38
	v_addc_co_u32_e64 v11, s[22:23], 0, v11, s[22:23]
	v_cmp_ne_u32_e64 s[22:23], 0, v49
                                        ; implicit-def: $vgpr14
	s_and_saveexec_b64 s[24:25], s[22:23]
	s_xor_b64 s[24:25], exec, s[24:25]
; %bb.1225:                             ;   in Loop: Header=BB6_897 Depth=2
	v_add_u32_e32 v6, 7, v38
	v_cmp_lt_u64_e64 s[22:23], s[48:49], v[10:11]
	v_cndmask_b32_e64 v14, v49, v6, s[22:23]
	v_cndmask_b32_e64 v6, 0, 1, s[22:23]
	v_lshrrev_b64 v[10:11], v6, v[10:11]
; %bb.1226:                             ;   in Loop: Header=BB6_897 Depth=2
	s_andn2_saveexec_b64 s[22:23], s[24:25]
; %bb.1227:                             ;   in Loop: Header=BB6_897 Depth=2
	v_bfe_u32 v14, v10, 23, 1
; %bb.1228:                             ;   in Loop: Header=BB6_897 Depth=2
	s_or_b64 exec, exec, s[22:23]
	v_lshrrev_b64 v[6:7], 20, v[10:11]
	v_cmp_gt_i32_e64 s[22:23], 16, v14
	v_cndmask_b32_e64 v7, 0, v7, s[22:23]
	v_cndmask_b32_e64 v6, 7, v6, s[22:23]
	v_cmp_eq_u64_e64 s[24:25], 0, v[6:7]
	v_min_i32_e32 v7, 15, v14
	v_cmp_eq_u32_e64 s[22:23], 0, v14
	v_lshlrev_b32_e32 v7, 3, v7
	v_and_or_b32 v6, v6, 7, v7
	s_and_b64 s[22:23], s[22:23], s[24:25]
	v_cndmask_b32_e64 v6, v6, 0, s[22:23]
	v_or_b32_e32 v14, v6, v48
	v_mov_b32_e32 v33, 0xffffff82
.LBB6_1229:                             ;   in Loop: Header=BB6_897 Depth=2
	s_or_b64 exec, exec, s[64:65]
.LBB6_1230:                             ;   in Loop: Header=BB6_897 Depth=2
	s_or_b64 exec, exec, s[62:63]
                                        ; implicit-def: $vgpr10
.LBB6_1231:                             ;   in Loop: Header=BB6_897 Depth=2
	s_andn2_saveexec_b64 s[24:25], s[60:61]
; %bb.1232:                             ;   in Loop: Header=BB6_897 Depth=2
	v_or_b32_sdwa v6, v10, s76 dst_sel:DWORD dst_unused:UNUSED_PAD src0_sel:BYTE_3 src1_sel:DWORD
	v_cmp_eq_u64_e64 s[22:23], 0, v[56:57]
	v_cndmask_b32_e64 v14, v6, v14, s[22:23]
; %bb.1233:                             ;   in Loop: Header=BB6_897 Depth=2
	s_or_b64 exec, exec, s[24:25]
	v_lshrrev_b32_e32 v10, 16, v17
	v_cmp_ne_u16_sdwa s[22:23], v10, v57 src0_sel:BYTE_0 src1_sel:DWORD
	v_mov_b32_e32 v11, 0
	v_mov_b32_e32 v48, 0
	s_and_saveexec_b64 s[24:25], s[22:23]
	s_cbranch_execz .LBB6_1239
; %bb.1234:                             ;   in Loop: Header=BB6_897 Depth=2
	v_cmp_ne_u16_sdwa s[22:23], v10, s75 src0_sel:BYTE_0 src1_sel:DWORD
	v_bfrev_b32_e32 v48, 1
	s_and_saveexec_b64 s[60:61], s[22:23]
	s_cbranch_execz .LBB6_1238
; %bb.1235:                             ;   in Loop: Header=BB6_897 Depth=2
	v_bfe_u32 v38, v17, 16, 7
	v_cmp_ne_u32_e64 s[22:23], s76, v38
	v_mov_b32_e32 v48, 0x7f800001
	s_and_saveexec_b64 s[62:63], s[22:23]
	s_cbranch_execz .LBB6_1237
; %bb.1236:                             ;   in Loop: Header=BB6_897 Depth=2
	v_and_b32_e32 v8, 7, v10
	v_ffbh_u32_e32 v6, v8
	v_min_u32_e32 v32, 32, v6
	v_subrev_u32_e32 v6, 28, v32
	v_lshlrev_b64 v[6:7], v6, v[10:11]
	v_lshrrev_b32_e32 v9, 3, v38
	v_sub_u32_e32 v7, 29, v32
	v_and_b32_e32 v6, 7, v6
	v_cmp_gt_u32_e64 s[22:23], 8, v38
	v_cndmask_b32_e64 v7, v9, v7, s[22:23]
	v_cndmask_b32_e64 v6, v8, v6, s[22:23]
	v_lshlrev_b32_e32 v8, 24, v10
	v_lshlrev_b32_e32 v6, 20, v6
	v_and_b32_e32 v8, 0x80000000, v8
	v_lshl_add_u32 v7, v7, 23, v29
	v_or3_b32 v48, v8, v7, v6
.LBB6_1237:                             ;   in Loop: Header=BB6_897 Depth=2
	s_or_b64 exec, exec, s[62:63]
.LBB6_1238:                             ;   in Loop: Header=BB6_897 Depth=2
	s_or_b64 exec, exec, s[60:61]
.LBB6_1239:                             ;   in Loop: Header=BB6_897 Depth=2
	s_or_b64 exec, exec, s[24:25]
	v_lshrrev_b32_e32 v10, 16, v13
	v_cmp_ne_u16_sdwa s[22:23], v10, v57 src0_sel:BYTE_0 src1_sel:DWORD
	s_and_saveexec_b64 s[24:25], s[22:23]
	s_cbranch_execz .LBB6_1245
; %bb.1240:                             ;   in Loop: Header=BB6_897 Depth=2
	v_cmp_ne_u16_sdwa s[22:23], v10, s75 src0_sel:BYTE_0 src1_sel:DWORD
	v_bfrev_b32_e32 v11, 1
	s_and_saveexec_b64 s[60:61], s[22:23]
	s_cbranch_execz .LBB6_1244
; %bb.1241:                             ;   in Loop: Header=BB6_897 Depth=2
	v_bfe_u32 v38, v13, 16, 7
	v_cmp_ne_u32_e64 s[22:23], s76, v38
	v_mov_b32_e32 v11, 0x7f800001
	s_and_saveexec_b64 s[62:63], s[22:23]
	s_cbranch_execz .LBB6_1243
; %bb.1242:                             ;   in Loop: Header=BB6_897 Depth=2
	v_and_b32_e32 v8, 7, v10
	v_ffbh_u32_e32 v6, v8
	v_min_u32_e32 v11, 32, v6
	v_subrev_u32_e32 v6, 28, v11
	v_lshlrev_b64 v[6:7], v6, v[10:11]
	v_lshrrev_b32_e32 v9, 3, v38
	v_sub_u32_e32 v7, 29, v11
	v_and_b32_e32 v6, 7, v6
	v_cmp_gt_u32_e64 s[22:23], 8, v38
	v_cndmask_b32_e64 v7, v9, v7, s[22:23]
	v_cndmask_b32_e64 v6, v8, v6, s[22:23]
	v_lshlrev_b32_e32 v8, 8, v13
	v_lshlrev_b32_e32 v6, 20, v6
	v_and_b32_e32 v8, 0x80000000, v8
	v_lshl_add_u32 v7, v7, 23, v29
	v_or3_b32 v11, v8, v7, v6
.LBB6_1243:                             ;   in Loop: Header=BB6_897 Depth=2
	s_or_b64 exec, exec, s[62:63]
.LBB6_1244:                             ;   in Loop: Header=BB6_897 Depth=2
	s_or_b64 exec, exec, s[60:61]
.LBB6_1245:                             ;   in Loop: Header=BB6_897 Depth=2
	s_or_b64 exec, exec, s[24:25]
	v_add_f32_e32 v10, v48, v11
	v_and_b32_sdwa v49, v10, s75 dst_sel:DWORD dst_unused:UNUSED_PAD src0_sel:BYTE_3 src1_sel:DWORD
	v_and_b32_e32 v6, 0x7f800000, v10
	v_mov_b32_e32 v7, v57
	v_and_b32_e32 v56, 0x7fffff, v10
	v_or_b32_e32 v48, 0x7e, v49
	v_cmp_ne_u64_e64 s[22:23], s[42:43], v[6:7]
	s_and_saveexec_b64 s[24:25], s[22:23]
	s_xor_b64 s[60:61], exec, s[24:25]
	s_cbranch_execz .LBB6_1255
; %bb.1246:                             ;   in Loop: Header=BB6_897 Depth=2
	v_and_b32_e32 v6, 0x7fffffff, v10
	v_mov_b32_e32 v7, v57
	v_cmp_gt_u64_e64 s[22:23], s[44:45], v[6:7]
	s_and_saveexec_b64 s[62:63], s[22:23]
	s_cbranch_execz .LBB6_1254
; %bb.1247:                             ;   in Loop: Header=BB6_897 Depth=2
	v_cmp_ne_u32_e64 s[22:23], 0, v10
	v_mov_b32_e32 v48, 0
	s_and_saveexec_b64 s[64:65], s[22:23]
	s_cbranch_execz .LBB6_1253
; %bb.1248:                             ;   in Loop: Header=BB6_897 Depth=2
	v_bfe_u32 v6, v10, 23, 8
	v_sub_u32_e32 v8, 0x79, v6
	v_cmp_gt_u32_e64 s[22:23], s77, v6
	v_add_u32_e32 v7, 0xffffff81, v6
	v_cndmask_b32_e64 v8, 0, v8, s[22:23]
	v_cmp_eq_u32_e64 s[22:23], 0, v6
	v_mov_b32_e32 v6, 0x78
	v_or_b32_e32 v9, 0x800000, v56
	v_cndmask_b32_e64 v32, v7, v33, s[22:23]
	v_cndmask_b32_e64 v33, v8, v6, s[22:23]
	;; [unrolled: 1-line block ×3, first 2 shown]
	v_add_u32_e32 v6, 20, v33
	v_lshlrev_b64 v[6:7], v6, -1
	v_lshrrev_b64 v[10:11], v33, v[56:57]
	v_not_b32_e32 v7, v7
	v_not_b32_e32 v6, v6
	v_add_u32_e32 v8, 19, v33
	v_lshrrev_b32_e32 v38, 23, v10
	v_and_b32_e32 v7, 0, v7
	v_and_b32_e32 v6, v56, v6
	v_lshlrev_b64 v[8:9], v8, 1
	v_add3_u32 v38, v33, v32, v38
	v_bfe_u32 v32, v10, 20, 1
	v_add_u32_e32 v32, -1, v32
	v_cmp_eq_u64_e64 s[22:23], v[6:7], v[8:9]
	v_cndmask_b32_e64 v6, 0, v32, s[22:23]
	v_add_u32_e32 v6, v6, v10
	v_and_b32_e32 v6, 0xfffff, v6
	v_add_co_u32_e64 v10, s[22:23], v6, v10
	v_add_u32_e32 v53, 6, v38
	v_addc_co_u32_e64 v11, s[22:23], 0, v11, s[22:23]
	v_cmp_ne_u32_e64 s[22:23], 0, v53
                                        ; implicit-def: $vgpr48
	s_and_saveexec_b64 s[24:25], s[22:23]
	s_xor_b64 s[24:25], exec, s[24:25]
; %bb.1249:                             ;   in Loop: Header=BB6_897 Depth=2
	v_add_u32_e32 v6, 7, v38
	v_cmp_lt_u64_e64 s[22:23], s[48:49], v[10:11]
	v_cndmask_b32_e64 v48, v53, v6, s[22:23]
	v_cndmask_b32_e64 v6, 0, 1, s[22:23]
	v_lshrrev_b64 v[10:11], v6, v[10:11]
; %bb.1250:                             ;   in Loop: Header=BB6_897 Depth=2
	s_andn2_saveexec_b64 s[22:23], s[24:25]
; %bb.1251:                             ;   in Loop: Header=BB6_897 Depth=2
	v_bfe_u32 v48, v10, 23, 1
; %bb.1252:                             ;   in Loop: Header=BB6_897 Depth=2
	s_or_b64 exec, exec, s[22:23]
	v_lshrrev_b64 v[6:7], 20, v[10:11]
	v_cmp_gt_i32_e64 s[22:23], 16, v48
	v_cndmask_b32_e64 v7, 0, v7, s[22:23]
	v_cndmask_b32_e64 v6, 7, v6, s[22:23]
	v_cmp_eq_u64_e64 s[24:25], 0, v[6:7]
	v_min_i32_e32 v7, 15, v48
	v_lshlrev_b32_e32 v7, 3, v7
	v_cmp_eq_u32_e64 s[22:23], 0, v48
	v_and_b32_e32 v7, 0xf8, v7
	v_and_or_b32 v6, v6, 7, v7
	s_and_b64 s[22:23], s[22:23], s[24:25]
	v_cndmask_b32_e64 v6, v6, 0, s[22:23]
	v_or_b32_e32 v48, v6, v49
	v_mov_b32_e32 v33, 0xffffff82
.LBB6_1253:                             ;   in Loop: Header=BB6_897 Depth=2
	s_or_b64 exec, exec, s[64:65]
.LBB6_1254:                             ;   in Loop: Header=BB6_897 Depth=2
	s_or_b64 exec, exec, s[62:63]
                                        ; implicit-def: $vgpr10
.LBB6_1255:                             ;   in Loop: Header=BB6_897 Depth=2
	s_andn2_saveexec_b64 s[24:25], s[60:61]
; %bb.1256:                             ;   in Loop: Header=BB6_897 Depth=2
	v_or_b32_sdwa v6, v10, s76 dst_sel:DWORD dst_unused:UNUSED_PAD src0_sel:BYTE_3 src1_sel:DWORD
	v_cmp_eq_u64_e64 s[22:23], 0, v[56:57]
	v_cndmask_b32_e64 v48, v6, v48, s[22:23]
; %bb.1257:                             ;   in Loop: Header=BB6_897 Depth=2
	s_or_b64 exec, exec, s[24:25]
	v_cmp_lt_u64_e64 s[22:23], s[46:47], v[16:17]
	v_mov_b32_e32 v11, 0
	v_mov_b32_e32 v16, 0
	s_and_saveexec_b64 s[24:25], s[22:23]
	s_cbranch_execz .LBB6_1263
; %bb.1258:                             ;   in Loop: Header=BB6_897 Depth=2
	v_lshrrev_b32_e32 v10, 24, v17
	v_cmp_ne_u32_e64 s[22:23], s75, v10
	v_bfrev_b32_e32 v16, 1
	s_and_saveexec_b64 s[60:61], s[22:23]
	s_cbranch_execz .LBB6_1262
; %bb.1259:                             ;   in Loop: Header=BB6_897 Depth=2
	v_bfe_u32 v17, v17, 24, 7
	v_cmp_ne_u32_e64 s[22:23], s76, v17
	v_mov_b32_e32 v16, 0x7f800001
	s_and_saveexec_b64 s[62:63], s[22:23]
	s_cbranch_execz .LBB6_1261
; %bb.1260:                             ;   in Loop: Header=BB6_897 Depth=2
	v_and_b32_e32 v8, 7, v10
	v_ffbh_u32_e32 v6, v8
	v_min_u32_e32 v16, 32, v6
	v_subrev_u32_e32 v6, 28, v16
	v_lshlrev_b64 v[6:7], v6, v[10:11]
	v_lshrrev_b32_e32 v9, 3, v17
	v_sub_u32_e32 v7, 29, v16
	v_and_b32_e32 v6, 7, v6
	v_cmp_gt_u32_e64 s[22:23], 8, v17
	v_cndmask_b32_e64 v7, v9, v7, s[22:23]
	v_cndmask_b32_e64 v6, v8, v6, s[22:23]
	v_lshlrev_b32_e32 v8, 24, v10
	v_lshlrev_b32_e32 v6, 20, v6
	v_and_b32_e32 v8, 0x80000000, v8
	v_lshl_add_u32 v7, v7, 23, v29
	v_or3_b32 v16, v8, v7, v6
.LBB6_1261:                             ;   in Loop: Header=BB6_897 Depth=2
	s_or_b64 exec, exec, s[62:63]
.LBB6_1262:                             ;   in Loop: Header=BB6_897 Depth=2
	s_or_b64 exec, exec, s[60:61]
.LBB6_1263:                             ;   in Loop: Header=BB6_897 Depth=2
	s_or_b64 exec, exec, s[24:25]
	v_cmp_lt_u64_e64 s[22:23], s[46:47], v[12:13]
	s_and_saveexec_b64 s[24:25], s[22:23]
	s_cbranch_execz .LBB6_1269
; %bb.1264:                             ;   in Loop: Header=BB6_897 Depth=2
	v_lshrrev_b32_e32 v10, 24, v13
	v_cmp_ne_u32_e64 s[22:23], s75, v10
	v_bfrev_b32_e32 v11, 1
	s_and_saveexec_b64 s[60:61], s[22:23]
	s_cbranch_execz .LBB6_1268
; %bb.1265:                             ;   in Loop: Header=BB6_897 Depth=2
	v_bfe_u32 v12, v13, 24, 7
	v_cmp_ne_u32_e64 s[22:23], s76, v12
	v_mov_b32_e32 v11, 0x7f800001
	s_and_saveexec_b64 s[62:63], s[22:23]
	s_cbranch_execz .LBB6_1267
; %bb.1266:                             ;   in Loop: Header=BB6_897 Depth=2
	v_and_b32_e32 v8, 7, v10
	v_ffbh_u32_e32 v6, v8
	v_min_u32_e32 v11, 32, v6
	v_subrev_u32_e32 v6, 28, v11
	v_lshlrev_b64 v[6:7], v6, v[10:11]
	v_lshrrev_b32_e32 v9, 3, v12
	v_sub_u32_e32 v7, 29, v11
	v_and_b32_e32 v6, 7, v6
	v_cmp_gt_u32_e64 s[22:23], 8, v12
	v_cndmask_b32_e64 v7, v9, v7, s[22:23]
	v_cndmask_b32_e64 v6, v8, v6, s[22:23]
	v_lshlrev_b32_e32 v8, 24, v10
	v_lshlrev_b32_e32 v6, 20, v6
	v_and_b32_e32 v8, 0x80000000, v8
	v_lshl_add_u32 v7, v7, 23, v29
	v_or3_b32 v11, v8, v7, v6
.LBB6_1267:                             ;   in Loop: Header=BB6_897 Depth=2
	s_or_b64 exec, exec, s[62:63]
.LBB6_1268:                             ;   in Loop: Header=BB6_897 Depth=2
	s_or_b64 exec, exec, s[60:61]
.LBB6_1269:                             ;   in Loop: Header=BB6_897 Depth=2
	s_or_b64 exec, exec, s[24:25]
	v_add_f32_e32 v11, v16, v11
	v_and_b32_sdwa v12, v11, s75 dst_sel:DWORD dst_unused:UNUSED_PAD src0_sel:BYTE_3 src1_sel:DWORD
	v_and_b32_e32 v6, 0x7f800000, v11
	v_mov_b32_e32 v7, v57
	v_and_b32_e32 v56, 0x7fffff, v11
	v_or_b32_e32 v10, 0x7e, v12
	v_cmp_ne_u64_e64 s[22:23], s[42:43], v[6:7]
	s_and_saveexec_b64 s[24:25], s[22:23]
	s_xor_b64 s[60:61], exec, s[24:25]
	s_cbranch_execz .LBB6_1279
; %bb.1270:                             ;   in Loop: Header=BB6_897 Depth=2
	v_and_b32_e32 v6, 0x7fffffff, v11
	v_mov_b32_e32 v7, v57
	v_cmp_gt_u64_e64 s[22:23], s[44:45], v[6:7]
	s_and_saveexec_b64 s[62:63], s[22:23]
	s_cbranch_execz .LBB6_1278
; %bb.1271:                             ;   in Loop: Header=BB6_897 Depth=2
	v_cmp_ne_u32_e64 s[22:23], 0, v11
	v_mov_b32_e32 v10, 0
	s_and_saveexec_b64 s[64:65], s[22:23]
	s_cbranch_execz .LBB6_1277
; %bb.1272:                             ;   in Loop: Header=BB6_897 Depth=2
	v_bfe_u32 v6, v11, 23, 8
	v_sub_u32_e32 v8, 0x79, v6
	v_cmp_gt_u32_e64 s[22:23], s77, v6
	v_add_u32_e32 v7, 0xffffff81, v6
	v_cndmask_b32_e64 v8, 0, v8, s[22:23]
	v_cmp_eq_u32_e64 s[22:23], 0, v6
	v_mov_b32_e32 v6, 0x78
	v_or_b32_e32 v9, 0x800000, v56
	v_cndmask_b32_e64 v16, v8, v6, s[22:23]
	v_cndmask_b32_e64 v56, v9, v56, s[22:23]
	v_add_u32_e32 v6, 20, v16
	v_cndmask_b32_e64 v13, v7, v33, s[22:23]
	v_lshlrev_b64 v[6:7], v6, -1
	v_lshrrev_b64 v[10:11], v16, v[56:57]
	v_not_b32_e32 v7, v7
	v_not_b32_e32 v6, v6
	v_add_u32_e32 v8, 19, v16
	v_lshrrev_b32_e32 v17, 23, v10
	v_and_b32_e32 v7, 0, v7
	v_and_b32_e32 v6, v56, v6
	v_lshlrev_b64 v[8:9], v8, 1
	v_add3_u32 v17, v16, v13, v17
	v_bfe_u32 v13, v10, 20, 1
	v_add_u32_e32 v13, -1, v13
	v_cmp_eq_u64_e64 s[22:23], v[6:7], v[8:9]
	v_cndmask_b32_e64 v6, 0, v13, s[22:23]
	v_add_u32_e32 v6, v6, v10
	v_and_b32_e32 v6, 0xfffff, v6
	v_add_co_u32_e64 v10, s[22:23], v6, v10
	v_add_u32_e32 v16, 6, v17
	v_addc_co_u32_e64 v11, s[22:23], 0, v11, s[22:23]
	v_cmp_ne_u32_e64 s[22:23], 0, v16
                                        ; implicit-def: $vgpr13
	s_and_saveexec_b64 s[24:25], s[22:23]
	s_xor_b64 s[24:25], exec, s[24:25]
; %bb.1273:                             ;   in Loop: Header=BB6_897 Depth=2
	v_add_u32_e32 v6, 7, v17
	v_cmp_lt_u64_e64 s[22:23], s[48:49], v[10:11]
	v_cndmask_b32_e64 v13, v16, v6, s[22:23]
	v_cndmask_b32_e64 v6, 0, 1, s[22:23]
	v_lshrrev_b64 v[10:11], v6, v[10:11]
; %bb.1274:                             ;   in Loop: Header=BB6_897 Depth=2
	s_andn2_saveexec_b64 s[22:23], s[24:25]
; %bb.1275:                             ;   in Loop: Header=BB6_897 Depth=2
	v_bfe_u32 v13, v10, 23, 1
; %bb.1276:                             ;   in Loop: Header=BB6_897 Depth=2
	s_or_b64 exec, exec, s[22:23]
	v_lshrrev_b64 v[6:7], 20, v[10:11]
	v_cmp_gt_i32_e64 s[22:23], 16, v13
	v_cndmask_b32_e64 v7, 0, v7, s[22:23]
	v_cndmask_b32_e64 v6, 7, v6, s[22:23]
	v_cmp_eq_u64_e64 s[24:25], 0, v[6:7]
	v_min_i32_e32 v7, 15, v13
	v_lshlrev_b32_e32 v7, 3, v7
	v_cmp_eq_u32_e64 s[22:23], 0, v13
	v_and_b32_e32 v7, 0xf8, v7
	v_and_or_b32 v6, v6, 7, v7
	s_and_b64 s[22:23], s[22:23], s[24:25]
	v_cndmask_b32_e64 v6, v6, 0, s[22:23]
	v_or_b32_e32 v10, v6, v12
.LBB6_1277:                             ;   in Loop: Header=BB6_897 Depth=2
	s_or_b64 exec, exec, s[64:65]
.LBB6_1278:                             ;   in Loop: Header=BB6_897 Depth=2
	s_or_b64 exec, exec, s[62:63]
                                        ; implicit-def: $vgpr11
.LBB6_1279:                             ;   in Loop: Header=BB6_897 Depth=2
	s_andn2_saveexec_b64 s[24:25], s[60:61]
	s_cbranch_execz .LBB6_896
; %bb.1280:                             ;   in Loop: Header=BB6_897 Depth=2
	v_or_b32_sdwa v6, v11, s76 dst_sel:DWORD dst_unused:UNUSED_PAD src0_sel:BYTE_3 src1_sel:DWORD
	v_cmp_eq_u64_e64 s[22:23], 0, v[56:57]
	v_cndmask_b32_e64 v10, v6, v10, s[22:23]
	s_branch .LBB6_896
.LBB6_1281:                             ;   in Loop: Header=BB6_49 Depth=1
	s_or_b64 exec, exec, s[58:59]
.LBB6_1282:                             ;   in Loop: Header=BB6_49 Depth=1
	s_or_b64 exec, exec, s[56:57]
	v_and_b32_e32 v4, 15, v43
	v_cndmask_b32_e32 v1, v34, v4, vcc
	s_mov_b64 s[24:25], 0
	v_mov_b32_e32 v0, 0
	v_cmp_ne_u32_e64 s[22:23], 0, v1
                                        ; implicit-def: $vgpr3
                                        ; implicit-def: $vgpr2
	s_mov_b64 s[56:57], exec
	s_and_b64 s[22:23], s[56:57], s[22:23]
	v_accvgpr_read_b32 v6, a40
	s_mov_b64 exec, s[22:23]
	s_cbranch_execz .LBB6_1284
; %bb.1283:                             ;   in Loop: Header=BB6_49 Depth=1
	v_sub_u32_e32 v2, v34, v4
	v_and_b32_e32 v0, 0x3ffffc00, v43
	v_cndmask_b32_e32 v2, 0, v2, vcc
	v_add_u32_e32 v0, v2, v0
	v_cmp_lt_i32_e32 vcc, 0, v27
	v_accvgpr_read_b32 v2, a28
	v_cndmask_b32_e32 v2, 0, v2, vcc
	v_sub_u32_e32 v2, v2, v27
	v_lshl_add_u32 v3, v2, 6, v26
	v_ashrrev_i32_e32 v2, 31, v3
	v_lshrrev_b32_e32 v2, 26, v2
	v_add_u32_e32 v2, v3, v2
	s_mov_b64 s[24:25], exec
	v_ashrrev_i32_e32 v2, 6, v2
.LBB6_1284:                             ;   in Loop: Header=BB6_49 Depth=1
	s_or_b64 exec, exec, s[56:57]
	s_and_b64 s[22:23], s[24:25], exec
.LBB6_1285:                             ;   in Loop: Header=BB6_49 Depth=1
	s_or_b64 exec, exec, s[54:55]
	v_accvgpr_read_b32 v46, a2
	v_accvgpr_read_b32 v19, a29
	v_mov_b32_e32 v20, 1
	v_accvgpr_read_b32 v21, a37
	s_and_saveexec_b64 s[24:25], s[22:23]
	s_cbranch_execz .LBB6_1770
.LBB6_1286:                             ;   in Loop: Header=BB6_49 Depth=1
	v_ashrrev_i32_e32 v4, 31, v1
	v_lshrrev_b32_e32 v4, 22, v4
	v_add_u32_e32 v4, v1, v4
	v_ashrrev_i32_e32 v5, 10, v4
	v_sub_u32_e32 v18, v5, v2
	v_ashrrev_i32_e32 v4, 31, v3
	v_cmp_lt_i32_e32 vcc, 0, v18
	v_lshrrev_b32_e32 v4, 26, v4
	s_and_saveexec_b64 s[54:55], vcc
	s_cbranch_execz .LBB6_1738
; %bb.1287:                             ;   in Loop: Header=BB6_49 Depth=1
	v_accvgpr_write_b32 a39, v4
	v_add_u32_e32 v4, v3, v4
	v_and_b32_e32 v4, 0xffffffc0, v4
	v_accvgpr_write_b32 a41, v5
	s_trap 2
	v_sub_u32_e32 v8, v3, v4
	ds_read_b128 v[4:7], v0
	v_lshlrev_b32_e32 v2, 10, v2
	v_add3_u32 v2, v0, v8, v2
	ds_read_b64 v[8:9], v0
	v_ashrrev_i32_e32 v15, 31, v2
	s_waitcnt lgkmcnt(0)
	v_add_co_u32_e32 v10, vcc, v4, v2
	v_addc_co_u32_e32 v11, vcc, v5, v15, vcc
	v_add_co_u32_e32 v12, vcc, v6, v2
	v_addc_co_u32_e32 v13, vcc, v7, v15, vcc
	;; [unrolled: 2-line block ×3, first 2 shown]
	v_add_co_u32_e32 v14, vcc, v4, v2
	v_accvgpr_write_b32 a37, v21
	v_accvgpr_write_b32 a38, v42
	v_addc_co_u32_e32 v15, vcc, v5, v15, vcc
	s_mov_b64 s[56:57], 0
	s_branch .LBB6_1289
.LBB6_1288:                             ;   in Loop: Header=BB6_1289 Depth=2
	s_or_b64 exec, exec, s[22:23]
	v_add_co_u32_e32 v6, vcc, 0xfffffc40, v14
	v_addc_co_u32_e32 v7, vcc, -1, v15, vcc
	flat_store_byte v[6:7], v21 glc slc
	v_add_co_u32_e32 v6, vcc, 0xfffffc80, v14
	v_addc_co_u32_e32 v7, vcc, -1, v15, vcc
	flat_store_byte v[6:7], v24 glc slc
	;; [unrolled: 3-line block ×13, first 2 shown]
	v_add_co_u32_e32 v6, vcc, 0xffffff80, v14
	v_addc_co_u32_e32 v7, vcc, -1, v15, vcc
	v_add_co_u32_e32 v4, vcc, s72, v14
	flat_store_byte v[6:7], v5 glc slc
	v_addc_co_u32_e32 v5, vcc, -1, v15, vcc
	v_add_co_u32_e32 v10, vcc, v10, v31
	v_addc_co_u32_e32 v11, vcc, v11, v28, vcc
	v_add_co_u32_e32 v12, vcc, v12, v31
	v_accvgpr_read_b32 v2, a28
	v_addc_co_u32_e32 v13, vcc, v13, v28, vcc
	v_sub_u32_e32 v18, v18, v2
	v_cmp_gt_i32_e32 vcc, 1, v18
	flat_store_byte v[4:5], v25 glc slc
	flat_store_byte v[14:15], v17 glc slc
	s_or_b64 s[56:57], vcc, s[56:57]
	v_add_co_u32_e32 v14, vcc, v14, v31
	v_addc_co_u32_e32 v15, vcc, v15, v28, vcc
	s_andn2_b64 exec, exec, s[56:57]
	s_cbranch_execz .LBB6_1737
.LBB6_1289:                             ;   Parent Loop BB6_49 Depth=1
                                        ; =>  This Inner Loop Header: Depth=2
	flat_load_ubyte v49, v[10:11] glc slc
	flat_load_ubyte v20, v[10:11] offset:64 glc slc
	flat_load_ubyte v52, v[10:11] offset:128 glc slc
	;; [unrolled: 1-line block ×15, first 2 shown]
	flat_load_ubyte v17, v[12:13] glc slc
	flat_load_ubyte v24, v[12:13] offset:64 glc slc
	flat_load_ubyte v27, v[12:13] offset:128 glc slc
	;; [unrolled: 1-line block ×15, first 2 shown]
	v_mov_b32_e32 v21, 0
	v_mov_b32_e32 v48, 0
	s_waitcnt vmcnt(0) lgkmcnt(0)
	v_cmp_ne_u16_e32 vcc, 0, v49
	s_and_saveexec_b64 s[22:23], vcc
	s_cbranch_execz .LBB6_1295
; %bb.1290:                             ;   in Loop: Header=BB6_1289 Depth=2
	v_cmp_ne_u16_e32 vcc, s75, v49
	v_bfrev_b32_e32 v48, 1
	s_and_saveexec_b64 s[58:59], vcc
	s_cbranch_execz .LBB6_1294
; %bb.1291:                             ;   in Loop: Header=BB6_1289 Depth=2
	v_and_b32_e32 v16, 0xffff, v49
	v_and_b32_e32 v38, 0x7f, v16
	v_cmp_ne_u32_e32 vcc, s76, v38
	v_mov_b32_e32 v48, 0x7f800001
	s_and_saveexec_b64 s[60:61], vcc
	s_cbranch_execz .LBB6_1293
; %bb.1292:                             ;   in Loop: Header=BB6_1289 Depth=2
	v_and_b32_e32 v8, 7, v16
	v_ffbh_u32_e32 v6, v8
	v_min_u32_e32 v32, 32, v6
	v_subrev_u32_e32 v6, 28, v32
	v_lshlrev_b64 v[6:7], v6, v[16:17]
	v_lshrrev_b32_e32 v9, 3, v38
	v_sub_u32_e32 v7, 29, v32
	v_and_b32_e32 v6, 7, v6
	v_cmp_gt_u32_e32 vcc, 8, v38
	v_cndmask_b32_e32 v7, v9, v7, vcc
	v_cndmask_b32_e32 v6, v8, v6, vcc
	v_lshlrev_b32_e32 v8, 24, v49
	v_lshlrev_b32_e32 v6, 20, v6
	v_and_b32_e32 v8, 0x80000000, v8
	v_lshl_add_u32 v7, v7, 23, v29
	v_or3_b32 v48, v8, v7, v6
.LBB6_1293:                             ;   in Loop: Header=BB6_1289 Depth=2
	s_or_b64 exec, exec, s[60:61]
.LBB6_1294:                             ;   in Loop: Header=BB6_1289 Depth=2
	s_or_b64 exec, exec, s[58:59]
.LBB6_1295:                             ;   in Loop: Header=BB6_1289 Depth=2
	s_or_b64 exec, exec, s[22:23]
	v_and_b32_e32 v16, 0xff, v17
	v_cmp_ne_u16_e32 vcc, 0, v16
	s_and_saveexec_b64 s[22:23], vcc
	s_cbranch_execz .LBB6_1301
; %bb.1296:                             ;   in Loop: Header=BB6_1289 Depth=2
	v_cmp_ne_u16_e32 vcc, s75, v16
	v_bfrev_b32_e32 v21, 1
	s_and_saveexec_b64 s[58:59], vcc
	s_cbranch_execz .LBB6_1300
; %bb.1297:                             ;   in Loop: Header=BB6_1289 Depth=2
	v_and_b32_e32 v38, 0x7f, v17
	v_cmp_ne_u32_e32 vcc, s76, v38
	v_mov_b32_e32 v21, 0x7f800001
	s_and_saveexec_b64 s[60:61], vcc
	s_cbranch_execz .LBB6_1299
; %bb.1298:                             ;   in Loop: Header=BB6_1289 Depth=2
	v_and_b32_e32 v8, 7, v16
	v_ffbh_u32_e32 v6, v8
	v_min_u32_e32 v21, 32, v6
	v_subrev_u32_e32 v6, 28, v21
	v_lshlrev_b64 v[6:7], v6, v[16:17]
	v_lshrrev_b32_e32 v9, 3, v38
	v_sub_u32_e32 v7, 29, v21
	v_and_b32_e32 v6, 7, v6
	v_cmp_gt_u32_e32 vcc, 8, v38
	v_cndmask_b32_e32 v7, v9, v7, vcc
	v_cndmask_b32_e32 v6, v8, v6, vcc
	v_lshlrev_b32_e32 v8, 24, v17
	v_lshlrev_b32_e32 v6, 20, v6
	v_and_b32_e32 v8, 0x80000000, v8
	v_lshl_add_u32 v7, v7, 23, v29
	v_or3_b32 v21, v8, v7, v6
.LBB6_1299:                             ;   in Loop: Header=BB6_1289 Depth=2
	s_or_b64 exec, exec, s[60:61]
.LBB6_1300:                             ;   in Loop: Header=BB6_1289 Depth=2
	s_or_b64 exec, exec, s[58:59]
.LBB6_1301:                             ;   in Loop: Header=BB6_1289 Depth=2
	s_or_b64 exec, exec, s[22:23]
	v_add_f32_e32 v16, v48, v21
	v_and_b32_sdwa v48, v16, s75 dst_sel:DWORD dst_unused:UNUSED_PAD src0_sel:BYTE_3 src1_sel:DWORD
	v_and_b32_e32 v6, 0x7f800000, v16
	v_mov_b32_e32 v7, v57
	v_and_b32_e32 v56, 0x7fffff, v16
	v_or_b32_e32 v21, 0x7e, v48
	v_cmp_ne_u64_e32 vcc, s[42:43], v[6:7]
	s_and_saveexec_b64 s[22:23], vcc
	s_xor_b64 s[58:59], exec, s[22:23]
	s_cbranch_execz .LBB6_1315
; %bb.1302:                             ;   in Loop: Header=BB6_1289 Depth=2
	v_and_b32_e32 v6, 0x7fffffff, v16
	v_mov_b32_e32 v7, v57
	v_cmp_gt_u64_e32 vcc, s[44:45], v[6:7]
	s_and_saveexec_b64 s[22:23], vcc
	s_xor_b64 s[60:61], exec, s[22:23]
	s_cbranch_execz .LBB6_1314
; %bb.1303:                             ;   in Loop: Header=BB6_1289 Depth=2
	v_cmp_ne_u32_e32 vcc, 0, v16
	v_mov_b32_e32 v21, 0
	s_and_saveexec_b64 s[62:63], vcc
	s_cbranch_execz .LBB6_1313
; %bb.1304:                             ;   in Loop: Header=BB6_1289 Depth=2
	v_bfe_u32 v6, v16, 23, 8
	v_sub_u32_e32 v8, 0x79, v6
	v_cmp_gt_u32_e32 vcc, s77, v6
	v_add_u32_e32 v7, 0xffffff81, v6
	v_cndmask_b32_e32 v8, 0, v8, vcc
	v_cmp_eq_u32_e32 vcc, 0, v6
	v_mov_b32_e32 v6, 0x78
	v_or_b32_e32 v9, 0x800000, v56
	v_cndmask_b32_e32 v32, v8, v6, vcc
	v_cndmask_b32_e32 v56, v9, v56, vcc
	v_add_u32_e32 v6, 20, v32
	v_cndmask_b32_e32 v21, v7, v33, vcc
	v_lshlrev_b64 v[6:7], v6, -1
	v_lshrrev_b64 v[16:17], v32, v[56:57]
	v_not_b32_e32 v7, v7
	v_not_b32_e32 v6, v6
	v_add_u32_e32 v8, 19, v32
	v_lshrrev_b32_e32 v33, 23, v16
	v_and_b32_e32 v7, 0, v7
	v_and_b32_e32 v6, v56, v6
	v_lshlrev_b64 v[8:9], v8, 1
	v_add3_u32 v38, v32, v21, v33
	v_bfe_u32 v32, v16, 20, 1
	v_add_u32_e32 v32, -1, v32
	v_cmp_eq_u64_e32 vcc, v[6:7], v[8:9]
	v_cndmask_b32_e32 v6, 0, v32, vcc
	v_add_u32_e32 v6, v6, v16
	v_and_b32_e32 v6, 0xfffff, v6
	v_add_co_u32_e32 v16, vcc, v6, v16
	v_add_u32_e32 v21, 6, v38
	v_addc_co_u32_e32 v17, vcc, 0, v17, vcc
	v_cmp_ne_u32_e32 vcc, 0, v21
                                        ; implicit-def: $vgpr49
	s_and_saveexec_b64 s[22:23], vcc
	s_xor_b64 s[22:23], exec, s[22:23]
; %bb.1305:                             ;   in Loop: Header=BB6_1289 Depth=2
	v_add_u32_e32 v6, 7, v38
	v_cmp_lt_u64_e32 vcc, s[48:49], v[16:17]
	v_cndmask_b32_e32 v49, v21, v6, vcc
	v_cndmask_b32_e64 v6, 0, 1, vcc
	v_lshrrev_b64 v[16:17], v6, v[16:17]
; %bb.1306:                             ;   in Loop: Header=BB6_1289 Depth=2
	s_andn2_saveexec_b64 s[22:23], s[22:23]
; %bb.1307:                             ;   in Loop: Header=BB6_1289 Depth=2
	v_bfe_u32 v49, v16, 23, 1
; %bb.1308:                             ;   in Loop: Header=BB6_1289 Depth=2
	s_or_b64 exec, exec, s[22:23]
	v_lshrrev_b64 v[6:7], 20, v[16:17]
	v_cmp_gt_i32_e32 vcc, 16, v49
	v_cndmask_b32_e32 v17, 0, v7, vcc
	v_cndmask_b32_e32 v16, 7, v6, vcc
	v_cmp_ne_u32_e32 vcc, 0, v49
	v_cmp_ne_u64_e64 s[22:23], 0, v[16:17]
	s_or_b64 s[22:23], vcc, s[22:23]
                                        ; implicit-def: $vgpr21
	s_mov_b64 vcc, exec
	s_and_b64 s[64:65], vcc, s[22:23]
	s_xor_b64 s[22:23], s[64:65], vcc
	v_mov_b32_e32 v33, 0xffffff82
	s_mov_b64 exec, s[64:65]
; %bb.1309:                             ;   in Loop: Header=BB6_1289 Depth=2
	v_min_i32_e32 v6, 15, v49
	v_lshl_or_b32 v6, v6, 3, v48
	v_and_or_b32 v21, v16, 7, v6
                                        ; implicit-def: $vgpr48
; %bb.1310:                             ;   in Loop: Header=BB6_1289 Depth=2
	s_andn2_saveexec_b64 s[22:23], s[22:23]
; %bb.1311:                             ;   in Loop: Header=BB6_1289 Depth=2
	v_mov_b32_e32 v21, v48
; %bb.1312:                             ;   in Loop: Header=BB6_1289 Depth=2
	s_or_b64 exec, exec, s[22:23]
.LBB6_1313:                             ;   in Loop: Header=BB6_1289 Depth=2
	s_or_b64 exec, exec, s[62:63]
.LBB6_1314:                             ;   in Loop: Header=BB6_1289 Depth=2
	s_andn2_saveexec_b64 s[22:23], s[60:61]
	s_or_b64 exec, exec, s[22:23]
                                        ; implicit-def: $vgpr16
.LBB6_1315:                             ;   in Loop: Header=BB6_1289 Depth=2
	s_andn2_saveexec_b64 s[22:23], s[58:59]
; %bb.1316:                             ;   in Loop: Header=BB6_1289 Depth=2
	v_or_b32_sdwa v6, v16, s76 dst_sel:DWORD dst_unused:UNUSED_PAD src0_sel:BYTE_3 src1_sel:DWORD
	v_cmp_eq_u64_e32 vcc, 0, v[56:57]
	v_cndmask_b32_e32 v21, v6, v21, vcc
; %bb.1317:                             ;   in Loop: Header=BB6_1289 Depth=2
	s_or_b64 exec, exec, s[22:23]
	v_and_b32_e32 v16, 0xff, v20
	v_cmp_ne_u16_e32 vcc, 0, v16
	v_mov_b32_e32 v17, 0
	v_mov_b32_e32 v48, 0
	s_and_saveexec_b64 s[22:23], vcc
	s_cbranch_execz .LBB6_1323
; %bb.1318:                             ;   in Loop: Header=BB6_1289 Depth=2
	v_cmp_ne_u16_e32 vcc, s75, v16
	v_bfrev_b32_e32 v48, 1
	s_and_saveexec_b64 s[58:59], vcc
	s_cbranch_execz .LBB6_1322
; %bb.1319:                             ;   in Loop: Header=BB6_1289 Depth=2
	v_and_b32_e32 v38, 0x7f, v20
	v_cmp_ne_u32_e32 vcc, s76, v38
	v_mov_b32_e32 v48, 0x7f800001
	s_and_saveexec_b64 s[60:61], vcc
	s_cbranch_execz .LBB6_1321
; %bb.1320:                             ;   in Loop: Header=BB6_1289 Depth=2
	v_and_b32_e32 v8, 7, v16
	v_ffbh_u32_e32 v6, v8
	v_min_u32_e32 v32, 32, v6
	v_subrev_u32_e32 v6, 28, v32
	v_lshlrev_b64 v[6:7], v6, v[16:17]
	v_lshrrev_b32_e32 v9, 3, v38
	v_sub_u32_e32 v7, 29, v32
	v_and_b32_e32 v6, 7, v6
	v_cmp_gt_u32_e32 vcc, 8, v38
	v_cndmask_b32_e32 v7, v9, v7, vcc
	v_cndmask_b32_e32 v6, v8, v6, vcc
	v_lshlrev_b32_e32 v8, 24, v20
	v_lshlrev_b32_e32 v6, 20, v6
	v_and_b32_e32 v8, 0x80000000, v8
	v_lshl_add_u32 v7, v7, 23, v29
	v_or3_b32 v48, v8, v7, v6
.LBB6_1321:                             ;   in Loop: Header=BB6_1289 Depth=2
	s_or_b64 exec, exec, s[60:61]
.LBB6_1322:                             ;   in Loop: Header=BB6_1289 Depth=2
	s_or_b64 exec, exec, s[58:59]
.LBB6_1323:                             ;   in Loop: Header=BB6_1289 Depth=2
	s_or_b64 exec, exec, s[22:23]
	v_and_b32_e32 v16, 0xff, v24
	v_cmp_ne_u16_e32 vcc, 0, v16
	s_and_saveexec_b64 s[22:23], vcc
	s_cbranch_execz .LBB6_1329
; %bb.1324:                             ;   in Loop: Header=BB6_1289 Depth=2
	v_cmp_ne_u16_e32 vcc, s75, v16
	v_bfrev_b32_e32 v17, 1
	s_and_saveexec_b64 s[58:59], vcc
	s_cbranch_execz .LBB6_1328
; %bb.1325:                             ;   in Loop: Header=BB6_1289 Depth=2
	v_and_b32_e32 v20, 0x7f, v24
	v_cmp_ne_u32_e32 vcc, s76, v20
	v_mov_b32_e32 v17, 0x7f800001
	s_and_saveexec_b64 s[60:61], vcc
	s_cbranch_execz .LBB6_1327
; %bb.1326:                             ;   in Loop: Header=BB6_1289 Depth=2
	v_and_b32_e32 v8, 7, v16
	v_ffbh_u32_e32 v6, v8
	v_min_u32_e32 v17, 32, v6
	v_subrev_u32_e32 v6, 28, v17
	v_lshlrev_b64 v[6:7], v6, v[16:17]
	v_lshrrev_b32_e32 v9, 3, v20
	v_sub_u32_e32 v7, 29, v17
	v_and_b32_e32 v6, 7, v6
	v_cmp_gt_u32_e32 vcc, 8, v20
	v_cndmask_b32_e32 v7, v9, v7, vcc
	v_cndmask_b32_e32 v6, v8, v6, vcc
	v_lshlrev_b32_e32 v8, 24, v24
	v_lshlrev_b32_e32 v6, 20, v6
	v_and_b32_e32 v8, 0x80000000, v8
	v_lshl_add_u32 v7, v7, 23, v29
	v_or3_b32 v17, v8, v7, v6
.LBB6_1327:                             ;   in Loop: Header=BB6_1289 Depth=2
	s_or_b64 exec, exec, s[60:61]
.LBB6_1328:                             ;   in Loop: Header=BB6_1289 Depth=2
	s_or_b64 exec, exec, s[58:59]
.LBB6_1329:                             ;   in Loop: Header=BB6_1289 Depth=2
	s_or_b64 exec, exec, s[22:23]
	v_add_f32_e32 v16, v48, v17
	v_and_b32_sdwa v20, v16, s75 dst_sel:DWORD dst_unused:UNUSED_PAD src0_sel:BYTE_3 src1_sel:DWORD
	v_and_b32_e32 v6, 0x7f800000, v16
	v_mov_b32_e32 v7, v57
	v_and_b32_e32 v56, 0x7fffff, v16
	v_or_b32_e32 v24, 0x7e, v20
	v_cmp_ne_u64_e32 vcc, s[42:43], v[6:7]
	s_and_saveexec_b64 s[22:23], vcc
	s_xor_b64 s[58:59], exec, s[22:23]
	s_cbranch_execz .LBB6_1343
; %bb.1330:                             ;   in Loop: Header=BB6_1289 Depth=2
	v_and_b32_e32 v6, 0x7fffffff, v16
	v_mov_b32_e32 v7, v57
	v_cmp_gt_u64_e32 vcc, s[44:45], v[6:7]
	s_and_saveexec_b64 s[22:23], vcc
	s_xor_b64 s[60:61], exec, s[22:23]
	s_cbranch_execz .LBB6_1342
; %bb.1331:                             ;   in Loop: Header=BB6_1289 Depth=2
	v_cmp_ne_u32_e32 vcc, 0, v16
	v_mov_b32_e32 v24, 0
	s_and_saveexec_b64 s[62:63], vcc
	s_cbranch_execz .LBB6_1341
; %bb.1332:                             ;   in Loop: Header=BB6_1289 Depth=2
	v_bfe_u32 v6, v16, 23, 8
	v_sub_u32_e32 v8, 0x79, v6
	v_cmp_gt_u32_e32 vcc, s77, v6
	v_add_u32_e32 v7, 0xffffff81, v6
	v_cndmask_b32_e32 v8, 0, v8, vcc
	v_cmp_eq_u32_e32 vcc, 0, v6
	v_mov_b32_e32 v6, 0x78
	v_or_b32_e32 v9, 0x800000, v56
	v_cndmask_b32_e32 v32, v8, v6, vcc
	v_cndmask_b32_e32 v56, v9, v56, vcc
	v_add_u32_e32 v6, 20, v32
	v_cndmask_b32_e32 v24, v7, v33, vcc
	v_lshlrev_b64 v[6:7], v6, -1
	v_lshrrev_b64 v[16:17], v32, v[56:57]
	v_not_b32_e32 v7, v7
	v_not_b32_e32 v6, v6
	v_add_u32_e32 v8, 19, v32
	v_lshrrev_b32_e32 v33, 23, v16
	v_and_b32_e32 v7, 0, v7
	v_and_b32_e32 v6, v56, v6
	v_lshlrev_b64 v[8:9], v8, 1
	v_add3_u32 v38, v32, v24, v33
	v_bfe_u32 v32, v16, 20, 1
	v_add_u32_e32 v32, -1, v32
	v_cmp_eq_u64_e32 vcc, v[6:7], v[8:9]
	v_cndmask_b32_e32 v6, 0, v32, vcc
	v_add_u32_e32 v6, v6, v16
	v_and_b32_e32 v6, 0xfffff, v6
	v_add_co_u32_e32 v16, vcc, v6, v16
	v_add_u32_e32 v24, 6, v38
	v_addc_co_u32_e32 v17, vcc, 0, v17, vcc
	v_cmp_ne_u32_e32 vcc, 0, v24
                                        ; implicit-def: $vgpr48
	s_and_saveexec_b64 s[22:23], vcc
	s_xor_b64 s[22:23], exec, s[22:23]
; %bb.1333:                             ;   in Loop: Header=BB6_1289 Depth=2
	v_add_u32_e32 v6, 7, v38
	v_cmp_lt_u64_e32 vcc, s[48:49], v[16:17]
	v_cndmask_b32_e32 v48, v24, v6, vcc
	v_cndmask_b32_e64 v6, 0, 1, vcc
	v_lshrrev_b64 v[16:17], v6, v[16:17]
; %bb.1334:                             ;   in Loop: Header=BB6_1289 Depth=2
	s_andn2_saveexec_b64 s[22:23], s[22:23]
; %bb.1335:                             ;   in Loop: Header=BB6_1289 Depth=2
	v_bfe_u32 v48, v16, 23, 1
; %bb.1336:                             ;   in Loop: Header=BB6_1289 Depth=2
	s_or_b64 exec, exec, s[22:23]
	v_lshrrev_b64 v[6:7], 20, v[16:17]
	v_cmp_gt_i32_e32 vcc, 16, v48
	v_cndmask_b32_e32 v17, 0, v7, vcc
	v_cndmask_b32_e32 v16, 7, v6, vcc
	v_cmp_ne_u32_e32 vcc, 0, v48
	v_cmp_ne_u64_e64 s[22:23], 0, v[16:17]
	s_or_b64 s[22:23], vcc, s[22:23]
                                        ; implicit-def: $vgpr24
	s_mov_b64 vcc, exec
	s_and_b64 s[64:65], vcc, s[22:23]
	s_xor_b64 s[22:23], s[64:65], vcc
	v_mov_b32_e32 v33, 0xffffff82
	s_mov_b64 exec, s[64:65]
; %bb.1337:                             ;   in Loop: Header=BB6_1289 Depth=2
	v_min_i32_e32 v6, 15, v48
	v_lshl_or_b32 v6, v6, 3, v20
	v_and_or_b32 v24, v16, 7, v6
                                        ; implicit-def: $vgpr20
; %bb.1338:                             ;   in Loop: Header=BB6_1289 Depth=2
	s_andn2_saveexec_b64 s[22:23], s[22:23]
; %bb.1339:                             ;   in Loop: Header=BB6_1289 Depth=2
	v_mov_b32_e32 v24, v20
; %bb.1340:                             ;   in Loop: Header=BB6_1289 Depth=2
	s_or_b64 exec, exec, s[22:23]
.LBB6_1341:                             ;   in Loop: Header=BB6_1289 Depth=2
	s_or_b64 exec, exec, s[62:63]
.LBB6_1342:                             ;   in Loop: Header=BB6_1289 Depth=2
	s_andn2_saveexec_b64 s[22:23], s[60:61]
	s_or_b64 exec, exec, s[22:23]
                                        ; implicit-def: $vgpr16
.LBB6_1343:                             ;   in Loop: Header=BB6_1289 Depth=2
	s_andn2_saveexec_b64 s[22:23], s[58:59]
; %bb.1344:                             ;   in Loop: Header=BB6_1289 Depth=2
	v_or_b32_sdwa v6, v16, s76 dst_sel:DWORD dst_unused:UNUSED_PAD src0_sel:BYTE_3 src1_sel:DWORD
	v_cmp_eq_u64_e32 vcc, 0, v[56:57]
	v_cndmask_b32_e32 v24, v6, v24, vcc
; %bb.1345:                             ;   in Loop: Header=BB6_1289 Depth=2
	s_or_b64 exec, exec, s[22:23]
	v_and_b32_e32 v16, 0xff, v52
	v_cmp_ne_u16_e32 vcc, 0, v16
	v_mov_b32_e32 v17, 0
	v_mov_b32_e32 v20, 0
	s_and_saveexec_b64 s[22:23], vcc
	s_cbranch_execz .LBB6_1351
; %bb.1346:                             ;   in Loop: Header=BB6_1289 Depth=2
	v_cmp_ne_u16_e32 vcc, s75, v16
	v_bfrev_b32_e32 v20, 1
	s_and_saveexec_b64 s[58:59], vcc
	s_cbranch_execz .LBB6_1350
; %bb.1347:                             ;   in Loop: Header=BB6_1289 Depth=2
	v_and_b32_e32 v38, 0x7f, v52
	v_cmp_ne_u32_e32 vcc, s76, v38
	v_mov_b32_e32 v20, 0x7f800001
	s_and_saveexec_b64 s[60:61], vcc
	s_cbranch_execz .LBB6_1349
; %bb.1348:                             ;   in Loop: Header=BB6_1289 Depth=2
	v_and_b32_e32 v8, 7, v16
	v_ffbh_u32_e32 v6, v8
	v_min_u32_e32 v20, 32, v6
	v_subrev_u32_e32 v6, 28, v20
	v_lshlrev_b64 v[6:7], v6, v[16:17]
	v_lshrrev_b32_e32 v9, 3, v38
	v_sub_u32_e32 v7, 29, v20
	v_and_b32_e32 v6, 7, v6
	v_cmp_gt_u32_e32 vcc, 8, v38
	v_cndmask_b32_e32 v7, v9, v7, vcc
	v_cndmask_b32_e32 v6, v8, v6, vcc
	v_lshlrev_b32_e32 v8, 24, v52
	v_lshlrev_b32_e32 v6, 20, v6
	v_and_b32_e32 v8, 0x80000000, v8
	v_lshl_add_u32 v7, v7, 23, v29
	v_or3_b32 v20, v8, v7, v6
.LBB6_1349:                             ;   in Loop: Header=BB6_1289 Depth=2
	s_or_b64 exec, exec, s[60:61]
.LBB6_1350:                             ;   in Loop: Header=BB6_1289 Depth=2
	s_or_b64 exec, exec, s[58:59]
.LBB6_1351:                             ;   in Loop: Header=BB6_1289 Depth=2
	s_or_b64 exec, exec, s[22:23]
	v_and_b32_e32 v16, 0xff, v27
	v_cmp_ne_u16_e32 vcc, 0, v16
	s_and_saveexec_b64 s[22:23], vcc
	s_cbranch_execz .LBB6_1357
; %bb.1352:                             ;   in Loop: Header=BB6_1289 Depth=2
	v_cmp_ne_u16_e32 vcc, s75, v16
	v_bfrev_b32_e32 v17, 1
	s_and_saveexec_b64 s[58:59], vcc
	s_cbranch_execz .LBB6_1356
; %bb.1353:                             ;   in Loop: Header=BB6_1289 Depth=2
	v_and_b32_e32 v38, 0x7f, v27
	v_cmp_ne_u32_e32 vcc, s76, v38
	v_mov_b32_e32 v17, 0x7f800001
	s_and_saveexec_b64 s[60:61], vcc
	s_cbranch_execz .LBB6_1355
; %bb.1354:                             ;   in Loop: Header=BB6_1289 Depth=2
	v_and_b32_e32 v8, 7, v16
	v_ffbh_u32_e32 v6, v8
	v_min_u32_e32 v17, 32, v6
	v_subrev_u32_e32 v6, 28, v17
	v_lshlrev_b64 v[6:7], v6, v[16:17]
	v_lshrrev_b32_e32 v9, 3, v38
	v_sub_u32_e32 v7, 29, v17
	v_and_b32_e32 v6, 7, v6
	v_cmp_gt_u32_e32 vcc, 8, v38
	v_cndmask_b32_e32 v7, v9, v7, vcc
	v_cndmask_b32_e32 v6, v8, v6, vcc
	v_lshlrev_b32_e32 v8, 24, v27
	v_lshlrev_b32_e32 v6, 20, v6
	v_and_b32_e32 v8, 0x80000000, v8
	v_lshl_add_u32 v7, v7, 23, v29
	v_or3_b32 v17, v8, v7, v6
.LBB6_1355:                             ;   in Loop: Header=BB6_1289 Depth=2
	s_or_b64 exec, exec, s[60:61]
.LBB6_1356:                             ;   in Loop: Header=BB6_1289 Depth=2
	s_or_b64 exec, exec, s[58:59]
.LBB6_1357:                             ;   in Loop: Header=BB6_1289 Depth=2
	s_or_b64 exec, exec, s[22:23]
	v_add_f32_e32 v16, v20, v17
	v_and_b32_sdwa v20, v16, s75 dst_sel:DWORD dst_unused:UNUSED_PAD src0_sel:BYTE_3 src1_sel:DWORD
	v_and_b32_e32 v6, 0x7f800000, v16
	v_mov_b32_e32 v7, v57
	v_and_b32_e32 v56, 0x7fffff, v16
	v_or_b32_e32 v27, 0x7e, v20
	v_cmp_ne_u64_e32 vcc, s[42:43], v[6:7]
	s_and_saveexec_b64 s[22:23], vcc
	s_xor_b64 s[58:59], exec, s[22:23]
	s_cbranch_execz .LBB6_1371
; %bb.1358:                             ;   in Loop: Header=BB6_1289 Depth=2
	v_and_b32_e32 v6, 0x7fffffff, v16
	v_mov_b32_e32 v7, v57
	v_cmp_gt_u64_e32 vcc, s[44:45], v[6:7]
	s_and_saveexec_b64 s[22:23], vcc
	s_xor_b64 s[60:61], exec, s[22:23]
	s_cbranch_execz .LBB6_1370
; %bb.1359:                             ;   in Loop: Header=BB6_1289 Depth=2
	v_cmp_ne_u32_e32 vcc, 0, v16
	v_mov_b32_e32 v27, 0
	s_and_saveexec_b64 s[62:63], vcc
	s_cbranch_execz .LBB6_1369
; %bb.1360:                             ;   in Loop: Header=BB6_1289 Depth=2
	v_bfe_u32 v6, v16, 23, 8
	v_sub_u32_e32 v8, 0x79, v6
	v_cmp_gt_u32_e32 vcc, s77, v6
	v_add_u32_e32 v7, 0xffffff81, v6
	v_cndmask_b32_e32 v8, 0, v8, vcc
	v_cmp_eq_u32_e32 vcc, 0, v6
	v_mov_b32_e32 v6, 0x78
	v_or_b32_e32 v9, 0x800000, v56
	v_cndmask_b32_e32 v32, v8, v6, vcc
	v_cndmask_b32_e32 v56, v9, v56, vcc
	v_add_u32_e32 v6, 20, v32
	v_cndmask_b32_e32 v27, v7, v33, vcc
	v_lshlrev_b64 v[6:7], v6, -1
	v_lshrrev_b64 v[16:17], v32, v[56:57]
	v_not_b32_e32 v7, v7
	v_not_b32_e32 v6, v6
	v_add_u32_e32 v8, 19, v32
	v_lshrrev_b32_e32 v33, 23, v16
	v_and_b32_e32 v7, 0, v7
	v_and_b32_e32 v6, v56, v6
	v_lshlrev_b64 v[8:9], v8, 1
	v_add3_u32 v38, v32, v27, v33
	v_bfe_u32 v32, v16, 20, 1
	v_add_u32_e32 v32, -1, v32
	v_cmp_eq_u64_e32 vcc, v[6:7], v[8:9]
	v_cndmask_b32_e32 v6, 0, v32, vcc
	v_add_u32_e32 v6, v6, v16
	v_and_b32_e32 v6, 0xfffff, v6
	v_add_co_u32_e32 v16, vcc, v6, v16
	v_add_u32_e32 v27, 6, v38
	v_addc_co_u32_e32 v17, vcc, 0, v17, vcc
	v_cmp_ne_u32_e32 vcc, 0, v27
                                        ; implicit-def: $vgpr48
	s_and_saveexec_b64 s[22:23], vcc
	s_xor_b64 s[22:23], exec, s[22:23]
; %bb.1361:                             ;   in Loop: Header=BB6_1289 Depth=2
	v_add_u32_e32 v6, 7, v38
	v_cmp_lt_u64_e32 vcc, s[48:49], v[16:17]
	v_cndmask_b32_e32 v48, v27, v6, vcc
	v_cndmask_b32_e64 v6, 0, 1, vcc
	v_lshrrev_b64 v[16:17], v6, v[16:17]
; %bb.1362:                             ;   in Loop: Header=BB6_1289 Depth=2
	s_andn2_saveexec_b64 s[22:23], s[22:23]
; %bb.1363:                             ;   in Loop: Header=BB6_1289 Depth=2
	v_bfe_u32 v48, v16, 23, 1
; %bb.1364:                             ;   in Loop: Header=BB6_1289 Depth=2
	s_or_b64 exec, exec, s[22:23]
	v_lshrrev_b64 v[6:7], 20, v[16:17]
	v_cmp_gt_i32_e32 vcc, 16, v48
	v_cndmask_b32_e32 v17, 0, v7, vcc
	v_cndmask_b32_e32 v16, 7, v6, vcc
	v_cmp_ne_u32_e32 vcc, 0, v48
	v_cmp_ne_u64_e64 s[22:23], 0, v[16:17]
	s_or_b64 s[22:23], vcc, s[22:23]
                                        ; implicit-def: $vgpr27
	s_mov_b64 vcc, exec
	s_and_b64 s[64:65], vcc, s[22:23]
	s_xor_b64 s[22:23], s[64:65], vcc
	v_mov_b32_e32 v33, 0xffffff82
	s_mov_b64 exec, s[64:65]
; %bb.1365:                             ;   in Loop: Header=BB6_1289 Depth=2
	v_min_i32_e32 v6, 15, v48
	v_lshl_or_b32 v6, v6, 3, v20
	v_and_or_b32 v27, v16, 7, v6
                                        ; implicit-def: $vgpr20
; %bb.1366:                             ;   in Loop: Header=BB6_1289 Depth=2
	s_andn2_saveexec_b64 s[22:23], s[22:23]
; %bb.1367:                             ;   in Loop: Header=BB6_1289 Depth=2
	v_mov_b32_e32 v27, v20
; %bb.1368:                             ;   in Loop: Header=BB6_1289 Depth=2
	s_or_b64 exec, exec, s[22:23]
.LBB6_1369:                             ;   in Loop: Header=BB6_1289 Depth=2
	s_or_b64 exec, exec, s[62:63]
.LBB6_1370:                             ;   in Loop: Header=BB6_1289 Depth=2
	s_andn2_saveexec_b64 s[22:23], s[60:61]
	s_or_b64 exec, exec, s[22:23]
                                        ; implicit-def: $vgpr16
.LBB6_1371:                             ;   in Loop: Header=BB6_1289 Depth=2
	s_andn2_saveexec_b64 s[22:23], s[58:59]
; %bb.1372:                             ;   in Loop: Header=BB6_1289 Depth=2
	v_or_b32_sdwa v6, v16, s76 dst_sel:DWORD dst_unused:UNUSED_PAD src0_sel:BYTE_3 src1_sel:DWORD
	v_cmp_eq_u64_e32 vcc, 0, v[56:57]
	v_cndmask_b32_e32 v27, v6, v27, vcc
; %bb.1373:                             ;   in Loop: Header=BB6_1289 Depth=2
	s_or_b64 exec, exec, s[22:23]
	v_and_b32_e32 v16, 0xff, v5
	v_cmp_ne_u16_e32 vcc, 0, v16
	v_mov_b32_e32 v17, 0
	v_mov_b32_e32 v20, 0
	s_and_saveexec_b64 s[22:23], vcc
	s_cbranch_execz .LBB6_1379
; %bb.1374:                             ;   in Loop: Header=BB6_1289 Depth=2
	v_cmp_ne_u16_e32 vcc, s75, v16
	v_bfrev_b32_e32 v20, 1
	s_and_saveexec_b64 s[58:59], vcc
	s_cbranch_execz .LBB6_1378
; %bb.1375:                             ;   in Loop: Header=BB6_1289 Depth=2
	v_and_b32_e32 v38, 0x7f, v5
	v_cmp_ne_u32_e32 vcc, s76, v38
	v_mov_b32_e32 v20, 0x7f800001
	s_and_saveexec_b64 s[60:61], vcc
	s_cbranch_execz .LBB6_1377
; %bb.1376:                             ;   in Loop: Header=BB6_1289 Depth=2
	v_and_b32_e32 v8, 7, v16
	v_ffbh_u32_e32 v6, v8
	v_min_u32_e32 v20, 32, v6
	v_subrev_u32_e32 v6, 28, v20
	v_lshlrev_b64 v[6:7], v6, v[16:17]
	v_lshrrev_b32_e32 v9, 3, v38
	v_sub_u32_e32 v7, 29, v20
	v_and_b32_e32 v6, 7, v6
	v_cmp_gt_u32_e32 vcc, 8, v38
	v_cndmask_b32_e32 v7, v9, v7, vcc
	v_cndmask_b32_e32 v6, v8, v6, vcc
	v_lshlrev_b32_e32 v5, 24, v5
	v_lshlrev_b32_e32 v6, 20, v6
	v_and_b32_e32 v5, 0x80000000, v5
	v_lshl_add_u32 v7, v7, 23, v29
	v_or3_b32 v20, v5, v7, v6
.LBB6_1377:                             ;   in Loop: Header=BB6_1289 Depth=2
	s_or_b64 exec, exec, s[60:61]
.LBB6_1378:                             ;   in Loop: Header=BB6_1289 Depth=2
	s_or_b64 exec, exec, s[58:59]
.LBB6_1379:                             ;   in Loop: Header=BB6_1289 Depth=2
	s_or_b64 exec, exec, s[22:23]
	v_and_b32_e32 v16, 0xff, v4
	v_cmp_ne_u16_e32 vcc, 0, v16
	s_and_saveexec_b64 s[22:23], vcc
	s_cbranch_execz .LBB6_1385
; %bb.1380:                             ;   in Loop: Header=BB6_1289 Depth=2
	v_cmp_ne_u16_e32 vcc, s75, v16
	v_bfrev_b32_e32 v17, 1
	s_and_saveexec_b64 s[58:59], vcc
	s_cbranch_execz .LBB6_1384
; %bb.1381:                             ;   in Loop: Header=BB6_1289 Depth=2
	v_and_b32_e32 v5, 0x7f, v4
	v_cmp_ne_u32_e32 vcc, s76, v5
	v_mov_b32_e32 v17, 0x7f800001
	s_and_saveexec_b64 s[60:61], vcc
	s_cbranch_execz .LBB6_1383
; %bb.1382:                             ;   in Loop: Header=BB6_1289 Depth=2
	v_and_b32_e32 v8, 7, v16
	v_ffbh_u32_e32 v6, v8
	v_min_u32_e32 v17, 32, v6
	v_subrev_u32_e32 v6, 28, v17
	v_lshlrev_b64 v[6:7], v6, v[16:17]
	v_lshrrev_b32_e32 v9, 3, v5
	v_sub_u32_e32 v7, 29, v17
	v_and_b32_e32 v6, 7, v6
	v_cmp_gt_u32_e32 vcc, 8, v5
	v_cndmask_b32_e32 v5, v9, v7, vcc
	v_cndmask_b32_e32 v6, v8, v6, vcc
	v_lshlrev_b32_e32 v4, 24, v4
	v_lshlrev_b32_e32 v6, 20, v6
	v_and_b32_e32 v4, 0x80000000, v4
	v_lshl_add_u32 v5, v5, 23, v29
	v_or3_b32 v17, v4, v5, v6
.LBB6_1383:                             ;   in Loop: Header=BB6_1289 Depth=2
	s_or_b64 exec, exec, s[60:61]
.LBB6_1384:                             ;   in Loop: Header=BB6_1289 Depth=2
	s_or_b64 exec, exec, s[58:59]
.LBB6_1385:                             ;   in Loop: Header=BB6_1289 Depth=2
	s_or_b64 exec, exec, s[22:23]
	v_add_f32_e32 v5, v20, v17
	v_and_b32_sdwa v4, v5, s75 dst_sel:DWORD dst_unused:UNUSED_PAD src0_sel:BYTE_3 src1_sel:DWORD
	v_and_b32_e32 v6, 0x7f800000, v5
	v_mov_b32_e32 v7, v57
	v_and_b32_e32 v56, 0x7fffff, v5
	v_or_b32_e32 v52, 0x7e, v4
	v_cmp_ne_u64_e32 vcc, s[42:43], v[6:7]
	s_and_saveexec_b64 s[22:23], vcc
	s_xor_b64 s[58:59], exec, s[22:23]
	s_cbranch_execz .LBB6_1399
; %bb.1386:                             ;   in Loop: Header=BB6_1289 Depth=2
	v_and_b32_e32 v6, 0x7fffffff, v5
	v_mov_b32_e32 v7, v57
	v_cmp_gt_u64_e32 vcc, s[44:45], v[6:7]
	s_and_saveexec_b64 s[22:23], vcc
	s_xor_b64 s[60:61], exec, s[22:23]
	s_cbranch_execz .LBB6_1398
; %bb.1387:                             ;   in Loop: Header=BB6_1289 Depth=2
	v_cmp_ne_u32_e32 vcc, 0, v5
	v_mov_b32_e32 v52, 0
	s_and_saveexec_b64 s[62:63], vcc
	s_cbranch_execz .LBB6_1397
; %bb.1388:                             ;   in Loop: Header=BB6_1289 Depth=2
	v_bfe_u32 v5, v5, 23, 8
	v_sub_u32_e32 v7, 0x79, v5
	v_cmp_gt_u32_e32 vcc, s77, v5
	v_add_u32_e32 v6, 0xffffff81, v5
	v_cndmask_b32_e32 v7, 0, v7, vcc
	v_cmp_eq_u32_e32 vcc, 0, v5
	v_cndmask_b32_e32 v5, v6, v33, vcc
	v_mov_b32_e32 v6, 0x78
	v_or_b32_e32 v8, 0x800000, v56
	v_cndmask_b32_e32 v20, v7, v6, vcc
	v_cndmask_b32_e32 v56, v8, v56, vcc
	v_add_u32_e32 v6, 20, v20
	v_lshlrev_b64 v[6:7], v6, -1
	v_lshrrev_b64 v[16:17], v20, v[56:57]
	v_not_b32_e32 v7, v7
	v_not_b32_e32 v6, v6
	v_add_u32_e32 v8, 19, v20
	v_lshrrev_b32_e32 v32, 23, v16
	v_and_b32_e32 v7, 0, v7
	v_and_b32_e32 v6, v56, v6
	v_lshlrev_b64 v[8:9], v8, 1
	v_add3_u32 v38, v20, v5, v32
	v_bfe_u32 v5, v16, 20, 1
	v_add_u32_e32 v5, -1, v5
	v_cmp_eq_u64_e32 vcc, v[6:7], v[8:9]
	v_cndmask_b32_e32 v5, 0, v5, vcc
	v_add_u32_e32 v5, v5, v16
	v_and_b32_e32 v5, 0xfffff, v5
	v_add_co_u32_e32 v16, vcc, v5, v16
	v_add_u32_e32 v20, 6, v38
	v_addc_co_u32_e32 v17, vcc, 0, v17, vcc
	v_cmp_ne_u32_e32 vcc, 0, v20
                                        ; implicit-def: $vgpr5
	s_and_saveexec_b64 s[22:23], vcc
	s_xor_b64 s[22:23], exec, s[22:23]
; %bb.1389:                             ;   in Loop: Header=BB6_1289 Depth=2
	v_cmp_lt_u64_e32 vcc, s[48:49], v[16:17]
	v_add_u32_e32 v5, 7, v38
	v_cndmask_b32_e64 v6, 0, 1, vcc
	v_cndmask_b32_e32 v5, v20, v5, vcc
	v_lshrrev_b64 v[16:17], v6, v[16:17]
; %bb.1390:                             ;   in Loop: Header=BB6_1289 Depth=2
	s_andn2_saveexec_b64 s[22:23], s[22:23]
; %bb.1391:                             ;   in Loop: Header=BB6_1289 Depth=2
	v_bfe_u32 v5, v16, 23, 1
; %bb.1392:                             ;   in Loop: Header=BB6_1289 Depth=2
	s_or_b64 exec, exec, s[22:23]
	v_lshrrev_b64 v[6:7], 20, v[16:17]
	v_cmp_gt_i32_e32 vcc, 16, v5
	v_cndmask_b32_e32 v17, 0, v7, vcc
	v_cndmask_b32_e32 v16, 7, v6, vcc
	v_cmp_ne_u32_e32 vcc, 0, v5
	v_cmp_ne_u64_e64 s[22:23], 0, v[16:17]
	s_or_b64 s[22:23], vcc, s[22:23]
                                        ; implicit-def: $vgpr52
	s_and_saveexec_b64 vcc, s[22:23]
	s_xor_b64 s[22:23], exec, vcc
; %bb.1393:                             ;   in Loop: Header=BB6_1289 Depth=2
	v_min_i32_e32 v5, 15, v5
	v_lshl_or_b32 v4, v5, 3, v4
	v_and_or_b32 v52, v16, 7, v4
                                        ; implicit-def: $vgpr4
; %bb.1394:                             ;   in Loop: Header=BB6_1289 Depth=2
	s_andn2_saveexec_b64 s[22:23], s[22:23]
; %bb.1395:                             ;   in Loop: Header=BB6_1289 Depth=2
	v_mov_b32_e32 v52, v4
; %bb.1396:                             ;   in Loop: Header=BB6_1289 Depth=2
	s_or_b64 exec, exec, s[22:23]
.LBB6_1397:                             ;   in Loop: Header=BB6_1289 Depth=2
	s_or_b64 exec, exec, s[62:63]
.LBB6_1398:                             ;   in Loop: Header=BB6_1289 Depth=2
	s_andn2_saveexec_b64 s[22:23], s[60:61]
	s_or_b64 exec, exec, s[22:23]
                                        ; implicit-def: $vgpr5
.LBB6_1399:                             ;   in Loop: Header=BB6_1289 Depth=2
	s_andn2_saveexec_b64 s[22:23], s[58:59]
; %bb.1400:                             ;   in Loop: Header=BB6_1289 Depth=2
	v_or_b32_sdwa v4, v5, s76 dst_sel:DWORD dst_unused:UNUSED_PAD src0_sel:BYTE_3 src1_sel:DWORD
	v_cmp_eq_u64_e32 vcc, 0, v[56:57]
	v_cndmask_b32_e32 v52, v4, v52, vcc
; %bb.1401:                             ;   in Loop: Header=BB6_1289 Depth=2
	s_or_b64 exec, exec, s[22:23]
	v_and_b32_e32 v16, 0xff, v51
	v_cmp_ne_u16_e32 vcc, 0, v16
	v_mov_b32_e32 v4, 0
	v_mov_b32_e32 v5, 0
	s_and_saveexec_b64 s[22:23], vcc
	s_cbranch_execz .LBB6_1407
; %bb.1402:                             ;   in Loop: Header=BB6_1289 Depth=2
	v_cmp_ne_u16_e32 vcc, s75, v16
	v_bfrev_b32_e32 v5, 1
	s_and_saveexec_b64 s[58:59], vcc
	s_cbranch_execz .LBB6_1406
; %bb.1403:                             ;   in Loop: Header=BB6_1289 Depth=2
	v_and_b32_e32 v17, 0x7f, v51
	v_cmp_ne_u32_e32 vcc, s76, v17
	v_mov_b32_e32 v5, 0x7f800001
	s_and_saveexec_b64 s[60:61], vcc
	s_cbranch_execz .LBB6_1405
; %bb.1404:                             ;   in Loop: Header=BB6_1289 Depth=2
	v_and_b32_e32 v5, 7, v16
	v_ffbh_u32_e32 v6, v5
	v_min_u32_e32 v9, 32, v6
	v_subrev_u32_e32 v6, 28, v9
	v_lshlrev_b64 v[6:7], v6, v[16:17]
	v_lshrrev_b32_e32 v8, 3, v17
	v_sub_u32_e32 v7, 29, v9
	v_and_b32_e32 v6, 7, v6
	v_cmp_gt_u32_e32 vcc, 8, v17
	v_cndmask_b32_e32 v7, v8, v7, vcc
	v_cndmask_b32_e32 v5, v5, v6, vcc
	v_lshlrev_b32_e32 v6, 24, v51
	v_lshlrev_b32_e32 v5, 20, v5
	v_and_b32_e32 v6, 0x80000000, v6
	v_lshl_add_u32 v7, v7, 23, v29
	v_or3_b32 v5, v6, v7, v5
.LBB6_1405:                             ;   in Loop: Header=BB6_1289 Depth=2
	s_or_b64 exec, exec, s[60:61]
.LBB6_1406:                             ;   in Loop: Header=BB6_1289 Depth=2
	s_or_b64 exec, exec, s[58:59]
.LBB6_1407:                             ;   in Loop: Header=BB6_1289 Depth=2
	s_or_b64 exec, exec, s[22:23]
	v_and_b32_e32 v16, 0xff, v2
	v_cmp_ne_u16_e32 vcc, 0, v16
	s_and_saveexec_b64 s[22:23], vcc
	s_cbranch_execz .LBB6_1413
; %bb.1408:                             ;   in Loop: Header=BB6_1289 Depth=2
	v_cmp_ne_u16_e32 vcc, s75, v16
	v_bfrev_b32_e32 v4, 1
	s_and_saveexec_b64 s[58:59], vcc
	s_cbranch_execz .LBB6_1412
; %bb.1409:                             ;   in Loop: Header=BB6_1289 Depth=2
	v_and_b32_e32 v17, 0x7f, v2
	v_cmp_ne_u32_e32 vcc, s76, v17
	v_mov_b32_e32 v4, 0x7f800001
	s_and_saveexec_b64 s[60:61], vcc
	s_cbranch_execz .LBB6_1411
; %bb.1410:                             ;   in Loop: Header=BB6_1289 Depth=2
	v_and_b32_e32 v4, 7, v16
	v_ffbh_u32_e32 v6, v4
	v_min_u32_e32 v9, 32, v6
	v_subrev_u32_e32 v6, 28, v9
	v_lshlrev_b64 v[6:7], v6, v[16:17]
	v_lshrrev_b32_e32 v8, 3, v17
	v_sub_u32_e32 v7, 29, v9
	v_and_b32_e32 v6, 7, v6
	v_cmp_gt_u32_e32 vcc, 8, v17
	v_cndmask_b32_e32 v7, v8, v7, vcc
	v_cndmask_b32_e32 v4, v4, v6, vcc
	v_lshlrev_b32_e32 v2, 24, v2
	v_lshlrev_b32_e32 v4, 20, v4
	v_and_b32_e32 v2, 0x80000000, v2
	v_lshl_add_u32 v6, v7, 23, v29
	v_or3_b32 v4, v2, v6, v4
.LBB6_1411:                             ;   in Loop: Header=BB6_1289 Depth=2
	s_or_b64 exec, exec, s[60:61]
.LBB6_1412:                             ;   in Loop: Header=BB6_1289 Depth=2
	s_or_b64 exec, exec, s[58:59]
.LBB6_1413:                             ;   in Loop: Header=BB6_1289 Depth=2
	s_or_b64 exec, exec, s[22:23]
	v_add_f32_e32 v5, v5, v4
	v_and_b32_sdwa v4, v5, s75 dst_sel:DWORD dst_unused:UNUSED_PAD src0_sel:BYTE_3 src1_sel:DWORD
	v_and_b32_e32 v6, 0x7f800000, v5
	v_mov_b32_e32 v7, v57
	v_and_b32_e32 v56, 0x7fffff, v5
	v_or_b32_e32 v2, 0x7e, v4
	v_cmp_ne_u64_e32 vcc, s[42:43], v[6:7]
	s_and_saveexec_b64 s[22:23], vcc
	s_xor_b64 s[58:59], exec, s[22:23]
	s_cbranch_execz .LBB6_1427
; %bb.1414:                             ;   in Loop: Header=BB6_1289 Depth=2
	v_and_b32_e32 v6, 0x7fffffff, v5
	v_mov_b32_e32 v7, v57
	v_cmp_gt_u64_e32 vcc, s[44:45], v[6:7]
	s_and_saveexec_b64 s[22:23], vcc
	s_xor_b64 s[60:61], exec, s[22:23]
	s_cbranch_execz .LBB6_1426
; %bb.1415:                             ;   in Loop: Header=BB6_1289 Depth=2
	v_cmp_ne_u32_e32 vcc, 0, v5
	v_mov_b32_e32 v2, 0
	s_and_saveexec_b64 s[62:63], vcc
	s_cbranch_execz .LBB6_1425
; %bb.1416:                             ;   in Loop: Header=BB6_1289 Depth=2
	v_bfe_u32 v2, v5, 23, 8
	v_sub_u32_e32 v6, 0x79, v2
	v_cmp_gt_u32_e32 vcc, s77, v2
	v_add_u32_e32 v5, 0xffffff81, v2
	v_cndmask_b32_e32 v6, 0, v6, vcc
	v_cmp_eq_u32_e32 vcc, 0, v2
	v_cndmask_b32_e32 v2, v5, v33, vcc
	v_mov_b32_e32 v5, 0x78
	v_or_b32_e32 v7, 0x800000, v56
	v_cndmask_b32_e32 v5, v6, v5, vcc
	v_cndmask_b32_e32 v56, v7, v56, vcc
	v_add_u32_e32 v6, 20, v5
	v_lshlrev_b64 v[6:7], v6, -1
	v_lshrrev_b64 v[16:17], v5, v[56:57]
	v_not_b32_e32 v7, v7
	v_not_b32_e32 v6, v6
	v_add_u32_e32 v8, 19, v5
	v_lshrrev_b32_e32 v20, 23, v16
	v_and_b32_e32 v7, 0, v7
	v_and_b32_e32 v6, v56, v6
	v_lshlrev_b64 v[8:9], v8, 1
	v_add3_u32 v20, v5, v2, v20
	v_bfe_u32 v5, v16, 20, 1
	v_add_u32_e32 v5, -1, v5
	v_cmp_eq_u64_e32 vcc, v[6:7], v[8:9]
	v_cndmask_b32_e32 v5, 0, v5, vcc
	v_add_u32_e32 v5, v5, v16
	v_and_b32_e32 v5, 0xfffff, v5
	v_add_co_u32_e32 v16, vcc, v5, v16
	v_add_u32_e32 v2, 6, v20
	v_addc_co_u32_e32 v17, vcc, 0, v17, vcc
	v_cmp_ne_u32_e32 vcc, 0, v2
                                        ; implicit-def: $vgpr5
	s_and_saveexec_b64 s[22:23], vcc
	s_xor_b64 s[22:23], exec, s[22:23]
; %bb.1417:                             ;   in Loop: Header=BB6_1289 Depth=2
	v_add_u32_e32 v5, 7, v20
	v_cmp_lt_u64_e32 vcc, s[48:49], v[16:17]
	v_cndmask_b32_e32 v5, v2, v5, vcc
	v_cndmask_b32_e64 v2, 0, 1, vcc
	v_lshrrev_b64 v[16:17], v2, v[16:17]
; %bb.1418:                             ;   in Loop: Header=BB6_1289 Depth=2
	s_andn2_saveexec_b64 s[22:23], s[22:23]
; %bb.1419:                             ;   in Loop: Header=BB6_1289 Depth=2
	v_bfe_u32 v5, v16, 23, 1
; %bb.1420:                             ;   in Loop: Header=BB6_1289 Depth=2
	s_or_b64 exec, exec, s[22:23]
	v_lshrrev_b64 v[6:7], 20, v[16:17]
	v_cmp_gt_i32_e32 vcc, 16, v5
	v_cndmask_b32_e32 v17, 0, v7, vcc
	v_cndmask_b32_e32 v16, 7, v6, vcc
	v_cmp_ne_u32_e32 vcc, 0, v5
	v_cmp_ne_u64_e64 s[22:23], 0, v[16:17]
	s_or_b64 s[22:23], vcc, s[22:23]
                                        ; implicit-def: $vgpr2
	s_and_saveexec_b64 vcc, s[22:23]
	s_xor_b64 s[22:23], exec, vcc
; %bb.1421:                             ;   in Loop: Header=BB6_1289 Depth=2
	v_min_i32_e32 v2, 15, v5
	v_lshl_or_b32 v2, v2, 3, v4
	v_and_or_b32 v2, v16, 7, v2
                                        ; implicit-def: $vgpr4
; %bb.1422:                             ;   in Loop: Header=BB6_1289 Depth=2
	s_andn2_saveexec_b64 s[22:23], s[22:23]
; %bb.1423:                             ;   in Loop: Header=BB6_1289 Depth=2
	v_mov_b32_e32 v2, v4
; %bb.1424:                             ;   in Loop: Header=BB6_1289 Depth=2
	s_or_b64 exec, exec, s[22:23]
.LBB6_1425:                             ;   in Loop: Header=BB6_1289 Depth=2
	s_or_b64 exec, exec, s[62:63]
.LBB6_1426:                             ;   in Loop: Header=BB6_1289 Depth=2
	s_andn2_saveexec_b64 s[22:23], s[60:61]
	s_or_b64 exec, exec, s[22:23]
                                        ; implicit-def: $vgpr5
.LBB6_1427:                             ;   in Loop: Header=BB6_1289 Depth=2
	s_andn2_saveexec_b64 s[22:23], s[58:59]
; %bb.1428:                             ;   in Loop: Header=BB6_1289 Depth=2
	v_or_b32_sdwa v4, v5, s76 dst_sel:DWORD dst_unused:UNUSED_PAD src0_sel:BYTE_3 src1_sel:DWORD
	v_cmp_eq_u64_e32 vcc, 0, v[56:57]
	v_cndmask_b32_e32 v2, v4, v2, vcc
; %bb.1429:                             ;   in Loop: Header=BB6_1289 Depth=2
	s_or_b64 exec, exec, s[22:23]
	v_and_b32_e32 v16, 0xff, v53
	v_cmp_ne_u16_e32 vcc, 0, v16
	v_mov_b32_e32 v4, 0
	v_mov_b32_e32 v5, 0
	s_and_saveexec_b64 s[22:23], vcc
	s_cbranch_execz .LBB6_1435
; %bb.1430:                             ;   in Loop: Header=BB6_1289 Depth=2
	v_cmp_ne_u16_e32 vcc, s75, v16
	v_bfrev_b32_e32 v5, 1
	s_and_saveexec_b64 s[58:59], vcc
	s_cbranch_execz .LBB6_1434
; %bb.1431:                             ;   in Loop: Header=BB6_1289 Depth=2
	v_and_b32_e32 v17, 0x7f, v53
	v_cmp_ne_u32_e32 vcc, s76, v17
	v_mov_b32_e32 v5, 0x7f800001
	s_and_saveexec_b64 s[60:61], vcc
	s_cbranch_execz .LBB6_1433
; %bb.1432:                             ;   in Loop: Header=BB6_1289 Depth=2
	v_and_b32_e32 v5, 7, v16
	v_ffbh_u32_e32 v6, v5
	v_min_u32_e32 v9, 32, v6
	v_subrev_u32_e32 v6, 28, v9
	v_lshlrev_b64 v[6:7], v6, v[16:17]
	v_lshrrev_b32_e32 v8, 3, v17
	v_sub_u32_e32 v7, 29, v9
	v_and_b32_e32 v6, 7, v6
	v_cmp_gt_u32_e32 vcc, 8, v17
	v_cndmask_b32_e32 v7, v8, v7, vcc
	v_cndmask_b32_e32 v5, v5, v6, vcc
	v_lshlrev_b32_e32 v6, 24, v53
	v_lshlrev_b32_e32 v5, 20, v5
	v_and_b32_e32 v6, 0x80000000, v6
	v_lshl_add_u32 v7, v7, 23, v29
	v_or3_b32 v5, v6, v7, v5
.LBB6_1433:                             ;   in Loop: Header=BB6_1289 Depth=2
	s_or_b64 exec, exec, s[60:61]
.LBB6_1434:                             ;   in Loop: Header=BB6_1289 Depth=2
	s_or_b64 exec, exec, s[58:59]
.LBB6_1435:                             ;   in Loop: Header=BB6_1289 Depth=2
	s_or_b64 exec, exec, s[22:23]
	v_and_b32_e32 v16, 0xff, v50
	v_cmp_ne_u16_e32 vcc, 0, v16
	s_and_saveexec_b64 s[22:23], vcc
	s_cbranch_execz .LBB6_1441
; %bb.1436:                             ;   in Loop: Header=BB6_1289 Depth=2
	v_cmp_ne_u16_e32 vcc, s75, v16
	v_bfrev_b32_e32 v4, 1
	s_and_saveexec_b64 s[58:59], vcc
	s_cbranch_execz .LBB6_1440
; %bb.1437:                             ;   in Loop: Header=BB6_1289 Depth=2
	v_and_b32_e32 v17, 0x7f, v50
	v_cmp_ne_u32_e32 vcc, s76, v17
	v_mov_b32_e32 v4, 0x7f800001
	s_and_saveexec_b64 s[60:61], vcc
	s_cbranch_execz .LBB6_1439
; %bb.1438:                             ;   in Loop: Header=BB6_1289 Depth=2
	v_and_b32_e32 v4, 7, v16
	v_ffbh_u32_e32 v6, v4
	v_min_u32_e32 v9, 32, v6
	v_subrev_u32_e32 v6, 28, v9
	v_lshlrev_b64 v[6:7], v6, v[16:17]
	v_lshrrev_b32_e32 v8, 3, v17
	v_sub_u32_e32 v7, 29, v9
	v_and_b32_e32 v6, 7, v6
	v_cmp_gt_u32_e32 vcc, 8, v17
	v_cndmask_b32_e32 v7, v8, v7, vcc
	v_cndmask_b32_e32 v4, v4, v6, vcc
	v_lshlrev_b32_e32 v6, 24, v50
	v_lshlrev_b32_e32 v4, 20, v4
	v_and_b32_e32 v6, 0x80000000, v6
	v_lshl_add_u32 v7, v7, 23, v29
	v_or3_b32 v4, v6, v7, v4
.LBB6_1439:                             ;   in Loop: Header=BB6_1289 Depth=2
	s_or_b64 exec, exec, s[60:61]
.LBB6_1440:                             ;   in Loop: Header=BB6_1289 Depth=2
	s_or_b64 exec, exec, s[58:59]
.LBB6_1441:                             ;   in Loop: Header=BB6_1289 Depth=2
	s_or_b64 exec, exec, s[22:23]
	v_add_f32_e32 v5, v5, v4
	v_and_b32_sdwa v4, v5, s75 dst_sel:DWORD dst_unused:UNUSED_PAD src0_sel:BYTE_3 src1_sel:DWORD
	v_and_b32_e32 v6, 0x7f800000, v5
	v_mov_b32_e32 v7, v57
	v_and_b32_e32 v56, 0x7fffff, v5
	v_or_b32_e32 v53, 0x7e, v4
	v_cmp_ne_u64_e32 vcc, s[42:43], v[6:7]
	s_and_saveexec_b64 s[22:23], vcc
	s_xor_b64 s[58:59], exec, s[22:23]
	s_cbranch_execz .LBB6_1455
; %bb.1442:                             ;   in Loop: Header=BB6_1289 Depth=2
	v_and_b32_e32 v6, 0x7fffffff, v5
	v_mov_b32_e32 v7, v57
	v_cmp_gt_u64_e32 vcc, s[44:45], v[6:7]
	s_and_saveexec_b64 s[22:23], vcc
	s_xor_b64 s[60:61], exec, s[22:23]
	s_cbranch_execz .LBB6_1454
; %bb.1443:                             ;   in Loop: Header=BB6_1289 Depth=2
	v_cmp_ne_u32_e32 vcc, 0, v5
	v_mov_b32_e32 v53, 0
	s_and_saveexec_b64 s[62:63], vcc
	s_cbranch_execz .LBB6_1453
; %bb.1444:                             ;   in Loop: Header=BB6_1289 Depth=2
	v_bfe_u32 v5, v5, 23, 8
	v_sub_u32_e32 v7, 0x79, v5
	v_cmp_gt_u32_e32 vcc, s77, v5
	v_add_u32_e32 v6, 0xffffff81, v5
	v_cndmask_b32_e32 v7, 0, v7, vcc
	v_cmp_eq_u32_e32 vcc, 0, v5
	v_cndmask_b32_e32 v5, v6, v33, vcc
	v_mov_b32_e32 v6, 0x78
	v_or_b32_e32 v8, 0x800000, v56
	v_cndmask_b32_e32 v20, v7, v6, vcc
	v_cndmask_b32_e32 v56, v8, v56, vcc
	v_add_u32_e32 v6, 20, v20
	v_lshlrev_b64 v[6:7], v6, -1
	v_lshrrev_b64 v[16:17], v20, v[56:57]
	v_not_b32_e32 v7, v7
	v_not_b32_e32 v6, v6
	v_add_u32_e32 v8, 19, v20
	v_lshrrev_b32_e32 v32, 23, v16
	v_and_b32_e32 v7, 0, v7
	v_and_b32_e32 v6, v56, v6
	v_lshlrev_b64 v[8:9], v8, 1
	v_add3_u32 v38, v20, v5, v32
	v_bfe_u32 v5, v16, 20, 1
	v_add_u32_e32 v5, -1, v5
	v_cmp_eq_u64_e32 vcc, v[6:7], v[8:9]
	v_cndmask_b32_e32 v5, 0, v5, vcc
	v_add_u32_e32 v5, v5, v16
	v_and_b32_e32 v5, 0xfffff, v5
	v_add_co_u32_e32 v16, vcc, v5, v16
	v_add_u32_e32 v20, 6, v38
	v_addc_co_u32_e32 v17, vcc, 0, v17, vcc
	v_cmp_ne_u32_e32 vcc, 0, v20
                                        ; implicit-def: $vgpr5
	s_and_saveexec_b64 s[22:23], vcc
	s_xor_b64 s[22:23], exec, s[22:23]
; %bb.1445:                             ;   in Loop: Header=BB6_1289 Depth=2
	v_cmp_lt_u64_e32 vcc, s[48:49], v[16:17]
	v_add_u32_e32 v5, 7, v38
	v_cndmask_b32_e64 v6, 0, 1, vcc
	v_cndmask_b32_e32 v5, v20, v5, vcc
	v_lshrrev_b64 v[16:17], v6, v[16:17]
; %bb.1446:                             ;   in Loop: Header=BB6_1289 Depth=2
	s_andn2_saveexec_b64 s[22:23], s[22:23]
; %bb.1447:                             ;   in Loop: Header=BB6_1289 Depth=2
	v_bfe_u32 v5, v16, 23, 1
; %bb.1448:                             ;   in Loop: Header=BB6_1289 Depth=2
	s_or_b64 exec, exec, s[22:23]
	v_lshrrev_b64 v[6:7], 20, v[16:17]
	v_cmp_gt_i32_e32 vcc, 16, v5
	v_cndmask_b32_e32 v17, 0, v7, vcc
	v_cndmask_b32_e32 v16, 7, v6, vcc
	v_cmp_ne_u32_e32 vcc, 0, v5
	v_cmp_ne_u64_e64 s[22:23], 0, v[16:17]
	s_or_b64 s[22:23], vcc, s[22:23]
                                        ; implicit-def: $vgpr53
	s_and_saveexec_b64 vcc, s[22:23]
	s_xor_b64 s[22:23], exec, vcc
; %bb.1449:                             ;   in Loop: Header=BB6_1289 Depth=2
	v_min_i32_e32 v5, 15, v5
	v_lshl_or_b32 v4, v5, 3, v4
	v_and_or_b32 v53, v16, 7, v4
                                        ; implicit-def: $vgpr4
; %bb.1450:                             ;   in Loop: Header=BB6_1289 Depth=2
	s_andn2_saveexec_b64 s[22:23], s[22:23]
; %bb.1451:                             ;   in Loop: Header=BB6_1289 Depth=2
	v_mov_b32_e32 v53, v4
; %bb.1452:                             ;   in Loop: Header=BB6_1289 Depth=2
	s_or_b64 exec, exec, s[22:23]
.LBB6_1453:                             ;   in Loop: Header=BB6_1289 Depth=2
	s_or_b64 exec, exec, s[62:63]
.LBB6_1454:                             ;   in Loop: Header=BB6_1289 Depth=2
	s_andn2_saveexec_b64 s[22:23], s[60:61]
	s_or_b64 exec, exec, s[22:23]
                                        ; implicit-def: $vgpr5
.LBB6_1455:                             ;   in Loop: Header=BB6_1289 Depth=2
	s_andn2_saveexec_b64 s[22:23], s[58:59]
; %bb.1456:                             ;   in Loop: Header=BB6_1289 Depth=2
	v_or_b32_sdwa v4, v5, s76 dst_sel:DWORD dst_unused:UNUSED_PAD src0_sel:BYTE_3 src1_sel:DWORD
	v_cmp_eq_u64_e32 vcc, 0, v[56:57]
	v_cndmask_b32_e32 v53, v4, v53, vcc
; %bb.1457:                             ;   in Loop: Header=BB6_1289 Depth=2
	s_or_b64 exec, exec, s[22:23]
	v_and_b32_e32 v16, 0xff, v19
	v_cmp_ne_u16_e32 vcc, 0, v16
	v_mov_b32_e32 v4, 0
	v_mov_b32_e32 v5, 0
	s_and_saveexec_b64 s[22:23], vcc
	s_cbranch_execz .LBB6_1463
; %bb.1458:                             ;   in Loop: Header=BB6_1289 Depth=2
	v_cmp_ne_u16_e32 vcc, s75, v16
	v_bfrev_b32_e32 v5, 1
	s_and_saveexec_b64 s[58:59], vcc
	s_cbranch_execz .LBB6_1462
; %bb.1459:                             ;   in Loop: Header=BB6_1289 Depth=2
	v_and_b32_e32 v17, 0x7f, v19
	v_cmp_ne_u32_e32 vcc, s76, v17
	v_mov_b32_e32 v5, 0x7f800001
	s_and_saveexec_b64 s[60:61], vcc
	s_cbranch_execz .LBB6_1461
; %bb.1460:                             ;   in Loop: Header=BB6_1289 Depth=2
	v_and_b32_e32 v5, 7, v16
	v_ffbh_u32_e32 v6, v5
	v_min_u32_e32 v9, 32, v6
	v_subrev_u32_e32 v6, 28, v9
	v_lshlrev_b64 v[6:7], v6, v[16:17]
	v_lshrrev_b32_e32 v8, 3, v17
	v_sub_u32_e32 v7, 29, v9
	v_and_b32_e32 v6, 7, v6
	v_cmp_gt_u32_e32 vcc, 8, v17
	v_cndmask_b32_e32 v7, v8, v7, vcc
	v_cndmask_b32_e32 v5, v5, v6, vcc
	v_lshlrev_b32_e32 v6, 24, v19
	v_lshlrev_b32_e32 v5, 20, v5
	v_and_b32_e32 v6, 0x80000000, v6
	v_lshl_add_u32 v7, v7, 23, v29
	v_or3_b32 v5, v6, v7, v5
.LBB6_1461:                             ;   in Loop: Header=BB6_1289 Depth=2
	s_or_b64 exec, exec, s[60:61]
.LBB6_1462:                             ;   in Loop: Header=BB6_1289 Depth=2
	s_or_b64 exec, exec, s[58:59]
.LBB6_1463:                             ;   in Loop: Header=BB6_1289 Depth=2
	s_or_b64 exec, exec, s[22:23]
	v_and_b32_e32 v16, 0xff, v30
	v_cmp_ne_u16_e32 vcc, 0, v16
	s_and_saveexec_b64 s[22:23], vcc
	s_cbranch_execz .LBB6_1469
; %bb.1464:                             ;   in Loop: Header=BB6_1289 Depth=2
	v_cmp_ne_u16_e32 vcc, s75, v16
	v_bfrev_b32_e32 v4, 1
	s_and_saveexec_b64 s[58:59], vcc
	s_cbranch_execz .LBB6_1468
; %bb.1465:                             ;   in Loop: Header=BB6_1289 Depth=2
	v_and_b32_e32 v17, 0x7f, v30
	v_cmp_ne_u32_e32 vcc, s76, v17
	v_mov_b32_e32 v4, 0x7f800001
	s_and_saveexec_b64 s[60:61], vcc
	s_cbranch_execz .LBB6_1467
; %bb.1466:                             ;   in Loop: Header=BB6_1289 Depth=2
	v_and_b32_e32 v4, 7, v16
	v_ffbh_u32_e32 v6, v4
	v_min_u32_e32 v9, 32, v6
	v_subrev_u32_e32 v6, 28, v9
	v_lshlrev_b64 v[6:7], v6, v[16:17]
	v_lshrrev_b32_e32 v8, 3, v17
	v_sub_u32_e32 v7, 29, v9
	v_and_b32_e32 v6, 7, v6
	v_cmp_gt_u32_e32 vcc, 8, v17
	v_cndmask_b32_e32 v7, v8, v7, vcc
	v_cndmask_b32_e32 v4, v4, v6, vcc
	v_lshlrev_b32_e32 v6, 24, v30
	v_lshlrev_b32_e32 v4, 20, v4
	v_and_b32_e32 v6, 0x80000000, v6
	v_lshl_add_u32 v7, v7, 23, v29
	v_or3_b32 v4, v6, v7, v4
.LBB6_1467:                             ;   in Loop: Header=BB6_1289 Depth=2
	s_or_b64 exec, exec, s[60:61]
.LBB6_1468:                             ;   in Loop: Header=BB6_1289 Depth=2
	s_or_b64 exec, exec, s[58:59]
.LBB6_1469:                             ;   in Loop: Header=BB6_1289 Depth=2
	s_or_b64 exec, exec, s[22:23]
	v_add_f32_e32 v5, v5, v4
	v_and_b32_sdwa v4, v5, s75 dst_sel:DWORD dst_unused:UNUSED_PAD src0_sel:BYTE_3 src1_sel:DWORD
	v_and_b32_e32 v6, 0x7f800000, v5
	v_mov_b32_e32 v7, v57
	v_and_b32_e32 v56, 0x7fffff, v5
	v_or_b32_e32 v30, 0x7e, v4
	v_cmp_ne_u64_e32 vcc, s[42:43], v[6:7]
	s_and_saveexec_b64 s[22:23], vcc
	s_xor_b64 s[58:59], exec, s[22:23]
	s_cbranch_execz .LBB6_1483
; %bb.1470:                             ;   in Loop: Header=BB6_1289 Depth=2
	v_and_b32_e32 v6, 0x7fffffff, v5
	v_mov_b32_e32 v7, v57
	v_cmp_gt_u64_e32 vcc, s[44:45], v[6:7]
	s_and_saveexec_b64 s[22:23], vcc
	s_xor_b64 s[60:61], exec, s[22:23]
	s_cbranch_execz .LBB6_1482
; %bb.1471:                             ;   in Loop: Header=BB6_1289 Depth=2
	v_cmp_ne_u32_e32 vcc, 0, v5
	v_mov_b32_e32 v30, 0
	s_and_saveexec_b64 s[62:63], vcc
	s_cbranch_execz .LBB6_1481
; %bb.1472:                             ;   in Loop: Header=BB6_1289 Depth=2
	v_bfe_u32 v5, v5, 23, 8
	v_sub_u32_e32 v7, 0x79, v5
	v_cmp_gt_u32_e32 vcc, s77, v5
	v_add_u32_e32 v6, 0xffffff81, v5
	v_cndmask_b32_e32 v7, 0, v7, vcc
	v_cmp_eq_u32_e32 vcc, 0, v5
	v_cndmask_b32_e32 v5, v6, v33, vcc
	v_mov_b32_e32 v6, 0x78
	v_or_b32_e32 v8, 0x800000, v56
	v_cndmask_b32_e32 v19, v7, v6, vcc
	v_cndmask_b32_e32 v56, v8, v56, vcc
	v_add_u32_e32 v6, 20, v19
	v_lshlrev_b64 v[6:7], v6, -1
	v_lshrrev_b64 v[16:17], v19, v[56:57]
	v_not_b32_e32 v7, v7
	v_not_b32_e32 v6, v6
	v_add_u32_e32 v8, 19, v19
	v_lshrrev_b32_e32 v20, 23, v16
	v_and_b32_e32 v7, 0, v7
	v_and_b32_e32 v6, v56, v6
	v_lshlrev_b64 v[8:9], v8, 1
	v_add3_u32 v20, v19, v5, v20
	v_bfe_u32 v5, v16, 20, 1
	v_add_u32_e32 v5, -1, v5
	v_cmp_eq_u64_e32 vcc, v[6:7], v[8:9]
	v_cndmask_b32_e32 v5, 0, v5, vcc
	v_add_u32_e32 v5, v5, v16
	v_and_b32_e32 v5, 0xfffff, v5
	v_add_co_u32_e32 v16, vcc, v5, v16
	v_add_u32_e32 v19, 6, v20
	v_addc_co_u32_e32 v17, vcc, 0, v17, vcc
	v_cmp_ne_u32_e32 vcc, 0, v19
                                        ; implicit-def: $vgpr5
	s_and_saveexec_b64 s[22:23], vcc
	s_xor_b64 s[22:23], exec, s[22:23]
; %bb.1473:                             ;   in Loop: Header=BB6_1289 Depth=2
	v_cmp_lt_u64_e32 vcc, s[48:49], v[16:17]
	v_add_u32_e32 v5, 7, v20
	v_cndmask_b32_e64 v6, 0, 1, vcc
	v_cndmask_b32_e32 v5, v19, v5, vcc
	v_lshrrev_b64 v[16:17], v6, v[16:17]
; %bb.1474:                             ;   in Loop: Header=BB6_1289 Depth=2
	s_andn2_saveexec_b64 s[22:23], s[22:23]
; %bb.1475:                             ;   in Loop: Header=BB6_1289 Depth=2
	v_bfe_u32 v5, v16, 23, 1
; %bb.1476:                             ;   in Loop: Header=BB6_1289 Depth=2
	s_or_b64 exec, exec, s[22:23]
	v_lshrrev_b64 v[6:7], 20, v[16:17]
	v_cmp_gt_i32_e32 vcc, 16, v5
	v_cndmask_b32_e32 v17, 0, v7, vcc
	v_cndmask_b32_e32 v16, 7, v6, vcc
	v_cmp_ne_u32_e32 vcc, 0, v5
	v_cmp_ne_u64_e64 s[22:23], 0, v[16:17]
	s_or_b64 s[22:23], vcc, s[22:23]
                                        ; implicit-def: $vgpr30
	s_and_saveexec_b64 vcc, s[22:23]
	s_xor_b64 s[22:23], exec, vcc
; %bb.1477:                             ;   in Loop: Header=BB6_1289 Depth=2
	v_min_i32_e32 v5, 15, v5
	v_lshl_or_b32 v4, v5, 3, v4
	v_and_or_b32 v30, v16, 7, v4
                                        ; implicit-def: $vgpr4
; %bb.1478:                             ;   in Loop: Header=BB6_1289 Depth=2
	s_andn2_saveexec_b64 s[22:23], s[22:23]
; %bb.1479:                             ;   in Loop: Header=BB6_1289 Depth=2
	v_mov_b32_e32 v30, v4
; %bb.1480:                             ;   in Loop: Header=BB6_1289 Depth=2
	s_or_b64 exec, exec, s[22:23]
.LBB6_1481:                             ;   in Loop: Header=BB6_1289 Depth=2
	s_or_b64 exec, exec, s[62:63]
.LBB6_1482:                             ;   in Loop: Header=BB6_1289 Depth=2
	s_andn2_saveexec_b64 s[22:23], s[60:61]
	s_or_b64 exec, exec, s[22:23]
                                        ; implicit-def: $vgpr5
.LBB6_1483:                             ;   in Loop: Header=BB6_1289 Depth=2
	s_andn2_saveexec_b64 s[22:23], s[58:59]
; %bb.1484:                             ;   in Loop: Header=BB6_1289 Depth=2
	v_or_b32_sdwa v4, v5, s76 dst_sel:DWORD dst_unused:UNUSED_PAD src0_sel:BYTE_3 src1_sel:DWORD
	v_cmp_eq_u64_e32 vcc, 0, v[56:57]
	v_cndmask_b32_e32 v30, v4, v30, vcc
; %bb.1485:                             ;   in Loop: Header=BB6_1289 Depth=2
	s_or_b64 exec, exec, s[22:23]
	v_and_b32_e32 v16, 0xff, v61
	v_cmp_ne_u16_e32 vcc, 0, v16
	v_mov_b32_e32 v4, 0
	v_mov_b32_e32 v5, 0
	s_and_saveexec_b64 s[22:23], vcc
	s_cbranch_execz .LBB6_1491
; %bb.1486:                             ;   in Loop: Header=BB6_1289 Depth=2
	v_cmp_ne_u16_e32 vcc, s75, v16
	v_bfrev_b32_e32 v5, 1
	s_and_saveexec_b64 s[58:59], vcc
	s_cbranch_execz .LBB6_1490
; %bb.1487:                             ;   in Loop: Header=BB6_1289 Depth=2
	v_and_b32_e32 v17, 0x7f, v61
	v_cmp_ne_u32_e32 vcc, s76, v17
	v_mov_b32_e32 v5, 0x7f800001
	s_and_saveexec_b64 s[60:61], vcc
	s_cbranch_execz .LBB6_1489
; %bb.1488:                             ;   in Loop: Header=BB6_1289 Depth=2
	v_and_b32_e32 v5, 7, v16
	v_ffbh_u32_e32 v6, v5
	v_min_u32_e32 v9, 32, v6
	v_subrev_u32_e32 v6, 28, v9
	v_lshlrev_b64 v[6:7], v6, v[16:17]
	v_lshrrev_b32_e32 v8, 3, v17
	v_sub_u32_e32 v7, 29, v9
	v_and_b32_e32 v6, 7, v6
	v_cmp_gt_u32_e32 vcc, 8, v17
	v_cndmask_b32_e32 v7, v8, v7, vcc
	v_cndmask_b32_e32 v5, v5, v6, vcc
	v_lshlrev_b32_e32 v6, 24, v61
	v_lshlrev_b32_e32 v5, 20, v5
	v_and_b32_e32 v6, 0x80000000, v6
	v_lshl_add_u32 v7, v7, 23, v29
	v_or3_b32 v5, v6, v7, v5
.LBB6_1489:                             ;   in Loop: Header=BB6_1289 Depth=2
	s_or_b64 exec, exec, s[60:61]
.LBB6_1490:                             ;   in Loop: Header=BB6_1289 Depth=2
	s_or_b64 exec, exec, s[58:59]
.LBB6_1491:                             ;   in Loop: Header=BB6_1289 Depth=2
	s_or_b64 exec, exec, s[22:23]
	v_and_b32_e32 v16, 0xff, v58
	v_cmp_ne_u16_e32 vcc, 0, v16
	s_and_saveexec_b64 s[22:23], vcc
	s_cbranch_execz .LBB6_1497
; %bb.1492:                             ;   in Loop: Header=BB6_1289 Depth=2
	v_cmp_ne_u16_e32 vcc, s75, v16
	v_bfrev_b32_e32 v4, 1
	s_and_saveexec_b64 s[58:59], vcc
	s_cbranch_execz .LBB6_1496
; %bb.1493:                             ;   in Loop: Header=BB6_1289 Depth=2
	v_and_b32_e32 v17, 0x7f, v58
	v_cmp_ne_u32_e32 vcc, s76, v17
	v_mov_b32_e32 v4, 0x7f800001
	s_and_saveexec_b64 s[60:61], vcc
	s_cbranch_execz .LBB6_1495
; %bb.1494:                             ;   in Loop: Header=BB6_1289 Depth=2
	v_and_b32_e32 v4, 7, v16
	v_ffbh_u32_e32 v6, v4
	v_min_u32_e32 v9, 32, v6
	v_subrev_u32_e32 v6, 28, v9
	v_lshlrev_b64 v[6:7], v6, v[16:17]
	v_lshrrev_b32_e32 v8, 3, v17
	v_sub_u32_e32 v7, 29, v9
	v_and_b32_e32 v6, 7, v6
	v_cmp_gt_u32_e32 vcc, 8, v17
	v_cndmask_b32_e32 v7, v8, v7, vcc
	v_cndmask_b32_e32 v4, v4, v6, vcc
	v_lshlrev_b32_e32 v6, 24, v58
	v_lshlrev_b32_e32 v4, 20, v4
	v_and_b32_e32 v6, 0x80000000, v6
	v_lshl_add_u32 v7, v7, 23, v29
	v_or3_b32 v4, v6, v7, v4
.LBB6_1495:                             ;   in Loop: Header=BB6_1289 Depth=2
	s_or_b64 exec, exec, s[60:61]
.LBB6_1496:                             ;   in Loop: Header=BB6_1289 Depth=2
	s_or_b64 exec, exec, s[58:59]
.LBB6_1497:                             ;   in Loop: Header=BB6_1289 Depth=2
	s_or_b64 exec, exec, s[22:23]
	v_add_f32_e32 v5, v5, v4
	v_and_b32_sdwa v4, v5, s75 dst_sel:DWORD dst_unused:UNUSED_PAD src0_sel:BYTE_3 src1_sel:DWORD
	v_and_b32_e32 v6, 0x7f800000, v5
	v_mov_b32_e32 v7, v57
	v_and_b32_e32 v56, 0x7fffff, v5
	v_or_b32_e32 v58, 0x7e, v4
	v_cmp_ne_u64_e32 vcc, s[42:43], v[6:7]
	s_and_saveexec_b64 s[22:23], vcc
	s_xor_b64 s[58:59], exec, s[22:23]
	s_cbranch_execz .LBB6_1511
; %bb.1498:                             ;   in Loop: Header=BB6_1289 Depth=2
	v_and_b32_e32 v6, 0x7fffffff, v5
	v_mov_b32_e32 v7, v57
	v_cmp_gt_u64_e32 vcc, s[44:45], v[6:7]
	s_and_saveexec_b64 s[22:23], vcc
	s_xor_b64 s[60:61], exec, s[22:23]
	s_cbranch_execz .LBB6_1510
; %bb.1499:                             ;   in Loop: Header=BB6_1289 Depth=2
	v_cmp_ne_u32_e32 vcc, 0, v5
	v_mov_b32_e32 v58, 0
	s_and_saveexec_b64 s[62:63], vcc
	s_cbranch_execz .LBB6_1509
; %bb.1500:                             ;   in Loop: Header=BB6_1289 Depth=2
	v_bfe_u32 v5, v5, 23, 8
	v_sub_u32_e32 v7, 0x79, v5
	v_cmp_gt_u32_e32 vcc, s77, v5
	v_add_u32_e32 v6, 0xffffff81, v5
	v_cndmask_b32_e32 v7, 0, v7, vcc
	v_cmp_eq_u32_e32 vcc, 0, v5
	v_cndmask_b32_e32 v5, v6, v33, vcc
	v_mov_b32_e32 v6, 0x78
	v_or_b32_e32 v8, 0x800000, v56
	v_cndmask_b32_e32 v19, v7, v6, vcc
	v_cndmask_b32_e32 v56, v8, v56, vcc
	v_add_u32_e32 v6, 20, v19
	v_lshlrev_b64 v[6:7], v6, -1
	v_lshrrev_b64 v[16:17], v19, v[56:57]
	v_not_b32_e32 v7, v7
	v_not_b32_e32 v6, v6
	v_add_u32_e32 v8, 19, v19
	v_lshrrev_b32_e32 v20, 23, v16
	v_and_b32_e32 v7, 0, v7
	v_and_b32_e32 v6, v56, v6
	v_lshlrev_b64 v[8:9], v8, 1
	v_add3_u32 v20, v19, v5, v20
	v_bfe_u32 v5, v16, 20, 1
	v_add_u32_e32 v5, -1, v5
	v_cmp_eq_u64_e32 vcc, v[6:7], v[8:9]
	v_cndmask_b32_e32 v5, 0, v5, vcc
	v_add_u32_e32 v5, v5, v16
	v_and_b32_e32 v5, 0xfffff, v5
	v_add_co_u32_e32 v16, vcc, v5, v16
	v_add_u32_e32 v19, 6, v20
	v_addc_co_u32_e32 v17, vcc, 0, v17, vcc
	v_cmp_ne_u32_e32 vcc, 0, v19
                                        ; implicit-def: $vgpr5
	s_and_saveexec_b64 s[22:23], vcc
	s_xor_b64 s[22:23], exec, s[22:23]
; %bb.1501:                             ;   in Loop: Header=BB6_1289 Depth=2
	v_cmp_lt_u64_e32 vcc, s[48:49], v[16:17]
	v_add_u32_e32 v5, 7, v20
	v_cndmask_b32_e64 v6, 0, 1, vcc
	v_cndmask_b32_e32 v5, v19, v5, vcc
	v_lshrrev_b64 v[16:17], v6, v[16:17]
; %bb.1502:                             ;   in Loop: Header=BB6_1289 Depth=2
	s_andn2_saveexec_b64 s[22:23], s[22:23]
; %bb.1503:                             ;   in Loop: Header=BB6_1289 Depth=2
	v_bfe_u32 v5, v16, 23, 1
; %bb.1504:                             ;   in Loop: Header=BB6_1289 Depth=2
	s_or_b64 exec, exec, s[22:23]
	v_lshrrev_b64 v[6:7], 20, v[16:17]
	v_cmp_gt_i32_e32 vcc, 16, v5
	v_cndmask_b32_e32 v17, 0, v7, vcc
	v_cndmask_b32_e32 v16, 7, v6, vcc
	v_cmp_ne_u32_e32 vcc, 0, v5
	v_cmp_ne_u64_e64 s[22:23], 0, v[16:17]
	s_or_b64 s[22:23], vcc, s[22:23]
                                        ; implicit-def: $vgpr58
	s_and_saveexec_b64 vcc, s[22:23]
	s_xor_b64 s[22:23], exec, vcc
; %bb.1505:                             ;   in Loop: Header=BB6_1289 Depth=2
	v_min_i32_e32 v5, 15, v5
	v_lshl_or_b32 v4, v5, 3, v4
	v_and_or_b32 v58, v16, 7, v4
                                        ; implicit-def: $vgpr4
; %bb.1506:                             ;   in Loop: Header=BB6_1289 Depth=2
	s_andn2_saveexec_b64 s[22:23], s[22:23]
; %bb.1507:                             ;   in Loop: Header=BB6_1289 Depth=2
	v_mov_b32_e32 v58, v4
; %bb.1508:                             ;   in Loop: Header=BB6_1289 Depth=2
	s_or_b64 exec, exec, s[22:23]
.LBB6_1509:                             ;   in Loop: Header=BB6_1289 Depth=2
	s_or_b64 exec, exec, s[62:63]
.LBB6_1510:                             ;   in Loop: Header=BB6_1289 Depth=2
	s_andn2_saveexec_b64 s[22:23], s[60:61]
	s_or_b64 exec, exec, s[22:23]
                                        ; implicit-def: $vgpr5
.LBB6_1511:                             ;   in Loop: Header=BB6_1289 Depth=2
	s_andn2_saveexec_b64 s[22:23], s[58:59]
; %bb.1512:                             ;   in Loop: Header=BB6_1289 Depth=2
	v_or_b32_sdwa v4, v5, s76 dst_sel:DWORD dst_unused:UNUSED_PAD src0_sel:BYTE_3 src1_sel:DWORD
	v_cmp_eq_u64_e32 vcc, 0, v[56:57]
	v_cndmask_b32_e32 v58, v4, v58, vcc
; %bb.1513:                             ;   in Loop: Header=BB6_1289 Depth=2
	s_or_b64 exec, exec, s[22:23]
	v_and_b32_e32 v16, 0xff, v60
	v_cmp_ne_u16_e32 vcc, 0, v16
	v_mov_b32_e32 v4, 0
	v_mov_b32_e32 v5, 0
	s_and_saveexec_b64 s[22:23], vcc
	s_cbranch_execz .LBB6_1519
; %bb.1514:                             ;   in Loop: Header=BB6_1289 Depth=2
	v_cmp_ne_u16_e32 vcc, s75, v16
	v_bfrev_b32_e32 v5, 1
	s_and_saveexec_b64 s[58:59], vcc
	s_cbranch_execz .LBB6_1518
; %bb.1515:                             ;   in Loop: Header=BB6_1289 Depth=2
	v_and_b32_e32 v17, 0x7f, v60
	v_cmp_ne_u32_e32 vcc, s76, v17
	v_mov_b32_e32 v5, 0x7f800001
	s_and_saveexec_b64 s[60:61], vcc
	s_cbranch_execz .LBB6_1517
; %bb.1516:                             ;   in Loop: Header=BB6_1289 Depth=2
	v_and_b32_e32 v5, 7, v16
	v_ffbh_u32_e32 v6, v5
	v_min_u32_e32 v9, 32, v6
	v_subrev_u32_e32 v6, 28, v9
	v_lshlrev_b64 v[6:7], v6, v[16:17]
	v_lshrrev_b32_e32 v8, 3, v17
	v_sub_u32_e32 v7, 29, v9
	v_and_b32_e32 v6, 7, v6
	v_cmp_gt_u32_e32 vcc, 8, v17
	v_cndmask_b32_e32 v7, v8, v7, vcc
	v_cndmask_b32_e32 v5, v5, v6, vcc
	v_lshlrev_b32_e32 v6, 24, v60
	v_lshlrev_b32_e32 v5, 20, v5
	v_and_b32_e32 v6, 0x80000000, v6
	v_lshl_add_u32 v7, v7, 23, v29
	v_or3_b32 v5, v6, v7, v5
.LBB6_1517:                             ;   in Loop: Header=BB6_1289 Depth=2
	s_or_b64 exec, exec, s[60:61]
.LBB6_1518:                             ;   in Loop: Header=BB6_1289 Depth=2
	s_or_b64 exec, exec, s[58:59]
.LBB6_1519:                             ;   in Loop: Header=BB6_1289 Depth=2
	s_or_b64 exec, exec, s[22:23]
	v_and_b32_e32 v16, 0xff, v59
	v_cmp_ne_u16_e32 vcc, 0, v16
	s_and_saveexec_b64 s[22:23], vcc
	s_cbranch_execz .LBB6_1525
; %bb.1520:                             ;   in Loop: Header=BB6_1289 Depth=2
	v_cmp_ne_u16_e32 vcc, s75, v16
	v_bfrev_b32_e32 v4, 1
	s_and_saveexec_b64 s[58:59], vcc
	s_cbranch_execz .LBB6_1524
; %bb.1521:                             ;   in Loop: Header=BB6_1289 Depth=2
	v_and_b32_e32 v17, 0x7f, v59
	v_cmp_ne_u32_e32 vcc, s76, v17
	v_mov_b32_e32 v4, 0x7f800001
	s_and_saveexec_b64 s[60:61], vcc
	s_cbranch_execz .LBB6_1523
; %bb.1522:                             ;   in Loop: Header=BB6_1289 Depth=2
	v_and_b32_e32 v4, 7, v16
	v_ffbh_u32_e32 v6, v4
	v_min_u32_e32 v9, 32, v6
	v_subrev_u32_e32 v6, 28, v9
	v_lshlrev_b64 v[6:7], v6, v[16:17]
	v_lshrrev_b32_e32 v8, 3, v17
	v_sub_u32_e32 v7, 29, v9
	v_and_b32_e32 v6, 7, v6
	v_cmp_gt_u32_e32 vcc, 8, v17
	v_cndmask_b32_e32 v7, v8, v7, vcc
	v_cndmask_b32_e32 v4, v4, v6, vcc
	v_lshlrev_b32_e32 v6, 24, v59
	v_lshlrev_b32_e32 v4, 20, v4
	v_and_b32_e32 v6, 0x80000000, v6
	v_lshl_add_u32 v7, v7, 23, v29
	v_or3_b32 v4, v6, v7, v4
.LBB6_1523:                             ;   in Loop: Header=BB6_1289 Depth=2
	s_or_b64 exec, exec, s[60:61]
.LBB6_1524:                             ;   in Loop: Header=BB6_1289 Depth=2
	s_or_b64 exec, exec, s[58:59]
.LBB6_1525:                             ;   in Loop: Header=BB6_1289 Depth=2
	s_or_b64 exec, exec, s[22:23]
	v_add_f32_e32 v5, v5, v4
	v_and_b32_sdwa v4, v5, s75 dst_sel:DWORD dst_unused:UNUSED_PAD src0_sel:BYTE_3 src1_sel:DWORD
	v_and_b32_e32 v6, 0x7f800000, v5
	v_mov_b32_e32 v7, v57
	v_and_b32_e32 v56, 0x7fffff, v5
	v_or_b32_e32 v59, 0x7e, v4
	v_cmp_ne_u64_e32 vcc, s[42:43], v[6:7]
	s_and_saveexec_b64 s[22:23], vcc
	s_xor_b64 s[58:59], exec, s[22:23]
	s_cbranch_execz .LBB6_1539
; %bb.1526:                             ;   in Loop: Header=BB6_1289 Depth=2
	v_and_b32_e32 v6, 0x7fffffff, v5
	v_mov_b32_e32 v7, v57
	v_cmp_gt_u64_e32 vcc, s[44:45], v[6:7]
	s_and_saveexec_b64 s[22:23], vcc
	s_xor_b64 s[60:61], exec, s[22:23]
	s_cbranch_execz .LBB6_1538
; %bb.1527:                             ;   in Loop: Header=BB6_1289 Depth=2
	v_cmp_ne_u32_e32 vcc, 0, v5
	v_mov_b32_e32 v59, 0
	s_and_saveexec_b64 s[62:63], vcc
	s_cbranch_execz .LBB6_1537
; %bb.1528:                             ;   in Loop: Header=BB6_1289 Depth=2
	v_bfe_u32 v5, v5, 23, 8
	v_sub_u32_e32 v7, 0x79, v5
	v_cmp_gt_u32_e32 vcc, s77, v5
	v_add_u32_e32 v6, 0xffffff81, v5
	v_cndmask_b32_e32 v7, 0, v7, vcc
	v_cmp_eq_u32_e32 vcc, 0, v5
	v_cndmask_b32_e32 v5, v6, v33, vcc
	v_mov_b32_e32 v6, 0x78
	v_or_b32_e32 v8, 0x800000, v56
	v_cndmask_b32_e32 v19, v7, v6, vcc
	v_cndmask_b32_e32 v56, v8, v56, vcc
	v_add_u32_e32 v6, 20, v19
	v_lshlrev_b64 v[6:7], v6, -1
	v_lshrrev_b64 v[16:17], v19, v[56:57]
	v_not_b32_e32 v7, v7
	v_not_b32_e32 v6, v6
	v_add_u32_e32 v8, 19, v19
	v_lshrrev_b32_e32 v20, 23, v16
	v_and_b32_e32 v7, 0, v7
	v_and_b32_e32 v6, v56, v6
	v_lshlrev_b64 v[8:9], v8, 1
	v_add3_u32 v20, v19, v5, v20
	v_bfe_u32 v5, v16, 20, 1
	v_add_u32_e32 v5, -1, v5
	v_cmp_eq_u64_e32 vcc, v[6:7], v[8:9]
	v_cndmask_b32_e32 v5, 0, v5, vcc
	v_add_u32_e32 v5, v5, v16
	v_and_b32_e32 v5, 0xfffff, v5
	v_add_co_u32_e32 v16, vcc, v5, v16
	v_add_u32_e32 v19, 6, v20
	v_addc_co_u32_e32 v17, vcc, 0, v17, vcc
	v_cmp_ne_u32_e32 vcc, 0, v19
                                        ; implicit-def: $vgpr5
	s_and_saveexec_b64 s[22:23], vcc
	s_xor_b64 s[22:23], exec, s[22:23]
; %bb.1529:                             ;   in Loop: Header=BB6_1289 Depth=2
	v_cmp_lt_u64_e32 vcc, s[48:49], v[16:17]
	v_add_u32_e32 v5, 7, v20
	v_cndmask_b32_e64 v6, 0, 1, vcc
	v_cndmask_b32_e32 v5, v19, v5, vcc
	v_lshrrev_b64 v[16:17], v6, v[16:17]
; %bb.1530:                             ;   in Loop: Header=BB6_1289 Depth=2
	s_andn2_saveexec_b64 s[22:23], s[22:23]
; %bb.1531:                             ;   in Loop: Header=BB6_1289 Depth=2
	v_bfe_u32 v5, v16, 23, 1
; %bb.1532:                             ;   in Loop: Header=BB6_1289 Depth=2
	s_or_b64 exec, exec, s[22:23]
	v_lshrrev_b64 v[6:7], 20, v[16:17]
	v_cmp_gt_i32_e32 vcc, 16, v5
	v_cndmask_b32_e32 v17, 0, v7, vcc
	v_cndmask_b32_e32 v16, 7, v6, vcc
	v_cmp_ne_u32_e32 vcc, 0, v5
	v_cmp_ne_u64_e64 s[22:23], 0, v[16:17]
	s_or_b64 s[22:23], vcc, s[22:23]
                                        ; implicit-def: $vgpr59
	s_and_saveexec_b64 vcc, s[22:23]
	s_xor_b64 s[22:23], exec, vcc
; %bb.1533:                             ;   in Loop: Header=BB6_1289 Depth=2
	v_min_i32_e32 v5, 15, v5
	v_lshl_or_b32 v4, v5, 3, v4
	v_and_or_b32 v59, v16, 7, v4
                                        ; implicit-def: $vgpr4
; %bb.1534:                             ;   in Loop: Header=BB6_1289 Depth=2
	s_andn2_saveexec_b64 s[22:23], s[22:23]
; %bb.1535:                             ;   in Loop: Header=BB6_1289 Depth=2
	v_mov_b32_e32 v59, v4
; %bb.1536:                             ;   in Loop: Header=BB6_1289 Depth=2
	s_or_b64 exec, exec, s[22:23]
.LBB6_1537:                             ;   in Loop: Header=BB6_1289 Depth=2
	s_or_b64 exec, exec, s[62:63]
.LBB6_1538:                             ;   in Loop: Header=BB6_1289 Depth=2
	s_andn2_saveexec_b64 s[22:23], s[60:61]
	s_or_b64 exec, exec, s[22:23]
                                        ; implicit-def: $vgpr5
.LBB6_1539:                             ;   in Loop: Header=BB6_1289 Depth=2
	s_andn2_saveexec_b64 s[22:23], s[58:59]
; %bb.1540:                             ;   in Loop: Header=BB6_1289 Depth=2
	v_or_b32_sdwa v4, v5, s76 dst_sel:DWORD dst_unused:UNUSED_PAD src0_sel:BYTE_3 src1_sel:DWORD
	v_cmp_eq_u64_e32 vcc, 0, v[56:57]
	v_cndmask_b32_e32 v59, v4, v59, vcc
; %bb.1541:                             ;   in Loop: Header=BB6_1289 Depth=2
	s_or_b64 exec, exec, s[22:23]
	v_and_b32_e32 v16, 0xff, v47
	v_cmp_ne_u16_e32 vcc, 0, v16
	v_mov_b32_e32 v4, 0
	v_mov_b32_e32 v5, 0
	s_and_saveexec_b64 s[22:23], vcc
	s_cbranch_execz .LBB6_1547
; %bb.1542:                             ;   in Loop: Header=BB6_1289 Depth=2
	v_cmp_ne_u16_e32 vcc, s75, v16
	v_bfrev_b32_e32 v5, 1
	s_and_saveexec_b64 s[58:59], vcc
	s_cbranch_execz .LBB6_1546
; %bb.1543:                             ;   in Loop: Header=BB6_1289 Depth=2
	v_and_b32_e32 v17, 0x7f, v47
	v_cmp_ne_u32_e32 vcc, s76, v17
	v_mov_b32_e32 v5, 0x7f800001
	s_and_saveexec_b64 s[60:61], vcc
	s_cbranch_execz .LBB6_1545
; %bb.1544:                             ;   in Loop: Header=BB6_1289 Depth=2
	v_and_b32_e32 v5, 7, v16
	v_ffbh_u32_e32 v6, v5
	v_min_u32_e32 v9, 32, v6
	v_subrev_u32_e32 v6, 28, v9
	v_lshlrev_b64 v[6:7], v6, v[16:17]
	v_lshrrev_b32_e32 v8, 3, v17
	v_sub_u32_e32 v7, 29, v9
	v_and_b32_e32 v6, 7, v6
	v_cmp_gt_u32_e32 vcc, 8, v17
	v_cndmask_b32_e32 v7, v8, v7, vcc
	v_cndmask_b32_e32 v5, v5, v6, vcc
	v_lshlrev_b32_e32 v6, 24, v47
	v_lshlrev_b32_e32 v5, 20, v5
	v_and_b32_e32 v6, 0x80000000, v6
	v_lshl_add_u32 v7, v7, 23, v29
	v_or3_b32 v5, v6, v7, v5
.LBB6_1545:                             ;   in Loop: Header=BB6_1289 Depth=2
	s_or_b64 exec, exec, s[60:61]
.LBB6_1546:                             ;   in Loop: Header=BB6_1289 Depth=2
	s_or_b64 exec, exec, s[58:59]
.LBB6_1547:                             ;   in Loop: Header=BB6_1289 Depth=2
	s_or_b64 exec, exec, s[22:23]
	v_and_b32_e32 v16, 0xff, v46
	v_cmp_ne_u16_e32 vcc, 0, v16
	s_and_saveexec_b64 s[22:23], vcc
	s_cbranch_execz .LBB6_1553
; %bb.1548:                             ;   in Loop: Header=BB6_1289 Depth=2
	v_cmp_ne_u16_e32 vcc, s75, v16
	v_bfrev_b32_e32 v4, 1
	s_and_saveexec_b64 s[58:59], vcc
	s_cbranch_execz .LBB6_1552
; %bb.1549:                             ;   in Loop: Header=BB6_1289 Depth=2
	v_and_b32_e32 v17, 0x7f, v46
	v_cmp_ne_u32_e32 vcc, s76, v17
	v_mov_b32_e32 v4, 0x7f800001
	s_and_saveexec_b64 s[60:61], vcc
	s_cbranch_execz .LBB6_1551
; %bb.1550:                             ;   in Loop: Header=BB6_1289 Depth=2
	v_and_b32_e32 v4, 7, v16
	v_ffbh_u32_e32 v6, v4
	v_min_u32_e32 v9, 32, v6
	v_subrev_u32_e32 v6, 28, v9
	v_lshlrev_b64 v[6:7], v6, v[16:17]
	v_lshrrev_b32_e32 v8, 3, v17
	v_sub_u32_e32 v7, 29, v9
	v_and_b32_e32 v6, 7, v6
	v_cmp_gt_u32_e32 vcc, 8, v17
	v_cndmask_b32_e32 v7, v8, v7, vcc
	v_cndmask_b32_e32 v4, v4, v6, vcc
	v_lshlrev_b32_e32 v6, 24, v46
	v_lshlrev_b32_e32 v4, 20, v4
	v_and_b32_e32 v6, 0x80000000, v6
	v_lshl_add_u32 v7, v7, 23, v29
	v_or3_b32 v4, v6, v7, v4
.LBB6_1551:                             ;   in Loop: Header=BB6_1289 Depth=2
	s_or_b64 exec, exec, s[60:61]
.LBB6_1552:                             ;   in Loop: Header=BB6_1289 Depth=2
	s_or_b64 exec, exec, s[58:59]
.LBB6_1553:                             ;   in Loop: Header=BB6_1289 Depth=2
	s_or_b64 exec, exec, s[22:23]
	v_add_f32_e32 v5, v5, v4
	v_and_b32_sdwa v4, v5, s75 dst_sel:DWORD dst_unused:UNUSED_PAD src0_sel:BYTE_3 src1_sel:DWORD
	v_and_b32_e32 v6, 0x7f800000, v5
	v_mov_b32_e32 v7, v57
	v_and_b32_e32 v56, 0x7fffff, v5
	v_or_b32_e32 v46, 0x7e, v4
	v_cmp_ne_u64_e32 vcc, s[42:43], v[6:7]
	s_and_saveexec_b64 s[22:23], vcc
	s_xor_b64 s[58:59], exec, s[22:23]
	s_cbranch_execz .LBB6_1567
; %bb.1554:                             ;   in Loop: Header=BB6_1289 Depth=2
	v_and_b32_e32 v6, 0x7fffffff, v5
	v_mov_b32_e32 v7, v57
	v_cmp_gt_u64_e32 vcc, s[44:45], v[6:7]
	s_and_saveexec_b64 s[22:23], vcc
	s_xor_b64 s[60:61], exec, s[22:23]
	s_cbranch_execz .LBB6_1566
; %bb.1555:                             ;   in Loop: Header=BB6_1289 Depth=2
	v_cmp_ne_u32_e32 vcc, 0, v5
	v_mov_b32_e32 v46, 0
	s_and_saveexec_b64 s[62:63], vcc
	s_cbranch_execz .LBB6_1565
; %bb.1556:                             ;   in Loop: Header=BB6_1289 Depth=2
	v_bfe_u32 v5, v5, 23, 8
	v_sub_u32_e32 v7, 0x79, v5
	v_cmp_gt_u32_e32 vcc, s77, v5
	v_add_u32_e32 v6, 0xffffff81, v5
	v_cndmask_b32_e32 v7, 0, v7, vcc
	v_cmp_eq_u32_e32 vcc, 0, v5
	v_cndmask_b32_e32 v5, v6, v33, vcc
	v_mov_b32_e32 v6, 0x78
	v_or_b32_e32 v8, 0x800000, v56
	v_cndmask_b32_e32 v19, v7, v6, vcc
	v_cndmask_b32_e32 v56, v8, v56, vcc
	v_add_u32_e32 v6, 20, v19
	v_lshlrev_b64 v[6:7], v6, -1
	v_lshrrev_b64 v[16:17], v19, v[56:57]
	v_not_b32_e32 v7, v7
	v_not_b32_e32 v6, v6
	v_add_u32_e32 v8, 19, v19
	v_lshrrev_b32_e32 v20, 23, v16
	v_and_b32_e32 v7, 0, v7
	v_and_b32_e32 v6, v56, v6
	v_lshlrev_b64 v[8:9], v8, 1
	v_add3_u32 v20, v19, v5, v20
	v_bfe_u32 v5, v16, 20, 1
	v_add_u32_e32 v5, -1, v5
	v_cmp_eq_u64_e32 vcc, v[6:7], v[8:9]
	v_cndmask_b32_e32 v5, 0, v5, vcc
	v_add_u32_e32 v5, v5, v16
	v_and_b32_e32 v5, 0xfffff, v5
	v_add_co_u32_e32 v16, vcc, v5, v16
	v_add_u32_e32 v19, 6, v20
	v_addc_co_u32_e32 v17, vcc, 0, v17, vcc
	v_cmp_ne_u32_e32 vcc, 0, v19
                                        ; implicit-def: $vgpr5
	s_and_saveexec_b64 s[22:23], vcc
	s_xor_b64 s[22:23], exec, s[22:23]
; %bb.1557:                             ;   in Loop: Header=BB6_1289 Depth=2
	v_cmp_lt_u64_e32 vcc, s[48:49], v[16:17]
	v_add_u32_e32 v5, 7, v20
	v_cndmask_b32_e64 v6, 0, 1, vcc
	v_cndmask_b32_e32 v5, v19, v5, vcc
	v_lshrrev_b64 v[16:17], v6, v[16:17]
; %bb.1558:                             ;   in Loop: Header=BB6_1289 Depth=2
	s_andn2_saveexec_b64 s[22:23], s[22:23]
; %bb.1559:                             ;   in Loop: Header=BB6_1289 Depth=2
	v_bfe_u32 v5, v16, 23, 1
; %bb.1560:                             ;   in Loop: Header=BB6_1289 Depth=2
	s_or_b64 exec, exec, s[22:23]
	v_lshrrev_b64 v[6:7], 20, v[16:17]
	v_cmp_gt_i32_e32 vcc, 16, v5
	v_cndmask_b32_e32 v17, 0, v7, vcc
	v_cndmask_b32_e32 v16, 7, v6, vcc
	v_cmp_ne_u32_e32 vcc, 0, v5
	v_cmp_ne_u64_e64 s[22:23], 0, v[16:17]
	s_or_b64 s[22:23], vcc, s[22:23]
                                        ; implicit-def: $vgpr46
	s_and_saveexec_b64 vcc, s[22:23]
	s_xor_b64 s[22:23], exec, vcc
; %bb.1561:                             ;   in Loop: Header=BB6_1289 Depth=2
	v_min_i32_e32 v5, 15, v5
	v_lshl_or_b32 v4, v5, 3, v4
	v_and_or_b32 v46, v16, 7, v4
                                        ; implicit-def: $vgpr4
; %bb.1562:                             ;   in Loop: Header=BB6_1289 Depth=2
	s_andn2_saveexec_b64 s[22:23], s[22:23]
; %bb.1563:                             ;   in Loop: Header=BB6_1289 Depth=2
	v_mov_b32_e32 v46, v4
; %bb.1564:                             ;   in Loop: Header=BB6_1289 Depth=2
	s_or_b64 exec, exec, s[22:23]
.LBB6_1565:                             ;   in Loop: Header=BB6_1289 Depth=2
	s_or_b64 exec, exec, s[62:63]
.LBB6_1566:                             ;   in Loop: Header=BB6_1289 Depth=2
	s_andn2_saveexec_b64 s[22:23], s[60:61]
	s_or_b64 exec, exec, s[22:23]
                                        ; implicit-def: $vgpr5
.LBB6_1567:                             ;   in Loop: Header=BB6_1289 Depth=2
	s_andn2_saveexec_b64 s[22:23], s[58:59]
; %bb.1568:                             ;   in Loop: Header=BB6_1289 Depth=2
	v_or_b32_sdwa v4, v5, s76 dst_sel:DWORD dst_unused:UNUSED_PAD src0_sel:BYTE_3 src1_sel:DWORD
	v_cmp_eq_u64_e32 vcc, 0, v[56:57]
	v_cndmask_b32_e32 v46, v4, v46, vcc
; %bb.1569:                             ;   in Loop: Header=BB6_1289 Depth=2
	s_or_b64 exec, exec, s[22:23]
	v_and_b32_e32 v16, 0xff, v43
	v_cmp_ne_u16_e32 vcc, 0, v16
	v_mov_b32_e32 v4, 0
	v_mov_b32_e32 v5, 0
	s_and_saveexec_b64 s[22:23], vcc
	s_cbranch_execz .LBB6_1575
; %bb.1570:                             ;   in Loop: Header=BB6_1289 Depth=2
	v_cmp_ne_u16_e32 vcc, s75, v16
	v_bfrev_b32_e32 v5, 1
	s_and_saveexec_b64 s[58:59], vcc
	s_cbranch_execz .LBB6_1574
; %bb.1571:                             ;   in Loop: Header=BB6_1289 Depth=2
	v_and_b32_e32 v17, 0x7f, v43
	v_cmp_ne_u32_e32 vcc, s76, v17
	v_mov_b32_e32 v5, 0x7f800001
	s_and_saveexec_b64 s[60:61], vcc
	s_cbranch_execz .LBB6_1573
; %bb.1572:                             ;   in Loop: Header=BB6_1289 Depth=2
	v_and_b32_e32 v5, 7, v16
	v_ffbh_u32_e32 v6, v5
	v_min_u32_e32 v9, 32, v6
	v_subrev_u32_e32 v6, 28, v9
	v_lshlrev_b64 v[6:7], v6, v[16:17]
	v_lshrrev_b32_e32 v8, 3, v17
	v_sub_u32_e32 v7, 29, v9
	v_and_b32_e32 v6, 7, v6
	v_cmp_gt_u32_e32 vcc, 8, v17
	v_cndmask_b32_e32 v7, v8, v7, vcc
	v_cndmask_b32_e32 v5, v5, v6, vcc
	v_lshlrev_b32_e32 v6, 24, v43
	v_lshlrev_b32_e32 v5, 20, v5
	v_and_b32_e32 v6, 0x80000000, v6
	v_lshl_add_u32 v7, v7, 23, v29
	v_or3_b32 v5, v6, v7, v5
.LBB6_1573:                             ;   in Loop: Header=BB6_1289 Depth=2
	s_or_b64 exec, exec, s[60:61]
.LBB6_1574:                             ;   in Loop: Header=BB6_1289 Depth=2
	s_or_b64 exec, exec, s[58:59]
.LBB6_1575:                             ;   in Loop: Header=BB6_1289 Depth=2
	s_or_b64 exec, exec, s[22:23]
	v_and_b32_e32 v16, 0xff, v42
	v_cmp_ne_u16_e32 vcc, 0, v16
	s_and_saveexec_b64 s[22:23], vcc
	s_cbranch_execz .LBB6_1581
; %bb.1576:                             ;   in Loop: Header=BB6_1289 Depth=2
	v_cmp_ne_u16_e32 vcc, s75, v16
	v_bfrev_b32_e32 v4, 1
	s_and_saveexec_b64 s[58:59], vcc
	s_cbranch_execz .LBB6_1580
; %bb.1577:                             ;   in Loop: Header=BB6_1289 Depth=2
	v_and_b32_e32 v17, 0x7f, v42
	v_cmp_ne_u32_e32 vcc, s76, v17
	v_mov_b32_e32 v4, 0x7f800001
	s_and_saveexec_b64 s[60:61], vcc
	s_cbranch_execz .LBB6_1579
; %bb.1578:                             ;   in Loop: Header=BB6_1289 Depth=2
	v_and_b32_e32 v4, 7, v16
	v_ffbh_u32_e32 v6, v4
	v_min_u32_e32 v9, 32, v6
	v_subrev_u32_e32 v6, 28, v9
	v_lshlrev_b64 v[6:7], v6, v[16:17]
	v_lshrrev_b32_e32 v8, 3, v17
	v_sub_u32_e32 v7, 29, v9
	v_and_b32_e32 v6, 7, v6
	v_cmp_gt_u32_e32 vcc, 8, v17
	v_cndmask_b32_e32 v7, v8, v7, vcc
	v_cndmask_b32_e32 v4, v4, v6, vcc
	v_lshlrev_b32_e32 v6, 24, v42
	v_lshlrev_b32_e32 v4, 20, v4
	v_and_b32_e32 v6, 0x80000000, v6
	v_lshl_add_u32 v7, v7, 23, v29
	v_or3_b32 v4, v6, v7, v4
.LBB6_1579:                             ;   in Loop: Header=BB6_1289 Depth=2
	s_or_b64 exec, exec, s[60:61]
.LBB6_1580:                             ;   in Loop: Header=BB6_1289 Depth=2
	s_or_b64 exec, exec, s[58:59]
.LBB6_1581:                             ;   in Loop: Header=BB6_1289 Depth=2
	s_or_b64 exec, exec, s[22:23]
	v_add_f32_e32 v5, v5, v4
	v_and_b32_sdwa v4, v5, s75 dst_sel:DWORD dst_unused:UNUSED_PAD src0_sel:BYTE_3 src1_sel:DWORD
	v_and_b32_e32 v6, 0x7f800000, v5
	v_mov_b32_e32 v7, v57
	v_and_b32_e32 v56, 0x7fffff, v5
	v_or_b32_e32 v19, 0x7e, v4
	v_cmp_ne_u64_e32 vcc, s[42:43], v[6:7]
	s_and_saveexec_b64 s[22:23], vcc
	s_xor_b64 s[58:59], exec, s[22:23]
	s_cbranch_execz .LBB6_1595
; %bb.1582:                             ;   in Loop: Header=BB6_1289 Depth=2
	v_and_b32_e32 v6, 0x7fffffff, v5
	v_mov_b32_e32 v7, v57
	v_cmp_gt_u64_e32 vcc, s[44:45], v[6:7]
	s_and_saveexec_b64 s[22:23], vcc
	s_xor_b64 s[60:61], exec, s[22:23]
	s_cbranch_execz .LBB6_1594
; %bb.1583:                             ;   in Loop: Header=BB6_1289 Depth=2
	v_cmp_ne_u32_e32 vcc, 0, v5
	v_mov_b32_e32 v19, 0
	s_and_saveexec_b64 s[62:63], vcc
	s_cbranch_execz .LBB6_1593
; %bb.1584:                             ;   in Loop: Header=BB6_1289 Depth=2
	v_bfe_u32 v5, v5, 23, 8
	v_sub_u32_e32 v7, 0x79, v5
	v_cmp_gt_u32_e32 vcc, s77, v5
	v_add_u32_e32 v6, 0xffffff81, v5
	v_cndmask_b32_e32 v7, 0, v7, vcc
	v_cmp_eq_u32_e32 vcc, 0, v5
	v_cndmask_b32_e32 v5, v6, v33, vcc
	v_mov_b32_e32 v6, 0x78
	v_or_b32_e32 v8, 0x800000, v56
	v_cndmask_b32_e32 v19, v7, v6, vcc
	v_cndmask_b32_e32 v56, v8, v56, vcc
	v_add_u32_e32 v6, 20, v19
	v_lshlrev_b64 v[6:7], v6, -1
	v_lshrrev_b64 v[16:17], v19, v[56:57]
	v_not_b32_e32 v7, v7
	v_not_b32_e32 v6, v6
	v_add_u32_e32 v8, 19, v19
	v_lshrrev_b32_e32 v20, 23, v16
	v_and_b32_e32 v7, 0, v7
	v_and_b32_e32 v6, v56, v6
	v_lshlrev_b64 v[8:9], v8, 1
	v_add3_u32 v20, v19, v5, v20
	v_bfe_u32 v5, v16, 20, 1
	v_add_u32_e32 v5, -1, v5
	v_cmp_eq_u64_e32 vcc, v[6:7], v[8:9]
	v_cndmask_b32_e32 v5, 0, v5, vcc
	v_add_u32_e32 v5, v5, v16
	v_and_b32_e32 v5, 0xfffff, v5
	v_add_co_u32_e32 v16, vcc, v5, v16
	v_add_u32_e32 v19, 6, v20
	v_addc_co_u32_e32 v17, vcc, 0, v17, vcc
	v_cmp_ne_u32_e32 vcc, 0, v19
                                        ; implicit-def: $vgpr5
	s_and_saveexec_b64 s[22:23], vcc
	s_xor_b64 s[22:23], exec, s[22:23]
; %bb.1585:                             ;   in Loop: Header=BB6_1289 Depth=2
	v_cmp_lt_u64_e32 vcc, s[48:49], v[16:17]
	v_add_u32_e32 v5, 7, v20
	v_cndmask_b32_e64 v6, 0, 1, vcc
	v_cndmask_b32_e32 v5, v19, v5, vcc
	v_lshrrev_b64 v[16:17], v6, v[16:17]
; %bb.1586:                             ;   in Loop: Header=BB6_1289 Depth=2
	s_andn2_saveexec_b64 s[22:23], s[22:23]
; %bb.1587:                             ;   in Loop: Header=BB6_1289 Depth=2
	v_bfe_u32 v5, v16, 23, 1
; %bb.1588:                             ;   in Loop: Header=BB6_1289 Depth=2
	s_or_b64 exec, exec, s[22:23]
	v_lshrrev_b64 v[6:7], 20, v[16:17]
	v_cmp_gt_i32_e32 vcc, 16, v5
	v_cndmask_b32_e32 v17, 0, v7, vcc
	v_cndmask_b32_e32 v16, 7, v6, vcc
	v_cmp_ne_u32_e32 vcc, 0, v5
	v_cmp_ne_u64_e64 s[22:23], 0, v[16:17]
	s_or_b64 s[22:23], vcc, s[22:23]
                                        ; implicit-def: $vgpr19
	s_and_saveexec_b64 vcc, s[22:23]
	s_xor_b64 s[22:23], exec, vcc
; %bb.1589:                             ;   in Loop: Header=BB6_1289 Depth=2
	v_min_i32_e32 v5, 15, v5
	v_lshl_or_b32 v4, v5, 3, v4
	v_and_or_b32 v19, v16, 7, v4
                                        ; implicit-def: $vgpr4
; %bb.1590:                             ;   in Loop: Header=BB6_1289 Depth=2
	s_andn2_saveexec_b64 s[22:23], s[22:23]
; %bb.1591:                             ;   in Loop: Header=BB6_1289 Depth=2
	v_mov_b32_e32 v19, v4
; %bb.1592:                             ;   in Loop: Header=BB6_1289 Depth=2
	s_or_b64 exec, exec, s[22:23]
.LBB6_1593:                             ;   in Loop: Header=BB6_1289 Depth=2
	s_or_b64 exec, exec, s[62:63]
.LBB6_1594:                             ;   in Loop: Header=BB6_1289 Depth=2
	s_andn2_saveexec_b64 s[22:23], s[60:61]
	s_or_b64 exec, exec, s[22:23]
                                        ; implicit-def: $vgpr5
.LBB6_1595:                             ;   in Loop: Header=BB6_1289 Depth=2
	s_andn2_saveexec_b64 s[22:23], s[58:59]
; %bb.1596:                             ;   in Loop: Header=BB6_1289 Depth=2
	v_or_b32_sdwa v4, v5, s76 dst_sel:DWORD dst_unused:UNUSED_PAD src0_sel:BYTE_3 src1_sel:DWORD
	v_cmp_eq_u64_e32 vcc, 0, v[56:57]
	v_cndmask_b32_e32 v19, v4, v19, vcc
; %bb.1597:                             ;   in Loop: Header=BB6_1289 Depth=2
	s_or_b64 exec, exec, s[22:23]
	v_and_b32_e32 v16, 0xff, v41
	v_cmp_ne_u16_e32 vcc, 0, v16
	v_mov_b32_e32 v4, 0
	v_mov_b32_e32 v5, 0
	s_and_saveexec_b64 s[22:23], vcc
	s_cbranch_execz .LBB6_1603
; %bb.1598:                             ;   in Loop: Header=BB6_1289 Depth=2
	v_cmp_ne_u16_e32 vcc, s75, v16
	v_bfrev_b32_e32 v5, 1
	s_and_saveexec_b64 s[58:59], vcc
	s_cbranch_execz .LBB6_1602
; %bb.1599:                             ;   in Loop: Header=BB6_1289 Depth=2
	v_and_b32_e32 v17, 0x7f, v41
	v_cmp_ne_u32_e32 vcc, s76, v17
	v_mov_b32_e32 v5, 0x7f800001
	s_and_saveexec_b64 s[60:61], vcc
	s_cbranch_execz .LBB6_1601
; %bb.1600:                             ;   in Loop: Header=BB6_1289 Depth=2
	v_and_b32_e32 v5, 7, v16
	v_ffbh_u32_e32 v6, v5
	v_min_u32_e32 v9, 32, v6
	v_subrev_u32_e32 v6, 28, v9
	v_lshlrev_b64 v[6:7], v6, v[16:17]
	v_lshrrev_b32_e32 v8, 3, v17
	v_sub_u32_e32 v7, 29, v9
	v_and_b32_e32 v6, 7, v6
	v_cmp_gt_u32_e32 vcc, 8, v17
	v_cndmask_b32_e32 v7, v8, v7, vcc
	v_cndmask_b32_e32 v5, v5, v6, vcc
	v_lshlrev_b32_e32 v6, 24, v41
	v_lshlrev_b32_e32 v5, 20, v5
	v_and_b32_e32 v6, 0x80000000, v6
	v_lshl_add_u32 v7, v7, 23, v29
	v_or3_b32 v5, v6, v7, v5
.LBB6_1601:                             ;   in Loop: Header=BB6_1289 Depth=2
	s_or_b64 exec, exec, s[60:61]
.LBB6_1602:                             ;   in Loop: Header=BB6_1289 Depth=2
	s_or_b64 exec, exec, s[58:59]
.LBB6_1603:                             ;   in Loop: Header=BB6_1289 Depth=2
	s_or_b64 exec, exec, s[22:23]
	v_and_b32_e32 v16, 0xff, v40
	v_cmp_ne_u16_e32 vcc, 0, v16
	s_and_saveexec_b64 s[22:23], vcc
	s_cbranch_execz .LBB6_1609
; %bb.1604:                             ;   in Loop: Header=BB6_1289 Depth=2
	v_cmp_ne_u16_e32 vcc, s75, v16
	v_bfrev_b32_e32 v4, 1
	s_and_saveexec_b64 s[58:59], vcc
	s_cbranch_execz .LBB6_1608
; %bb.1605:                             ;   in Loop: Header=BB6_1289 Depth=2
	v_and_b32_e32 v17, 0x7f, v40
	v_cmp_ne_u32_e32 vcc, s76, v17
	v_mov_b32_e32 v4, 0x7f800001
	s_and_saveexec_b64 s[60:61], vcc
	s_cbranch_execz .LBB6_1607
; %bb.1606:                             ;   in Loop: Header=BB6_1289 Depth=2
	v_and_b32_e32 v4, 7, v16
	v_ffbh_u32_e32 v6, v4
	v_min_u32_e32 v9, 32, v6
	v_subrev_u32_e32 v6, 28, v9
	v_lshlrev_b64 v[6:7], v6, v[16:17]
	v_lshrrev_b32_e32 v8, 3, v17
	v_sub_u32_e32 v7, 29, v9
	v_and_b32_e32 v6, 7, v6
	v_cmp_gt_u32_e32 vcc, 8, v17
	v_cndmask_b32_e32 v7, v8, v7, vcc
	v_cndmask_b32_e32 v4, v4, v6, vcc
	v_lshlrev_b32_e32 v6, 24, v40
	v_lshlrev_b32_e32 v4, 20, v4
	v_and_b32_e32 v6, 0x80000000, v6
	v_lshl_add_u32 v7, v7, 23, v29
	v_or3_b32 v4, v6, v7, v4
.LBB6_1607:                             ;   in Loop: Header=BB6_1289 Depth=2
	s_or_b64 exec, exec, s[60:61]
.LBB6_1608:                             ;   in Loop: Header=BB6_1289 Depth=2
	s_or_b64 exec, exec, s[58:59]
.LBB6_1609:                             ;   in Loop: Header=BB6_1289 Depth=2
	s_or_b64 exec, exec, s[22:23]
	v_add_f32_e32 v5, v5, v4
	v_and_b32_sdwa v4, v5, s75 dst_sel:DWORD dst_unused:UNUSED_PAD src0_sel:BYTE_3 src1_sel:DWORD
	v_and_b32_e32 v6, 0x7f800000, v5
	v_mov_b32_e32 v7, v57
	v_and_b32_e32 v56, 0x7fffff, v5
	v_or_b32_e32 v50, 0x7e, v4
	v_cmp_ne_u64_e32 vcc, s[42:43], v[6:7]
	s_and_saveexec_b64 s[22:23], vcc
	s_xor_b64 s[58:59], exec, s[22:23]
	s_cbranch_execz .LBB6_1623
; %bb.1610:                             ;   in Loop: Header=BB6_1289 Depth=2
	v_and_b32_e32 v6, 0x7fffffff, v5
	v_mov_b32_e32 v7, v57
	v_cmp_gt_u64_e32 vcc, s[44:45], v[6:7]
	s_and_saveexec_b64 s[22:23], vcc
	s_xor_b64 s[60:61], exec, s[22:23]
	s_cbranch_execz .LBB6_1622
; %bb.1611:                             ;   in Loop: Header=BB6_1289 Depth=2
	v_cmp_ne_u32_e32 vcc, 0, v5
	v_mov_b32_e32 v50, 0
	s_and_saveexec_b64 s[62:63], vcc
	s_cbranch_execz .LBB6_1621
; %bb.1612:                             ;   in Loop: Header=BB6_1289 Depth=2
	v_bfe_u32 v5, v5, 23, 8
	v_sub_u32_e32 v7, 0x79, v5
	v_cmp_gt_u32_e32 vcc, s77, v5
	v_add_u32_e32 v6, 0xffffff81, v5
	v_cndmask_b32_e32 v7, 0, v7, vcc
	v_cmp_eq_u32_e32 vcc, 0, v5
	v_cndmask_b32_e32 v5, v6, v33, vcc
	v_mov_b32_e32 v6, 0x78
	v_or_b32_e32 v8, 0x800000, v56
	v_cndmask_b32_e32 v20, v7, v6, vcc
	v_cndmask_b32_e32 v56, v8, v56, vcc
	v_add_u32_e32 v6, 20, v20
	v_lshlrev_b64 v[6:7], v6, -1
	v_lshrrev_b64 v[16:17], v20, v[56:57]
	v_not_b32_e32 v7, v7
	v_not_b32_e32 v6, v6
	v_add_u32_e32 v8, 19, v20
	v_lshrrev_b32_e32 v32, 23, v16
	v_and_b32_e32 v7, 0, v7
	v_and_b32_e32 v6, v56, v6
	v_lshlrev_b64 v[8:9], v8, 1
	v_add3_u32 v38, v20, v5, v32
	v_bfe_u32 v5, v16, 20, 1
	v_add_u32_e32 v5, -1, v5
	v_cmp_eq_u64_e32 vcc, v[6:7], v[8:9]
	v_cndmask_b32_e32 v5, 0, v5, vcc
	v_add_u32_e32 v5, v5, v16
	v_and_b32_e32 v5, 0xfffff, v5
	v_add_co_u32_e32 v16, vcc, v5, v16
	v_add_u32_e32 v20, 6, v38
	v_addc_co_u32_e32 v17, vcc, 0, v17, vcc
	v_cmp_ne_u32_e32 vcc, 0, v20
                                        ; implicit-def: $vgpr5
	s_and_saveexec_b64 s[22:23], vcc
	s_xor_b64 s[22:23], exec, s[22:23]
; %bb.1613:                             ;   in Loop: Header=BB6_1289 Depth=2
	v_cmp_lt_u64_e32 vcc, s[48:49], v[16:17]
	v_add_u32_e32 v5, 7, v38
	v_cndmask_b32_e64 v6, 0, 1, vcc
	v_cndmask_b32_e32 v5, v20, v5, vcc
	v_lshrrev_b64 v[16:17], v6, v[16:17]
; %bb.1614:                             ;   in Loop: Header=BB6_1289 Depth=2
	s_andn2_saveexec_b64 s[22:23], s[22:23]
; %bb.1615:                             ;   in Loop: Header=BB6_1289 Depth=2
	v_bfe_u32 v5, v16, 23, 1
; %bb.1616:                             ;   in Loop: Header=BB6_1289 Depth=2
	s_or_b64 exec, exec, s[22:23]
	v_lshrrev_b64 v[6:7], 20, v[16:17]
	v_cmp_gt_i32_e32 vcc, 16, v5
	v_cndmask_b32_e32 v17, 0, v7, vcc
	v_cndmask_b32_e32 v16, 7, v6, vcc
	v_cmp_ne_u32_e32 vcc, 0, v5
	v_cmp_ne_u64_e64 s[22:23], 0, v[16:17]
	s_or_b64 s[22:23], vcc, s[22:23]
                                        ; implicit-def: $vgpr50
	s_and_saveexec_b64 vcc, s[22:23]
	s_xor_b64 s[22:23], exec, vcc
; %bb.1617:                             ;   in Loop: Header=BB6_1289 Depth=2
	v_min_i32_e32 v5, 15, v5
	v_lshl_or_b32 v4, v5, 3, v4
	v_and_or_b32 v50, v16, 7, v4
                                        ; implicit-def: $vgpr4
; %bb.1618:                             ;   in Loop: Header=BB6_1289 Depth=2
	s_andn2_saveexec_b64 s[22:23], s[22:23]
; %bb.1619:                             ;   in Loop: Header=BB6_1289 Depth=2
	v_mov_b32_e32 v50, v4
; %bb.1620:                             ;   in Loop: Header=BB6_1289 Depth=2
	s_or_b64 exec, exec, s[22:23]
.LBB6_1621:                             ;   in Loop: Header=BB6_1289 Depth=2
	s_or_b64 exec, exec, s[62:63]
.LBB6_1622:                             ;   in Loop: Header=BB6_1289 Depth=2
	s_andn2_saveexec_b64 s[22:23], s[60:61]
	s_or_b64 exec, exec, s[22:23]
                                        ; implicit-def: $vgpr5
.LBB6_1623:                             ;   in Loop: Header=BB6_1289 Depth=2
	s_andn2_saveexec_b64 s[22:23], s[58:59]
; %bb.1624:                             ;   in Loop: Header=BB6_1289 Depth=2
	v_or_b32_sdwa v4, v5, s76 dst_sel:DWORD dst_unused:UNUSED_PAD src0_sel:BYTE_3 src1_sel:DWORD
	v_cmp_eq_u64_e32 vcc, 0, v[56:57]
	v_cndmask_b32_e32 v50, v4, v50, vcc
; %bb.1625:                             ;   in Loop: Header=BB6_1289 Depth=2
	s_or_b64 exec, exec, s[22:23]
	v_and_b32_e32 v16, 0xff, v55
	v_cmp_ne_u16_e32 vcc, 0, v16
	v_mov_b32_e32 v4, 0
	v_mov_b32_e32 v5, 0
	s_and_saveexec_b64 s[22:23], vcc
	s_cbranch_execz .LBB6_1631
; %bb.1626:                             ;   in Loop: Header=BB6_1289 Depth=2
	v_cmp_ne_u16_e32 vcc, s75, v16
	v_bfrev_b32_e32 v5, 1
	s_and_saveexec_b64 s[58:59], vcc
	s_cbranch_execz .LBB6_1630
; %bb.1627:                             ;   in Loop: Header=BB6_1289 Depth=2
	v_and_b32_e32 v17, 0x7f, v55
	v_cmp_ne_u32_e32 vcc, s76, v17
	v_mov_b32_e32 v5, 0x7f800001
	s_and_saveexec_b64 s[60:61], vcc
	s_cbranch_execz .LBB6_1629
; %bb.1628:                             ;   in Loop: Header=BB6_1289 Depth=2
	v_and_b32_e32 v5, 7, v16
	v_ffbh_u32_e32 v6, v5
	v_min_u32_e32 v9, 32, v6
	v_subrev_u32_e32 v6, 28, v9
	v_lshlrev_b64 v[6:7], v6, v[16:17]
	v_lshrrev_b32_e32 v8, 3, v17
	v_sub_u32_e32 v7, 29, v9
	v_and_b32_e32 v6, 7, v6
	v_cmp_gt_u32_e32 vcc, 8, v17
	v_cndmask_b32_e32 v7, v8, v7, vcc
	v_cndmask_b32_e32 v5, v5, v6, vcc
	v_lshlrev_b32_e32 v6, 24, v55
	v_lshlrev_b32_e32 v5, 20, v5
	v_and_b32_e32 v6, 0x80000000, v6
	v_lshl_add_u32 v7, v7, 23, v29
	v_or3_b32 v5, v6, v7, v5
.LBB6_1629:                             ;   in Loop: Header=BB6_1289 Depth=2
	s_or_b64 exec, exec, s[60:61]
.LBB6_1630:                             ;   in Loop: Header=BB6_1289 Depth=2
	s_or_b64 exec, exec, s[58:59]
.LBB6_1631:                             ;   in Loop: Header=BB6_1289 Depth=2
	s_or_b64 exec, exec, s[22:23]
	v_and_b32_e32 v16, 0xff, v54
	v_cmp_ne_u16_e32 vcc, 0, v16
	s_and_saveexec_b64 s[22:23], vcc
	s_cbranch_execz .LBB6_1637
; %bb.1632:                             ;   in Loop: Header=BB6_1289 Depth=2
	v_cmp_ne_u16_e32 vcc, s75, v16
	v_bfrev_b32_e32 v4, 1
	s_and_saveexec_b64 s[58:59], vcc
	s_cbranch_execz .LBB6_1636
; %bb.1633:                             ;   in Loop: Header=BB6_1289 Depth=2
	v_and_b32_e32 v17, 0x7f, v54
	v_cmp_ne_u32_e32 vcc, s76, v17
	v_mov_b32_e32 v4, 0x7f800001
	s_and_saveexec_b64 s[60:61], vcc
	s_cbranch_execz .LBB6_1635
; %bb.1634:                             ;   in Loop: Header=BB6_1289 Depth=2
	v_and_b32_e32 v4, 7, v16
	v_ffbh_u32_e32 v6, v4
	v_min_u32_e32 v9, 32, v6
	v_subrev_u32_e32 v6, 28, v9
	v_lshlrev_b64 v[6:7], v6, v[16:17]
	v_lshrrev_b32_e32 v8, 3, v17
	v_sub_u32_e32 v7, 29, v9
	v_and_b32_e32 v6, 7, v6
	v_cmp_gt_u32_e32 vcc, 8, v17
	v_cndmask_b32_e32 v7, v8, v7, vcc
	v_cndmask_b32_e32 v4, v4, v6, vcc
	v_lshlrev_b32_e32 v6, 24, v54
	v_lshlrev_b32_e32 v4, 20, v4
	v_and_b32_e32 v6, 0x80000000, v6
	v_lshl_add_u32 v7, v7, 23, v29
	v_or3_b32 v4, v6, v7, v4
.LBB6_1635:                             ;   in Loop: Header=BB6_1289 Depth=2
	s_or_b64 exec, exec, s[60:61]
.LBB6_1636:                             ;   in Loop: Header=BB6_1289 Depth=2
	s_or_b64 exec, exec, s[58:59]
.LBB6_1637:                             ;   in Loop: Header=BB6_1289 Depth=2
	s_or_b64 exec, exec, s[22:23]
	v_add_f32_e32 v16, v5, v4
	v_and_b32_sdwa v5, v16, s75 dst_sel:DWORD dst_unused:UNUSED_PAD src0_sel:BYTE_3 src1_sel:DWORD
	v_and_b32_e32 v6, 0x7f800000, v16
	v_mov_b32_e32 v7, v57
	v_and_b32_e32 v56, 0x7fffff, v16
	v_or_b32_e32 v4, 0x7e, v5
	v_cmp_ne_u64_e32 vcc, s[42:43], v[6:7]
	s_and_saveexec_b64 s[22:23], vcc
	s_xor_b64 s[58:59], exec, s[22:23]
	s_cbranch_execz .LBB6_1651
; %bb.1638:                             ;   in Loop: Header=BB6_1289 Depth=2
	v_and_b32_e32 v6, 0x7fffffff, v16
	v_mov_b32_e32 v7, v57
	v_cmp_gt_u64_e32 vcc, s[44:45], v[6:7]
	s_and_saveexec_b64 s[22:23], vcc
	s_xor_b64 s[60:61], exec, s[22:23]
	s_cbranch_execz .LBB6_1650
; %bb.1639:                             ;   in Loop: Header=BB6_1289 Depth=2
	v_cmp_ne_u32_e32 vcc, 0, v16
	v_mov_b32_e32 v4, 0
	s_and_saveexec_b64 s[62:63], vcc
	s_cbranch_execz .LBB6_1649
; %bb.1640:                             ;   in Loop: Header=BB6_1289 Depth=2
	v_bfe_u32 v4, v16, 23, 8
	v_sub_u32_e32 v7, 0x79, v4
	v_cmp_gt_u32_e32 vcc, s77, v4
	v_add_u32_e32 v6, 0xffffff81, v4
	v_cndmask_b32_e32 v7, 0, v7, vcc
	v_cmp_eq_u32_e32 vcc, 0, v4
	v_cndmask_b32_e32 v4, v6, v33, vcc
	v_mov_b32_e32 v6, 0x78
	v_or_b32_e32 v8, 0x800000, v56
	v_cndmask_b32_e32 v20, v7, v6, vcc
	v_cndmask_b32_e32 v56, v8, v56, vcc
	v_add_u32_e32 v6, 20, v20
	v_lshlrev_b64 v[6:7], v6, -1
	v_lshrrev_b64 v[16:17], v20, v[56:57]
	v_not_b32_e32 v7, v7
	v_not_b32_e32 v6, v6
	v_add_u32_e32 v8, 19, v20
	v_lshrrev_b32_e32 v32, 23, v16
	v_and_b32_e32 v7, 0, v7
	v_and_b32_e32 v6, v56, v6
	v_lshlrev_b64 v[8:9], v8, 1
	v_add3_u32 v38, v20, v4, v32
	v_bfe_u32 v20, v16, 20, 1
	v_add_u32_e32 v20, -1, v20
	v_cmp_eq_u64_e32 vcc, v[6:7], v[8:9]
	v_cndmask_b32_e32 v6, 0, v20, vcc
	v_add_u32_e32 v6, v6, v16
	v_and_b32_e32 v6, 0xfffff, v6
	v_add_co_u32_e32 v16, vcc, v6, v16
	v_add_u32_e32 v4, 6, v38
	v_addc_co_u32_e32 v17, vcc, 0, v17, vcc
	v_cmp_ne_u32_e32 vcc, 0, v4
                                        ; implicit-def: $vgpr20
	s_and_saveexec_b64 s[22:23], vcc
	s_xor_b64 s[22:23], exec, s[22:23]
; %bb.1641:                             ;   in Loop: Header=BB6_1289 Depth=2
	v_add_u32_e32 v6, 7, v38
	v_cmp_lt_u64_e32 vcc, s[48:49], v[16:17]
	v_cndmask_b32_e32 v20, v4, v6, vcc
	v_cndmask_b32_e64 v4, 0, 1, vcc
	v_lshrrev_b64 v[16:17], v4, v[16:17]
; %bb.1642:                             ;   in Loop: Header=BB6_1289 Depth=2
	s_andn2_saveexec_b64 s[22:23], s[22:23]
; %bb.1643:                             ;   in Loop: Header=BB6_1289 Depth=2
	v_bfe_u32 v20, v16, 23, 1
; %bb.1644:                             ;   in Loop: Header=BB6_1289 Depth=2
	s_or_b64 exec, exec, s[22:23]
	v_lshrrev_b64 v[6:7], 20, v[16:17]
	v_cmp_gt_i32_e32 vcc, 16, v20
	v_cndmask_b32_e32 v17, 0, v7, vcc
	v_cndmask_b32_e32 v16, 7, v6, vcc
	v_cmp_ne_u32_e32 vcc, 0, v20
	v_cmp_ne_u64_e64 s[22:23], 0, v[16:17]
	s_or_b64 s[22:23], vcc, s[22:23]
                                        ; implicit-def: $vgpr4
	s_and_saveexec_b64 vcc, s[22:23]
	s_xor_b64 s[22:23], exec, vcc
; %bb.1645:                             ;   in Loop: Header=BB6_1289 Depth=2
	v_min_i32_e32 v4, 15, v20
	v_lshl_or_b32 v4, v4, 3, v5
	v_and_or_b32 v4, v16, 7, v4
                                        ; implicit-def: $vgpr5
; %bb.1646:                             ;   in Loop: Header=BB6_1289 Depth=2
	s_andn2_saveexec_b64 s[22:23], s[22:23]
; %bb.1647:                             ;   in Loop: Header=BB6_1289 Depth=2
	v_mov_b32_e32 v4, v5
; %bb.1648:                             ;   in Loop: Header=BB6_1289 Depth=2
	s_or_b64 exec, exec, s[22:23]
.LBB6_1649:                             ;   in Loop: Header=BB6_1289 Depth=2
	s_or_b64 exec, exec, s[62:63]
.LBB6_1650:                             ;   in Loop: Header=BB6_1289 Depth=2
	s_andn2_saveexec_b64 s[22:23], s[60:61]
	s_or_b64 exec, exec, s[22:23]
                                        ; implicit-def: $vgpr16
.LBB6_1651:                             ;   in Loop: Header=BB6_1289 Depth=2
	s_andn2_saveexec_b64 s[22:23], s[58:59]
; %bb.1652:                             ;   in Loop: Header=BB6_1289 Depth=2
	v_or_b32_sdwa v5, v16, s76 dst_sel:DWORD dst_unused:UNUSED_PAD src0_sel:BYTE_3 src1_sel:DWORD
	v_cmp_eq_u64_e32 vcc, 0, v[56:57]
	v_cndmask_b32_e32 v4, v5, v4, vcc
; %bb.1653:                             ;   in Loop: Header=BB6_1289 Depth=2
	s_or_b64 exec, exec, s[22:23]
	v_and_b32_e32 v16, 0xff, v35
	v_cmp_ne_u16_e32 vcc, 0, v16
	v_mov_b32_e32 v5, 0
	v_mov_b32_e32 v17, 0
	s_and_saveexec_b64 s[22:23], vcc
	s_cbranch_execz .LBB6_1659
; %bb.1654:                             ;   in Loop: Header=BB6_1289 Depth=2
	v_cmp_ne_u16_e32 vcc, s75, v16
	v_bfrev_b32_e32 v17, 1
	s_and_saveexec_b64 s[58:59], vcc
	s_cbranch_execz .LBB6_1658
; %bb.1655:                             ;   in Loop: Header=BB6_1289 Depth=2
	v_and_b32_e32 v20, 0x7f, v35
	v_cmp_ne_u32_e32 vcc, s76, v20
	v_mov_b32_e32 v17, 0x7f800001
	s_and_saveexec_b64 s[60:61], vcc
	s_cbranch_execz .LBB6_1657
; %bb.1656:                             ;   in Loop: Header=BB6_1289 Depth=2
	v_and_b32_e32 v8, 7, v16
	v_ffbh_u32_e32 v6, v8
	v_min_u32_e32 v17, 32, v6
	v_subrev_u32_e32 v6, 28, v17
	v_lshlrev_b64 v[6:7], v6, v[16:17]
	v_lshrrev_b32_e32 v9, 3, v20
	v_sub_u32_e32 v7, 29, v17
	v_and_b32_e32 v6, 7, v6
	v_cmp_gt_u32_e32 vcc, 8, v20
	v_cndmask_b32_e32 v7, v9, v7, vcc
	v_cndmask_b32_e32 v6, v8, v6, vcc
	v_lshlrev_b32_e32 v8, 24, v35
	v_lshlrev_b32_e32 v6, 20, v6
	v_and_b32_e32 v8, 0x80000000, v8
	v_lshl_add_u32 v7, v7, 23, v29
	v_or3_b32 v17, v8, v7, v6
.LBB6_1657:                             ;   in Loop: Header=BB6_1289 Depth=2
	s_or_b64 exec, exec, s[60:61]
.LBB6_1658:                             ;   in Loop: Header=BB6_1289 Depth=2
	s_or_b64 exec, exec, s[58:59]
.LBB6_1659:                             ;   in Loop: Header=BB6_1289 Depth=2
	s_or_b64 exec, exec, s[22:23]
	v_and_b32_e32 v16, 0xff, v34
	v_cmp_ne_u16_e32 vcc, 0, v16
	s_and_saveexec_b64 s[22:23], vcc
	s_cbranch_execz .LBB6_1665
; %bb.1660:                             ;   in Loop: Header=BB6_1289 Depth=2
	v_cmp_ne_u16_e32 vcc, s75, v16
	v_bfrev_b32_e32 v5, 1
	s_and_saveexec_b64 s[58:59], vcc
	s_cbranch_execz .LBB6_1664
; %bb.1661:                             ;   in Loop: Header=BB6_1289 Depth=2
	v_and_b32_e32 v20, 0x7f, v34
	v_cmp_ne_u32_e32 vcc, s76, v20
	v_mov_b32_e32 v5, 0x7f800001
	s_and_saveexec_b64 s[60:61], vcc
	s_cbranch_execz .LBB6_1663
; %bb.1662:                             ;   in Loop: Header=BB6_1289 Depth=2
	v_and_b32_e32 v5, 7, v16
	v_ffbh_u32_e32 v6, v5
	v_min_u32_e32 v9, 32, v6
	v_subrev_u32_e32 v6, 28, v9
	v_lshlrev_b64 v[6:7], v6, v[16:17]
	v_lshrrev_b32_e32 v8, 3, v20
	v_sub_u32_e32 v7, 29, v9
	v_and_b32_e32 v6, 7, v6
	v_cmp_gt_u32_e32 vcc, 8, v20
	v_cndmask_b32_e32 v7, v8, v7, vcc
	v_cndmask_b32_e32 v5, v5, v6, vcc
	v_lshlrev_b32_e32 v6, 24, v34
	v_lshlrev_b32_e32 v5, 20, v5
	v_and_b32_e32 v6, 0x80000000, v6
	v_lshl_add_u32 v7, v7, 23, v29
	v_or3_b32 v5, v6, v7, v5
.LBB6_1663:                             ;   in Loop: Header=BB6_1289 Depth=2
	s_or_b64 exec, exec, s[60:61]
.LBB6_1664:                             ;   in Loop: Header=BB6_1289 Depth=2
	s_or_b64 exec, exec, s[58:59]
.LBB6_1665:                             ;   in Loop: Header=BB6_1289 Depth=2
	s_or_b64 exec, exec, s[22:23]
	v_add_f32_e32 v16, v17, v5
	v_and_b32_sdwa v20, v16, s75 dst_sel:DWORD dst_unused:UNUSED_PAD src0_sel:BYTE_3 src1_sel:DWORD
	v_and_b32_e32 v6, 0x7f800000, v16
	v_mov_b32_e32 v7, v57
	v_and_b32_e32 v56, 0x7fffff, v16
	v_or_b32_e32 v5, 0x7e, v20
	v_cmp_ne_u64_e32 vcc, s[42:43], v[6:7]
	s_and_saveexec_b64 s[22:23], vcc
	s_xor_b64 s[58:59], exec, s[22:23]
	s_cbranch_execz .LBB6_1679
; %bb.1666:                             ;   in Loop: Header=BB6_1289 Depth=2
	v_and_b32_e32 v6, 0x7fffffff, v16
	v_mov_b32_e32 v7, v57
	v_cmp_gt_u64_e32 vcc, s[44:45], v[6:7]
	s_and_saveexec_b64 s[22:23], vcc
	s_xor_b64 s[60:61], exec, s[22:23]
	s_cbranch_execz .LBB6_1678
; %bb.1667:                             ;   in Loop: Header=BB6_1289 Depth=2
	v_cmp_ne_u32_e32 vcc, 0, v16
	v_mov_b32_e32 v5, 0
	s_and_saveexec_b64 s[62:63], vcc
	s_cbranch_execz .LBB6_1677
; %bb.1668:                             ;   in Loop: Header=BB6_1289 Depth=2
	v_bfe_u32 v5, v16, 23, 8
	v_sub_u32_e32 v7, 0x79, v5
	v_cmp_gt_u32_e32 vcc, s77, v5
	v_add_u32_e32 v6, 0xffffff81, v5
	v_cndmask_b32_e32 v7, 0, v7, vcc
	v_cmp_eq_u32_e32 vcc, 0, v5
	v_cndmask_b32_e32 v5, v6, v33, vcc
	v_mov_b32_e32 v6, 0x78
	v_or_b32_e32 v8, 0x800000, v56
	v_cndmask_b32_e32 v32, v7, v6, vcc
	v_cndmask_b32_e32 v56, v8, v56, vcc
	v_add_u32_e32 v6, 20, v32
	v_lshlrev_b64 v[6:7], v6, -1
	v_lshrrev_b64 v[16:17], v32, v[56:57]
	v_not_b32_e32 v7, v7
	v_not_b32_e32 v6, v6
	v_add_u32_e32 v8, 19, v32
	v_lshrrev_b32_e32 v33, 23, v16
	v_and_b32_e32 v7, 0, v7
	v_and_b32_e32 v6, v56, v6
	v_lshlrev_b64 v[8:9], v8, 1
	v_add3_u32 v35, v32, v5, v33
	v_bfe_u32 v32, v16, 20, 1
	v_add_u32_e32 v32, -1, v32
	v_cmp_eq_u64_e32 vcc, v[6:7], v[8:9]
	v_cndmask_b32_e32 v6, 0, v32, vcc
	v_add_u32_e32 v6, v6, v16
	v_and_b32_e32 v6, 0xfffff, v6
	v_add_co_u32_e32 v16, vcc, v6, v16
	v_add_u32_e32 v5, 6, v35
	v_addc_co_u32_e32 v17, vcc, 0, v17, vcc
	v_cmp_ne_u32_e32 vcc, 0, v5
                                        ; implicit-def: $vgpr34
	s_and_saveexec_b64 s[22:23], vcc
	s_xor_b64 s[22:23], exec, s[22:23]
; %bb.1669:                             ;   in Loop: Header=BB6_1289 Depth=2
	v_add_u32_e32 v6, 7, v35
	v_cmp_lt_u64_e32 vcc, s[48:49], v[16:17]
	v_cndmask_b32_e32 v34, v5, v6, vcc
	v_cndmask_b32_e64 v5, 0, 1, vcc
	v_lshrrev_b64 v[16:17], v5, v[16:17]
; %bb.1670:                             ;   in Loop: Header=BB6_1289 Depth=2
	s_andn2_saveexec_b64 s[22:23], s[22:23]
; %bb.1671:                             ;   in Loop: Header=BB6_1289 Depth=2
	v_bfe_u32 v34, v16, 23, 1
; %bb.1672:                             ;   in Loop: Header=BB6_1289 Depth=2
	s_or_b64 exec, exec, s[22:23]
	v_lshrrev_b64 v[6:7], 20, v[16:17]
	v_cmp_gt_i32_e32 vcc, 16, v34
	v_cndmask_b32_e32 v17, 0, v7, vcc
	v_cndmask_b32_e32 v16, 7, v6, vcc
	v_cmp_ne_u32_e32 vcc, 0, v34
	v_cmp_ne_u64_e64 s[22:23], 0, v[16:17]
	s_or_b64 s[22:23], vcc, s[22:23]
                                        ; implicit-def: $vgpr5
	s_mov_b64 vcc, exec
	s_and_b64 s[64:65], vcc, s[22:23]
	s_xor_b64 s[22:23], s[64:65], vcc
	v_mov_b32_e32 v33, 0xffffff82
	s_mov_b64 exec, s[64:65]
; %bb.1673:                             ;   in Loop: Header=BB6_1289 Depth=2
	v_min_i32_e32 v5, 15, v34
	v_lshl_or_b32 v5, v5, 3, v20
	v_and_or_b32 v5, v16, 7, v5
                                        ; implicit-def: $vgpr20
; %bb.1674:                             ;   in Loop: Header=BB6_1289 Depth=2
	s_andn2_saveexec_b64 s[22:23], s[22:23]
; %bb.1675:                             ;   in Loop: Header=BB6_1289 Depth=2
	v_mov_b32_e32 v5, v20
; %bb.1676:                             ;   in Loop: Header=BB6_1289 Depth=2
	s_or_b64 exec, exec, s[22:23]
.LBB6_1677:                             ;   in Loop: Header=BB6_1289 Depth=2
	s_or_b64 exec, exec, s[62:63]
.LBB6_1678:                             ;   in Loop: Header=BB6_1289 Depth=2
	s_andn2_saveexec_b64 s[22:23], s[60:61]
	s_or_b64 exec, exec, s[22:23]
                                        ; implicit-def: $vgpr16
.LBB6_1679:                             ;   in Loop: Header=BB6_1289 Depth=2
	s_andn2_saveexec_b64 s[22:23], s[58:59]
; %bb.1680:                             ;   in Loop: Header=BB6_1289 Depth=2
	v_or_b32_sdwa v6, v16, s76 dst_sel:DWORD dst_unused:UNUSED_PAD src0_sel:BYTE_3 src1_sel:DWORD
	v_cmp_eq_u64_e32 vcc, 0, v[56:57]
	v_cndmask_b32_e32 v5, v6, v5, vcc
; %bb.1681:                             ;   in Loop: Header=BB6_1289 Depth=2
	s_or_b64 exec, exec, s[22:23]
	v_and_b32_e32 v16, 0xff, v26
	v_cmp_ne_u16_e32 vcc, 0, v16
	v_mov_b32_e32 v17, 0
	v_mov_b32_e32 v20, 0
	s_and_saveexec_b64 s[22:23], vcc
	s_cbranch_execz .LBB6_1687
; %bb.1682:                             ;   in Loop: Header=BB6_1289 Depth=2
	v_cmp_ne_u16_e32 vcc, s75, v16
	v_bfrev_b32_e32 v20, 1
	s_and_saveexec_b64 s[58:59], vcc
	s_cbranch_execz .LBB6_1686
; %bb.1683:                             ;   in Loop: Header=BB6_1289 Depth=2
	v_and_b32_e32 v34, 0x7f, v26
	v_cmp_ne_u32_e32 vcc, s76, v34
	v_mov_b32_e32 v20, 0x7f800001
	s_and_saveexec_b64 s[60:61], vcc
	s_cbranch_execz .LBB6_1685
; %bb.1684:                             ;   in Loop: Header=BB6_1289 Depth=2
	v_and_b32_e32 v8, 7, v16
	v_ffbh_u32_e32 v6, v8
	v_min_u32_e32 v20, 32, v6
	v_subrev_u32_e32 v6, 28, v20
	v_lshlrev_b64 v[6:7], v6, v[16:17]
	v_lshrrev_b32_e32 v9, 3, v34
	v_sub_u32_e32 v7, 29, v20
	v_and_b32_e32 v6, 7, v6
	v_cmp_gt_u32_e32 vcc, 8, v34
	v_cndmask_b32_e32 v7, v9, v7, vcc
	v_cndmask_b32_e32 v6, v8, v6, vcc
	v_lshlrev_b32_e32 v8, 24, v26
	v_lshlrev_b32_e32 v6, 20, v6
	v_and_b32_e32 v8, 0x80000000, v8
	v_lshl_add_u32 v7, v7, 23, v29
	v_or3_b32 v20, v8, v7, v6
.LBB6_1685:                             ;   in Loop: Header=BB6_1289 Depth=2
	s_or_b64 exec, exec, s[60:61]
.LBB6_1686:                             ;   in Loop: Header=BB6_1289 Depth=2
	s_or_b64 exec, exec, s[58:59]
.LBB6_1687:                             ;   in Loop: Header=BB6_1289 Depth=2
	s_or_b64 exec, exec, s[22:23]
	v_and_b32_e32 v16, 0xff, v25
	v_cmp_ne_u16_e32 vcc, 0, v16
	s_and_saveexec_b64 s[22:23], vcc
	s_cbranch_execz .LBB6_1693
; %bb.1688:                             ;   in Loop: Header=BB6_1289 Depth=2
	v_cmp_ne_u16_e32 vcc, s75, v16
	v_bfrev_b32_e32 v17, 1
	s_and_saveexec_b64 s[58:59], vcc
	s_cbranch_execz .LBB6_1692
; %bb.1689:                             ;   in Loop: Header=BB6_1289 Depth=2
	v_and_b32_e32 v26, 0x7f, v25
	v_cmp_ne_u32_e32 vcc, s76, v26
	v_mov_b32_e32 v17, 0x7f800001
	s_and_saveexec_b64 s[60:61], vcc
	s_cbranch_execz .LBB6_1691
; %bb.1690:                             ;   in Loop: Header=BB6_1289 Depth=2
	v_and_b32_e32 v8, 7, v16
	v_ffbh_u32_e32 v6, v8
	v_min_u32_e32 v17, 32, v6
	v_subrev_u32_e32 v6, 28, v17
	v_lshlrev_b64 v[6:7], v6, v[16:17]
	v_lshrrev_b32_e32 v9, 3, v26
	v_sub_u32_e32 v7, 29, v17
	v_and_b32_e32 v6, 7, v6
	v_cmp_gt_u32_e32 vcc, 8, v26
	v_cndmask_b32_e32 v7, v9, v7, vcc
	v_cndmask_b32_e32 v6, v8, v6, vcc
	v_lshlrev_b32_e32 v8, 24, v25
	v_lshlrev_b32_e32 v6, 20, v6
	v_and_b32_e32 v8, 0x80000000, v8
	v_lshl_add_u32 v7, v7, 23, v29
	v_or3_b32 v17, v8, v7, v6
.LBB6_1691:                             ;   in Loop: Header=BB6_1289 Depth=2
	s_or_b64 exec, exec, s[60:61]
.LBB6_1692:                             ;   in Loop: Header=BB6_1289 Depth=2
	s_or_b64 exec, exec, s[58:59]
.LBB6_1693:                             ;   in Loop: Header=BB6_1289 Depth=2
	s_or_b64 exec, exec, s[22:23]
	v_add_f32_e32 v16, v20, v17
	v_and_b32_sdwa v20, v16, s75 dst_sel:DWORD dst_unused:UNUSED_PAD src0_sel:BYTE_3 src1_sel:DWORD
	v_and_b32_e32 v6, 0x7f800000, v16
	v_mov_b32_e32 v7, v57
	v_and_b32_e32 v56, 0x7fffff, v16
	v_or_b32_e32 v25, 0x7e, v20
	v_cmp_ne_u64_e32 vcc, s[42:43], v[6:7]
	s_and_saveexec_b64 s[22:23], vcc
	s_xor_b64 s[58:59], exec, s[22:23]
	s_cbranch_execz .LBB6_1707
; %bb.1694:                             ;   in Loop: Header=BB6_1289 Depth=2
	v_and_b32_e32 v6, 0x7fffffff, v16
	v_mov_b32_e32 v7, v57
	v_cmp_gt_u64_e32 vcc, s[44:45], v[6:7]
	s_and_saveexec_b64 s[22:23], vcc
	s_xor_b64 s[60:61], exec, s[22:23]
	s_cbranch_execz .LBB6_1706
; %bb.1695:                             ;   in Loop: Header=BB6_1289 Depth=2
	v_cmp_ne_u32_e32 vcc, 0, v16
	v_mov_b32_e32 v25, 0
	s_and_saveexec_b64 s[62:63], vcc
	s_cbranch_execz .LBB6_1705
; %bb.1696:                             ;   in Loop: Header=BB6_1289 Depth=2
	v_bfe_u32 v6, v16, 23, 8
	v_sub_u32_e32 v8, 0x79, v6
	v_cmp_gt_u32_e32 vcc, s77, v6
	v_add_u32_e32 v7, 0xffffff81, v6
	v_cndmask_b32_e32 v8, 0, v8, vcc
	v_cmp_eq_u32_e32 vcc, 0, v6
	v_mov_b32_e32 v6, 0x78
	v_or_b32_e32 v9, 0x800000, v56
	v_cndmask_b32_e32 v26, v8, v6, vcc
	v_cndmask_b32_e32 v56, v9, v56, vcc
	v_add_u32_e32 v6, 20, v26
	v_cndmask_b32_e32 v25, v7, v33, vcc
	v_lshlrev_b64 v[6:7], v6, -1
	v_lshrrev_b64 v[16:17], v26, v[56:57]
	v_not_b32_e32 v7, v7
	v_not_b32_e32 v6, v6
	v_add_u32_e32 v8, 19, v26
	v_lshrrev_b32_e32 v32, 23, v16
	v_and_b32_e32 v7, 0, v7
	v_and_b32_e32 v6, v56, v6
	v_lshlrev_b64 v[8:9], v8, 1
	v_add3_u32 v34, v26, v25, v32
	v_bfe_u32 v26, v16, 20, 1
	v_add_u32_e32 v26, -1, v26
	v_cmp_eq_u64_e32 vcc, v[6:7], v[8:9]
	v_cndmask_b32_e32 v6, 0, v26, vcc
	v_add_u32_e32 v6, v6, v16
	v_and_b32_e32 v6, 0xfffff, v6
	v_add_co_u32_e32 v16, vcc, v6, v16
	v_add_u32_e32 v25, 6, v34
	v_addc_co_u32_e32 v17, vcc, 0, v17, vcc
	v_cmp_ne_u32_e32 vcc, 0, v25
                                        ; implicit-def: $vgpr26
	s_and_saveexec_b64 s[22:23], vcc
	s_xor_b64 s[22:23], exec, s[22:23]
; %bb.1697:                             ;   in Loop: Header=BB6_1289 Depth=2
	v_add_u32_e32 v6, 7, v34
	v_cmp_lt_u64_e32 vcc, s[48:49], v[16:17]
	v_cndmask_b32_e32 v26, v25, v6, vcc
	v_cndmask_b32_e64 v6, 0, 1, vcc
	v_lshrrev_b64 v[16:17], v6, v[16:17]
; %bb.1698:                             ;   in Loop: Header=BB6_1289 Depth=2
	s_andn2_saveexec_b64 s[22:23], s[22:23]
; %bb.1699:                             ;   in Loop: Header=BB6_1289 Depth=2
	v_bfe_u32 v26, v16, 23, 1
; %bb.1700:                             ;   in Loop: Header=BB6_1289 Depth=2
	s_or_b64 exec, exec, s[22:23]
	v_lshrrev_b64 v[6:7], 20, v[16:17]
	v_cmp_gt_i32_e32 vcc, 16, v26
	v_cndmask_b32_e32 v17, 0, v7, vcc
	v_cndmask_b32_e32 v16, 7, v6, vcc
	v_cmp_ne_u32_e32 vcc, 0, v26
	v_cmp_ne_u64_e64 s[22:23], 0, v[16:17]
	s_or_b64 s[22:23], vcc, s[22:23]
                                        ; implicit-def: $vgpr25
	s_and_saveexec_b64 vcc, s[22:23]
	s_xor_b64 s[22:23], exec, vcc
; %bb.1701:                             ;   in Loop: Header=BB6_1289 Depth=2
	v_min_i32_e32 v6, 15, v26
	v_lshl_or_b32 v6, v6, 3, v20
	v_and_or_b32 v25, v16, 7, v6
                                        ; implicit-def: $vgpr20
; %bb.1702:                             ;   in Loop: Header=BB6_1289 Depth=2
	s_andn2_saveexec_b64 s[22:23], s[22:23]
; %bb.1703:                             ;   in Loop: Header=BB6_1289 Depth=2
	v_mov_b32_e32 v25, v20
; %bb.1704:                             ;   in Loop: Header=BB6_1289 Depth=2
	s_or_b64 exec, exec, s[22:23]
.LBB6_1705:                             ;   in Loop: Header=BB6_1289 Depth=2
	s_or_b64 exec, exec, s[62:63]
.LBB6_1706:                             ;   in Loop: Header=BB6_1289 Depth=2
	s_andn2_saveexec_b64 s[22:23], s[60:61]
	s_or_b64 exec, exec, s[22:23]
                                        ; implicit-def: $vgpr16
.LBB6_1707:                             ;   in Loop: Header=BB6_1289 Depth=2
	s_andn2_saveexec_b64 s[22:23], s[58:59]
; %bb.1708:                             ;   in Loop: Header=BB6_1289 Depth=2
	v_or_b32_sdwa v6, v16, s76 dst_sel:DWORD dst_unused:UNUSED_PAD src0_sel:BYTE_3 src1_sel:DWORD
	v_cmp_eq_u64_e32 vcc, 0, v[56:57]
	v_cndmask_b32_e32 v25, v6, v25, vcc
; %bb.1709:                             ;   in Loop: Header=BB6_1289 Depth=2
	s_or_b64 exec, exec, s[22:23]
	v_and_b32_e32 v16, 0xff, v23
	v_cmp_ne_u16_e32 vcc, 0, v16
	v_mov_b32_e32 v17, 0
	v_mov_b32_e32 v20, 0
	s_and_saveexec_b64 s[22:23], vcc
	s_cbranch_execz .LBB6_1715
; %bb.1710:                             ;   in Loop: Header=BB6_1289 Depth=2
	v_cmp_ne_u16_e32 vcc, s75, v16
	v_bfrev_b32_e32 v20, 1
	s_and_saveexec_b64 s[58:59], vcc
	s_cbranch_execz .LBB6_1714
; %bb.1711:                             ;   in Loop: Header=BB6_1289 Depth=2
	v_and_b32_e32 v26, 0x7f, v23
	v_cmp_ne_u32_e32 vcc, s76, v26
	v_mov_b32_e32 v20, 0x7f800001
	s_and_saveexec_b64 s[60:61], vcc
	s_cbranch_execz .LBB6_1713
; %bb.1712:                             ;   in Loop: Header=BB6_1289 Depth=2
	v_and_b32_e32 v8, 7, v16
	v_ffbh_u32_e32 v6, v8
	v_min_u32_e32 v20, 32, v6
	v_subrev_u32_e32 v6, 28, v20
	v_lshlrev_b64 v[6:7], v6, v[16:17]
	v_lshrrev_b32_e32 v9, 3, v26
	v_sub_u32_e32 v7, 29, v20
	v_and_b32_e32 v6, 7, v6
	v_cmp_gt_u32_e32 vcc, 8, v26
	v_cndmask_b32_e32 v7, v9, v7, vcc
	v_cndmask_b32_e32 v6, v8, v6, vcc
	v_lshlrev_b32_e32 v8, 24, v23
	v_lshlrev_b32_e32 v6, 20, v6
	v_and_b32_e32 v8, 0x80000000, v8
	v_lshl_add_u32 v7, v7, 23, v29
	v_or3_b32 v20, v8, v7, v6
.LBB6_1713:                             ;   in Loop: Header=BB6_1289 Depth=2
	s_or_b64 exec, exec, s[60:61]
.LBB6_1714:                             ;   in Loop: Header=BB6_1289 Depth=2
	s_or_b64 exec, exec, s[58:59]
.LBB6_1715:                             ;   in Loop: Header=BB6_1289 Depth=2
	s_or_b64 exec, exec, s[22:23]
	v_and_b32_e32 v16, 0xff, v22
	v_cmp_ne_u16_e32 vcc, 0, v16
	s_and_saveexec_b64 s[22:23], vcc
	s_cbranch_execz .LBB6_1721
; %bb.1716:                             ;   in Loop: Header=BB6_1289 Depth=2
	v_cmp_ne_u16_e32 vcc, s75, v16
	v_bfrev_b32_e32 v17, 1
	s_and_saveexec_b64 s[58:59], vcc
	s_cbranch_execz .LBB6_1720
; %bb.1717:                             ;   in Loop: Header=BB6_1289 Depth=2
	v_and_b32_e32 v23, 0x7f, v22
	v_cmp_ne_u32_e32 vcc, s76, v23
	v_mov_b32_e32 v17, 0x7f800001
	s_and_saveexec_b64 s[60:61], vcc
	s_cbranch_execz .LBB6_1719
; %bb.1718:                             ;   in Loop: Header=BB6_1289 Depth=2
	v_and_b32_e32 v8, 7, v16
	v_ffbh_u32_e32 v6, v8
	v_min_u32_e32 v17, 32, v6
	v_subrev_u32_e32 v6, 28, v17
	v_lshlrev_b64 v[6:7], v6, v[16:17]
	v_lshrrev_b32_e32 v9, 3, v23
	v_sub_u32_e32 v7, 29, v17
	v_and_b32_e32 v6, 7, v6
	v_cmp_gt_u32_e32 vcc, 8, v23
	v_cndmask_b32_e32 v7, v9, v7, vcc
	v_cndmask_b32_e32 v6, v8, v6, vcc
	v_lshlrev_b32_e32 v8, 24, v22
	v_lshlrev_b32_e32 v6, 20, v6
	v_and_b32_e32 v8, 0x80000000, v8
	v_lshl_add_u32 v7, v7, 23, v29
	v_or3_b32 v17, v8, v7, v6
.LBB6_1719:                             ;   in Loop: Header=BB6_1289 Depth=2
	s_or_b64 exec, exec, s[60:61]
.LBB6_1720:                             ;   in Loop: Header=BB6_1289 Depth=2
	s_or_b64 exec, exec, s[58:59]
.LBB6_1721:                             ;   in Loop: Header=BB6_1289 Depth=2
	s_or_b64 exec, exec, s[22:23]
	v_add_f32_e32 v16, v20, v17
	v_and_b32_sdwa v20, v16, s75 dst_sel:DWORD dst_unused:UNUSED_PAD src0_sel:BYTE_3 src1_sel:DWORD
	v_and_b32_e32 v6, 0x7f800000, v16
	v_mov_b32_e32 v7, v57
	v_and_b32_e32 v56, 0x7fffff, v16
	v_or_b32_e32 v17, 0x7e, v20
	v_cmp_ne_u64_e32 vcc, s[42:43], v[6:7]
	s_and_saveexec_b64 s[22:23], vcc
	s_xor_b64 s[58:59], exec, s[22:23]
	s_cbranch_execz .LBB6_1735
; %bb.1722:                             ;   in Loop: Header=BB6_1289 Depth=2
	v_and_b32_e32 v6, 0x7fffffff, v16
	v_mov_b32_e32 v7, v57
	v_cmp_gt_u64_e32 vcc, s[44:45], v[6:7]
	s_and_saveexec_b64 s[22:23], vcc
	s_xor_b64 s[60:61], exec, s[22:23]
	s_cbranch_execz .LBB6_1734
; %bb.1723:                             ;   in Loop: Header=BB6_1289 Depth=2
	v_cmp_ne_u32_e32 vcc, 0, v16
	v_mov_b32_e32 v17, 0
	s_and_saveexec_b64 s[62:63], vcc
	s_cbranch_execz .LBB6_1733
; %bb.1724:                             ;   in Loop: Header=BB6_1289 Depth=2
	v_bfe_u32 v6, v16, 23, 8
	v_sub_u32_e32 v8, 0x79, v6
	v_cmp_gt_u32_e32 vcc, s77, v6
	v_add_u32_e32 v7, 0xffffff81, v6
	v_cndmask_b32_e32 v8, 0, v8, vcc
	v_cmp_eq_u32_e32 vcc, 0, v6
	v_mov_b32_e32 v6, 0x78
	v_or_b32_e32 v9, 0x800000, v56
	v_cndmask_b32_e32 v23, v8, v6, vcc
	v_cndmask_b32_e32 v56, v9, v56, vcc
	v_add_u32_e32 v6, 20, v23
	v_cndmask_b32_e32 v22, v7, v33, vcc
	v_lshlrev_b64 v[6:7], v6, -1
	v_lshrrev_b64 v[16:17], v23, v[56:57]
	v_not_b32_e32 v7, v7
	v_not_b32_e32 v6, v6
	v_add_u32_e32 v8, 19, v23
	v_lshrrev_b32_e32 v26, 23, v16
	v_and_b32_e32 v7, 0, v7
	v_and_b32_e32 v6, v56, v6
	v_lshlrev_b64 v[8:9], v8, 1
	v_add3_u32 v26, v23, v22, v26
	v_bfe_u32 v22, v16, 20, 1
	v_add_u32_e32 v22, -1, v22
	v_cmp_eq_u64_e32 vcc, v[6:7], v[8:9]
	v_cndmask_b32_e32 v6, 0, v22, vcc
	v_add_u32_e32 v6, v6, v16
	v_and_b32_e32 v6, 0xfffff, v6
	v_add_co_u32_e32 v16, vcc, v6, v16
	v_add_u32_e32 v23, 6, v26
	v_addc_co_u32_e32 v17, vcc, 0, v17, vcc
	v_cmp_ne_u32_e32 vcc, 0, v23
                                        ; implicit-def: $vgpr22
	s_and_saveexec_b64 s[22:23], vcc
	s_xor_b64 s[22:23], exec, s[22:23]
; %bb.1725:                             ;   in Loop: Header=BB6_1289 Depth=2
	v_add_u32_e32 v6, 7, v26
	v_cmp_lt_u64_e32 vcc, s[48:49], v[16:17]
	v_cndmask_b32_e32 v22, v23, v6, vcc
	v_cndmask_b32_e64 v6, 0, 1, vcc
	v_lshrrev_b64 v[16:17], v6, v[16:17]
; %bb.1726:                             ;   in Loop: Header=BB6_1289 Depth=2
	s_andn2_saveexec_b64 s[22:23], s[22:23]
; %bb.1727:                             ;   in Loop: Header=BB6_1289 Depth=2
	v_bfe_u32 v22, v16, 23, 1
; %bb.1728:                             ;   in Loop: Header=BB6_1289 Depth=2
	s_or_b64 exec, exec, s[22:23]
	v_lshrrev_b64 v[6:7], 20, v[16:17]
	v_cmp_gt_i32_e32 vcc, 16, v22
	v_cndmask_b32_e32 v17, 0, v7, vcc
	v_cndmask_b32_e32 v16, 7, v6, vcc
	v_cmp_ne_u32_e32 vcc, 0, v22
	v_cmp_ne_u64_e64 s[22:23], 0, v[16:17]
	s_or_b64 s[22:23], vcc, s[22:23]
                                        ; implicit-def: $vgpr17
	s_and_saveexec_b64 vcc, s[22:23]
	s_xor_b64 s[22:23], exec, vcc
; %bb.1729:                             ;   in Loop: Header=BB6_1289 Depth=2
	v_min_i32_e32 v6, 15, v22
	v_lshl_or_b32 v6, v6, 3, v20
	v_and_or_b32 v17, v16, 7, v6
                                        ; implicit-def: $vgpr20
; %bb.1730:                             ;   in Loop: Header=BB6_1289 Depth=2
	s_andn2_saveexec_b64 s[22:23], s[22:23]
; %bb.1731:                             ;   in Loop: Header=BB6_1289 Depth=2
	v_mov_b32_e32 v17, v20
; %bb.1732:                             ;   in Loop: Header=BB6_1289 Depth=2
	s_or_b64 exec, exec, s[22:23]
.LBB6_1733:                             ;   in Loop: Header=BB6_1289 Depth=2
	s_or_b64 exec, exec, s[62:63]
.LBB6_1734:                             ;   in Loop: Header=BB6_1289 Depth=2
	s_andn2_saveexec_b64 s[22:23], s[60:61]
	s_or_b64 exec, exec, s[22:23]
                                        ; implicit-def: $vgpr16
.LBB6_1735:                             ;   in Loop: Header=BB6_1289 Depth=2
	s_andn2_saveexec_b64 s[22:23], s[58:59]
	s_cbranch_execz .LBB6_1288
; %bb.1736:                             ;   in Loop: Header=BB6_1289 Depth=2
	v_or_b32_sdwa v6, v16, s76 dst_sel:DWORD dst_unused:UNUSED_PAD src0_sel:BYTE_3 src1_sel:DWORD
	v_cmp_eq_u64_e32 vcc, 0, v[56:57]
	v_cndmask_b32_e32 v17, v6, v17, vcc
	s_branch .LBB6_1288
.LBB6_1737:                             ;   in Loop: Header=BB6_49 Depth=1
	s_or_b64 exec, exec, s[56:57]
	v_accvgpr_read_b32 v41, a5
	v_accvgpr_read_b32 v59, a7
	;; [unrolled: 1-line block ×8, first 2 shown]
	v_mov_b32_e32 v20, 1
	v_accvgpr_read_b32 v42, a38
	v_accvgpr_read_b32 v6, a40
	v_accvgpr_read_b32 v21, a37
	v_accvgpr_read_b32 v4, a39
	v_accvgpr_read_b32 v5, a41
.LBB6_1738:                             ;   in Loop: Header=BB6_49 Depth=1
	s_or_b64 exec, exec, s[54:55]
	v_lshlrev_b32_e32 v2, 10, v5
	v_cmp_ne_u32_e32 vcc, v1, v2
	s_and_b64 exec, exec, vcc
	s_cbranch_execz .LBB6_1770
; %bb.1739:                             ;   in Loop: Header=BB6_49 Depth=1
	v_add_u32_e32 v4, v3, v4
	v_and_b32_e32 v4, 0xffffffc0, v4
	v_sub_u32_e32 v3, v3, v4
	v_lshlrev_b32_e32 v4, 6, v18
	v_sub_u32_e32 v3, v3, v4
	v_add_u32_e32 v2, v2, v3
	v_sub_u32_e32 v1, v1, v2
	v_cmp_lt_i32_e32 vcc, 0, v1
	s_and_b64 exec, exec, vcc
	s_cbranch_execz .LBB6_1770
; %bb.1740:                             ;   in Loop: Header=BB6_49 Depth=1
	s_trap 2
	ds_read_b128 v[4:7], v0
	v_add_u32_e32 v0, v2, v0
	ds_read_b64 v[2:3], v0
	v_ashrrev_i32_e32 v8, 31, v0
	v_mov_b32_e32 v22, v42
	s_waitcnt lgkmcnt(0)
	v_add_co_u32_e32 v10, vcc, v4, v0
	v_addc_co_u32_e32 v11, vcc, v5, v8, vcc
	v_add_co_u32_e32 v12, vcc, v6, v0
	v_addc_co_u32_e32 v13, vcc, v7, v8, vcc
	v_add_co_u32_e32 v14, vcc, v2, v0
	v_accvgpr_read_b32 v6, a40
	v_addc_co_u32_e32 v15, vcc, v3, v8, vcc
	s_mov_b64 s[54:55], 0
	s_branch .LBB6_1742
.LBB6_1741:                             ;   in Loop: Header=BB6_1742 Depth=2
	s_or_b64 exec, exec, s[22:23]
	v_accvgpr_read_b32 v0, a36
	v_add_co_u32_e32 v10, vcc, v10, v0
	v_accvgpr_read_b32 v3, a35
	v_addc_co_u32_e32 v11, vcc, v11, v3, vcc
	v_add_co_u32_e32 v12, vcc, v12, v0
	v_addc_co_u32_e32 v13, vcc, v13, v3, vcc
	v_sub_u32_e32 v1, v1, v0
	v_cmp_gt_i32_e32 vcc, 1, v1
	flat_store_byte v[14:15], v2 glc slc
	s_or_b64 s[54:55], vcc, s[54:55]
	v_add_co_u32_e32 v14, vcc, v14, v0
	v_addc_co_u32_e32 v15, vcc, v15, v3, vcc
	s_andn2_b64 exec, exec, s[54:55]
	s_cbranch_execz .LBB6_1770
.LBB6_1742:                             ;   Parent Loop BB6_49 Depth=1
                                        ; =>  This Inner Loop Header: Depth=2
	flat_load_ubyte v4, v[10:11] glc slc
	flat_load_ubyte v2, v[12:13] glc slc
	v_mov_b32_e32 v0, 0
	v_mov_b32_e32 v3, 0
	s_waitcnt vmcnt(0) lgkmcnt(0)
	v_cmp_ne_u16_e32 vcc, 0, v4
	s_and_saveexec_b64 s[22:23], vcc
	s_cbranch_execz .LBB6_1748
; %bb.1743:                             ;   in Loop: Header=BB6_1742 Depth=2
	v_cmp_ne_u16_e32 vcc, s75, v4
	v_bfrev_b32_e32 v3, 1
	s_and_saveexec_b64 s[56:57], vcc
	s_cbranch_execz .LBB6_1747
; %bb.1744:                             ;   in Loop: Header=BB6_1742 Depth=2
	v_and_b32_e32 v16, 0xffff, v4
	v_and_b32_e32 v5, 0x7f, v16
	v_cmp_ne_u32_e32 vcc, s76, v5
	v_mov_b32_e32 v3, 0x7f800001
	s_and_saveexec_b64 s[58:59], vcc
	s_cbranch_execz .LBB6_1746
; %bb.1745:                             ;   in Loop: Header=BB6_1742 Depth=2
	v_and_b32_e32 v3, 7, v16
	v_ffbh_u32_e32 v6, v3
	v_min_u32_e32 v9, 32, v6
	v_subrev_u32_e32 v6, 28, v9
	v_lshlrev_b64 v[6:7], v6, v[16:17]
	v_lshrrev_b32_e32 v8, 3, v5
	v_sub_u32_e32 v7, 29, v9
	v_and_b32_e32 v6, 7, v6
	v_cmp_gt_u32_e32 vcc, 8, v5
	v_cndmask_b32_e32 v5, v8, v7, vcc
	v_cndmask_b32_e32 v3, v3, v6, vcc
	v_lshlrev_b32_e32 v4, 24, v4
	v_lshlrev_b32_e32 v3, 20, v3
	v_and_b32_e32 v4, 0x80000000, v4
	v_lshl_add_u32 v5, v5, 23, v29
	v_accvgpr_read_b32 v6, a40
	v_mov_b32_e32 v42, v22
	v_or3_b32 v3, v4, v5, v3
.LBB6_1746:                             ;   in Loop: Header=BB6_1742 Depth=2
	s_or_b64 exec, exec, s[58:59]
.LBB6_1747:                             ;   in Loop: Header=BB6_1742 Depth=2
	s_or_b64 exec, exec, s[56:57]
.LBB6_1748:                             ;   in Loop: Header=BB6_1742 Depth=2
	s_or_b64 exec, exec, s[22:23]
	v_and_b32_e32 v16, 0xff, v2
	v_cmp_ne_u16_e32 vcc, 0, v16
	s_and_saveexec_b64 s[22:23], vcc
	s_cbranch_execz .LBB6_1754
; %bb.1749:                             ;   in Loop: Header=BB6_1742 Depth=2
	v_cmp_ne_u16_e32 vcc, s75, v16
	v_bfrev_b32_e32 v0, 1
	s_and_saveexec_b64 s[56:57], vcc
	s_cbranch_execz .LBB6_1753
; %bb.1750:                             ;   in Loop: Header=BB6_1742 Depth=2
	v_and_b32_e32 v4, 0x7f, v2
	v_cmp_ne_u32_e32 vcc, s76, v4
	v_mov_b32_e32 v0, 0x7f800001
	s_and_saveexec_b64 s[58:59], vcc
	s_cbranch_execz .LBB6_1752
; %bb.1751:                             ;   in Loop: Header=BB6_1742 Depth=2
	v_and_b32_e32 v0, 7, v16
	v_ffbh_u32_e32 v6, v0
	v_min_u32_e32 v8, 32, v6
	v_subrev_u32_e32 v6, 28, v8
	v_lshlrev_b64 v[6:7], v6, v[16:17]
	v_lshrrev_b32_e32 v5, 3, v4
	v_sub_u32_e32 v7, 29, v8
	v_and_b32_e32 v6, 7, v6
	v_cmp_gt_u32_e32 vcc, 8, v4
	v_lshlrev_b32_e32 v2, 24, v2
	v_cndmask_b32_e32 v4, v5, v7, vcc
	v_cndmask_b32_e32 v0, v0, v6, vcc
	v_and_b32_e32 v2, 0x80000000, v2
	v_lshlrev_b32_e32 v0, 20, v0
	v_lshl_add_u32 v4, v4, 23, v29
	v_accvgpr_read_b32 v6, a40
	v_mov_b32_e32 v42, v22
	v_or3_b32 v0, v2, v4, v0
.LBB6_1752:                             ;   in Loop: Header=BB6_1742 Depth=2
	s_or_b64 exec, exec, s[58:59]
.LBB6_1753:                             ;   in Loop: Header=BB6_1742 Depth=2
	s_or_b64 exec, exec, s[56:57]
.LBB6_1754:                             ;   in Loop: Header=BB6_1742 Depth=2
	s_or_b64 exec, exec, s[22:23]
	v_add_f32_e32 v3, v3, v0
	v_and_b32_sdwa v0, v3, s75 dst_sel:DWORD dst_unused:UNUSED_PAD src0_sel:BYTE_3 src1_sel:DWORD
	v_and_b32_e32 v4, 0x7f800000, v3
	v_mov_b32_e32 v5, v57
	v_and_b32_e32 v56, 0x7fffff, v3
	v_or_b32_e32 v2, 0x7e, v0
	v_cmp_ne_u64_e32 vcc, s[42:43], v[4:5]
	s_and_saveexec_b64 s[22:23], vcc
	s_xor_b64 s[56:57], exec, s[22:23]
	s_cbranch_execz .LBB6_1768
; %bb.1755:                             ;   in Loop: Header=BB6_1742 Depth=2
	v_and_b32_e32 v4, 0x7fffffff, v3
	v_mov_b32_e32 v5, v57
	v_cmp_gt_u64_e32 vcc, s[44:45], v[4:5]
	s_and_saveexec_b64 s[22:23], vcc
	s_xor_b64 s[58:59], exec, s[22:23]
	s_cbranch_execz .LBB6_1767
; %bb.1756:                             ;   in Loop: Header=BB6_1742 Depth=2
	v_cmp_ne_u32_e32 vcc, 0, v3
	v_mov_b32_e32 v2, 0
	s_and_saveexec_b64 s[60:61], vcc
	s_cbranch_execz .LBB6_1766
; %bb.1757:                             ;   in Loop: Header=BB6_1742 Depth=2
	v_bfe_u32 v2, v3, 23, 8
	v_sub_u32_e32 v4, 0x79, v2
	v_cmp_gt_u32_e32 vcc, s77, v2
	v_add_u32_e32 v3, 0xffffff81, v2
	v_cndmask_b32_e32 v4, 0, v4, vcc
	v_cmp_eq_u32_e32 vcc, 0, v2
	v_mov_b32_e32 v2, 0x78
	v_cndmask_b32_e32 v4, v4, v2, vcc
	v_add_u32_e32 v2, 20, v4
	v_or_b32_e32 v5, 0x800000, v56
	v_cndmask_b32_e32 v18, v3, v33, vcc
	v_lshlrev_b64 v[2:3], v2, -1
	v_cndmask_b32_e32 v56, v5, v56, vcc
	v_not_b32_e32 v2, v2
	v_not_b32_e32 v3, v3
	v_and_b32_e32 v6, v56, v2
	v_add_u32_e32 v2, 19, v4
	v_lshrrev_b64 v[16:17], v4, v[56:57]
	v_and_b32_e32 v7, 0, v3
	v_lshlrev_b64 v[8:9], v2, 1
	v_bfe_u32 v3, v16, 20, 1
	v_add_u32_e32 v3, -1, v3
	v_cmp_eq_u64_e32 vcc, v[6:7], v[8:9]
	v_cndmask_b32_e32 v3, 0, v3, vcc
	v_add_u32_e32 v3, v3, v16
	v_lshrrev_b32_e32 v2, 23, v16
	v_and_b32_e32 v3, 0xfffff, v3
	v_add3_u32 v4, v4, v18, v2
	v_add_co_u32_e32 v16, vcc, v3, v16
	v_add_u32_e32 v2, 6, v4
	v_addc_co_u32_e32 v17, vcc, 0, v17, vcc
	v_cmp_ne_u32_e32 vcc, 0, v2
                                        ; implicit-def: $vgpr3
	s_and_saveexec_b64 s[22:23], vcc
	s_xor_b64 s[22:23], exec, s[22:23]
; %bb.1758:                             ;   in Loop: Header=BB6_1742 Depth=2
	v_add_u32_e32 v3, 7, v4
	v_cmp_lt_u64_e32 vcc, s[48:49], v[16:17]
	v_cndmask_b32_e32 v3, v2, v3, vcc
	v_cndmask_b32_e64 v2, 0, 1, vcc
	v_lshrrev_b64 v[16:17], v2, v[16:17]
; %bb.1759:                             ;   in Loop: Header=BB6_1742 Depth=2
	s_andn2_saveexec_b64 s[22:23], s[22:23]
; %bb.1760:                             ;   in Loop: Header=BB6_1742 Depth=2
	v_bfe_u32 v3, v16, 23, 1
; %bb.1761:                             ;   in Loop: Header=BB6_1742 Depth=2
	s_or_b64 exec, exec, s[22:23]
	v_lshrrev_b64 v[4:5], 20, v[16:17]
	v_cmp_gt_i32_e32 vcc, 16, v3
	v_cndmask_b32_e32 v17, 0, v5, vcc
	v_cndmask_b32_e32 v16, 7, v4, vcc
	v_cmp_ne_u32_e32 vcc, 0, v3
	v_cmp_ne_u64_e64 s[22:23], 0, v[16:17]
	s_or_b64 s[22:23], vcc, s[22:23]
                                        ; implicit-def: $vgpr2
	s_mov_b64 vcc, exec
	s_and_b64 s[62:63], vcc, s[22:23]
	s_xor_b64 s[22:23], s[62:63], vcc
	v_mov_b32_e32 v42, v22
	v_accvgpr_read_b32 v6, a40
	s_mov_b64 exec, s[62:63]
; %bb.1762:                             ;   in Loop: Header=BB6_1742 Depth=2
	v_min_i32_e32 v2, 15, v3
	v_lshl_or_b32 v0, v2, 3, v0
	v_and_or_b32 v2, v16, 7, v0
                                        ; implicit-def: $vgpr0
; %bb.1763:                             ;   in Loop: Header=BB6_1742 Depth=2
	s_andn2_saveexec_b64 s[22:23], s[22:23]
; %bb.1764:                             ;   in Loop: Header=BB6_1742 Depth=2
	v_mov_b32_e32 v2, v0
; %bb.1765:                             ;   in Loop: Header=BB6_1742 Depth=2
	s_or_b64 exec, exec, s[22:23]
.LBB6_1766:                             ;   in Loop: Header=BB6_1742 Depth=2
	s_or_b64 exec, exec, s[60:61]
.LBB6_1767:                             ;   in Loop: Header=BB6_1742 Depth=2
	s_andn2_saveexec_b64 s[22:23], s[58:59]
	s_or_b64 exec, exec, s[22:23]
                                        ; implicit-def: $vgpr3
.LBB6_1768:                             ;   in Loop: Header=BB6_1742 Depth=2
	s_andn2_saveexec_b64 s[22:23], s[56:57]
	s_cbranch_execz .LBB6_1741
; %bb.1769:                             ;   in Loop: Header=BB6_1742 Depth=2
	v_or_b32_sdwa v0, v3, s76 dst_sel:DWORD dst_unused:UNUSED_PAD src0_sel:BYTE_3 src1_sel:DWORD
	v_cmp_eq_u64_e32 vcc, 0, v[56:57]
	v_cndmask_b32_e32 v2, v0, v2, vcc
	s_branch .LBB6_1741
.LBB6_1770:                             ;   in Loop: Header=BB6_49 Depth=1
	s_or_b64 exec, exec, s[24:25]
	v_cmp_ne_u32_e64 s[22:23], 0, v21
.LBB6_1771:                             ;   in Loop: Header=BB6_49 Depth=1
	s_and_saveexec_b64 s[24:25], s[12:13]
	s_cbranch_execz .LBB6_1790
; %bb.1772:                             ;   in Loop: Header=BB6_49 Depth=1
	s_and_saveexec_b64 vcc, s[36:37]
	s_xor_b64 s[54:55], exec, vcc
	s_cbranch_execz .LBB6_1787
; %bb.1773:                             ;   in Loop: Header=BB6_49 Depth=1
	s_and_saveexec_b64 s[56:57], s[14:15]
	s_cbranch_execz .LBB6_1786
; %bb.1774:                             ;   in Loop: Header=BB6_49 Depth=1
	s_mov_b64 s[60:61], exec
	v_mbcnt_lo_u32_b32 v0, s60, 0
	v_mbcnt_hi_u32_b32 v0, s61, v0
	v_cmp_eq_u32_e32 vcc, 0, v0
	s_waitcnt vmcnt(0) lgkmcnt(0)
	buffer_wbinvl1_vol
	s_and_saveexec_b64 s[58:59], vcc
	s_cbranch_execz .LBB6_1776
; %bb.1775:                             ;   in Loop: Header=BB6_49 Depth=1
	s_bcnt1_i32_b64 vcc_lo, s[60:61]
	v_mov_b32_e32 v56, vcc_lo
	ds_add_u64 v0, v[56:57]
	s_trap 2
.LBB6_1776:                             ;   in Loop: Header=BB6_49 Depth=1
	s_or_b64 exec, exec, s[58:59]
	s_trap 2
	ds_read_b64 v[0:1], v0
	v_accvgpr_read_b32 v2, a22
	v_accvgpr_read_b32 v4, a28
	;; [unrolled: 1-line block ×3, first 2 shown]
	v_add_co_u32_e32 v2, vcc, v2, v4
	v_addc_co_u32_e32 v3, vcc, 0, v3, vcc
	v_accvgpr_write_b32 a23, v3
	v_accvgpr_write_b32 a22, v2
	s_waitcnt lgkmcnt(0)
	v_cmp_lt_u64_e32 vcc, v[0:1], v[2:3]
	s_and_saveexec_b64 s[58:59], vcc
	s_cbranch_execz .LBB6_1785
; %bb.1777:                             ;   in Loop: Header=BB6_49 Depth=1
	s_mov_b32 s79, 0
	s_mov_b64 s[60:61], 0
                                        ; implicit-def: $sgpr62_sgpr63
                                        ; implicit-def: $sgpr64_sgpr65
	s_branch .LBB6_1779
.LBB6_1778:                             ;   in Loop: Header=BB6_1779 Depth=2
	s_or_b64 exec, exec, s[68:69]
	s_and_b64 vcc, exec, vcc
	s_or_b64 s[60:61], vcc, s[60:61]
	s_andn2_b64 vcc, s[62:63], exec
	s_and_b64 s[62:63], s[64:65], exec
	s_or_b64 s[62:63], vcc, s[62:63]
	s_andn2_b64 exec, exec, s[60:61]
	s_cbranch_execz .LBB6_1783
.LBB6_1779:                             ;   Parent Loop BB6_49 Depth=1
                                        ; =>  This Inner Loop Header: Depth=2
	s_add_i32 s79, s79, 1
	s_cmpk_lg_i32 s79, 0x2710
	s_cselect_b64 s[66:67], -1, 0
	s_and_b64 vcc, exec, s[66:67]
                                        ; implicit-def: $sgpr68_sgpr69
	s_cbranch_vccnz .LBB6_1781
; %bb.1780:                             ;   in Loop: Header=BB6_1779 Depth=2
	s_trap 2
	ds_read_b64 v[0:1], v0
	s_andn2_b64 s[66:67], s[66:67], exec
	s_mov_b32 s79, 0
	s_mov_b64 s[68:69], -1
	s_waitcnt lgkmcnt(0)
	flat_load_dword v0, v[0:1] glc
	s_waitcnt vmcnt(0) lgkmcnt(0)
	buffer_invl2
	buffer_wbinvl1_vol
	v_cmp_eq_u32_e32 vcc, 0, v0
	s_and_b64 vcc, vcc, exec
	s_or_b64 s[66:67], s[66:67], vcc
.LBB6_1781:                             ;   in Loop: Header=BB6_1779 Depth=2
	s_andn2_b64 s[64:65], s[64:65], exec
	s_and_b64 s[68:69], s[68:69], exec
	s_mov_b64 vcc, -1
	s_or_b64 s[64:65], s[64:65], s[68:69]
	s_and_saveexec_b64 s[68:69], s[66:67]
	s_cbranch_execz .LBB6_1778
; %bb.1782:                             ;   in Loop: Header=BB6_1779 Depth=2
	s_sleep 1
	s_trap 2
	ds_read_b64 v[0:1], v0
	v_accvgpr_read_b32 v2, a22
	v_accvgpr_read_b32 v3, a23
	s_andn2_b64 s[64:65], s[64:65], exec
	s_waitcnt lgkmcnt(0)
	v_cmp_ge_u64_e32 vcc, v[0:1], v[2:3]
	s_orn2_b64 vcc, vcc, exec
	s_branch .LBB6_1778
.LBB6_1783:                             ;   in Loop: Header=BB6_49 Depth=1
	s_or_b64 exec, exec, s[60:61]
	s_and_saveexec_b64 vcc, s[62:63]
	s_xor_b64 vcc, exec, vcc
	s_cbranch_execz .LBB6_1785
; %bb.1784:                             ;   in Loop: Header=BB6_49 Depth=1
	ds_write_b32 v0, v20
	s_trap 2
.LBB6_1785:                             ;   in Loop: Header=BB6_49 Depth=1
	s_or_b64 exec, exec, s[58:59]
	;;#ASMSTART
	s_wakeup
	;;#ASMEND
.LBB6_1786:                             ;   in Loop: Header=BB6_49 Depth=1
	s_or_b64 exec, exec, s[56:57]
.LBB6_1787:                             ;   in Loop: Header=BB6_49 Depth=1
	s_andn2_saveexec_b64 vcc, s[54:55]
	s_cbranch_execz .LBB6_1789
; %bb.1788:                             ;   in Loop: Header=BB6_49 Depth=1
	s_waitcnt vmcnt(0) lgkmcnt(0)
	buffer_wbinvl1_vol
	s_barrier
.LBB6_1789:                             ;   in Loop: Header=BB6_49 Depth=1
	s_or_b64 exec, exec, vcc
.LBB6_1790:                             ;   in Loop: Header=BB6_49 Depth=1
	s_or_b64 exec, exec, s[24:25]
	v_and_b32_e32 v0, 16, v62
	v_cmp_ne_u32_e32 vcc, 0, v0
	s_and_b64 s[24:25], vcc, s[22:23]
	s_and_saveexec_b64 s[22:23], s[24:25]
	s_cbranch_execz .LBB6_1792
; %bb.1791:                             ;   in Loop: Header=BB6_49 Depth=1
	s_waitcnt vmcnt(0) lgkmcnt(0)
	buffer_wbinvl1_vol
.LBB6_1792:                             ;   in Loop: Header=BB6_49 Depth=1
	s_or_b64 exec, exec, s[22:23]
	v_cmp_ne_u32_e32 vcc, 0, v0
	s_xor_b64 s[22:23], s[20:21], -1
	s_and_b64 s[24:25], vcc, s[22:23]
	s_and_saveexec_b64 s[22:23], s[24:25]
	s_cbranch_execz .LBB6_1794
; %bb.1793:                             ;   in Loop: Header=BB6_49 Depth=1
	v_accvgpr_read_b32 v0, a26
	v_accvgpr_read_b32 v1, a27
	flat_store_dword v[0:1], v20
.LBB6_1794:                             ;   in Loop: Header=BB6_49 Depth=1
	s_or_b64 exec, exec, s[22:23]
	v_and_b32_e32 v0, 48, v62
	v_cmp_ne_u32_e32 vcc, 0, v0
	s_and_saveexec_b64 s[22:23], vcc
	s_cbranch_execz .LBB6_1796
; %bb.1795:                             ;   in Loop: Header=BB6_49 Depth=1
	v_accvgpr_read_b32 v0, a12
	v_accvgpr_read_b32 v2, a14
	;; [unrolled: 1-line block ×3, first 2 shown]
	v_add_co_u32_e32 v2, vcc, 1, v2
	v_addc_co_u32_e32 v3, vcc, 0, v3, vcc
	v_accvgpr_read_b32 v1, a13
	v_accvgpr_write_b32 a15, v3
	v_accvgpr_write_b32 a14, v2
	v_accvgpr_write_b32 a13, v1
	v_accvgpr_write_b32 a12, v0
	flat_store_dwordx2 v[60:61], v[2:3]
.LBB6_1796:                             ;   in Loop: Header=BB6_49 Depth=1
	s_or_b64 exec, exec, s[22:23]
	v_mov_b32_e32 v0, v6
.LBB6_1797:                             ;   in Loop: Header=BB6_49 Depth=1
	s_or_b64 exec, exec, s[52:53]
	s_and_saveexec_b64 s[24:25], s[50:51]
	s_cbranch_execz .LBB6_48
; %bb.1798:                             ;   in Loop: Header=BB6_49 Depth=1
	v_and_b32_e32 v1, 12, v62
	v_cmp_ne_u32_e32 vcc, 0, v1
	s_mov_b64 s[50:51], -1
	s_and_saveexec_b64 s[22:23], vcc
	s_cbranch_execz .LBB6_1810
; %bb.1799:                             ;   in Loop: Header=BB6_49 Depth=1
	v_and_b32_e32 v10, 8, v62
	v_mov_b32_e32 v8, v6
	v_add_co_u32_e32 v2, vcc, v36, v10
	v_accvgpr_read_b32 v4, a12
	v_addc_co_u32_e32 v3, vcc, 0, v37, vcc
	v_accvgpr_read_b32 v6, a14
	v_accvgpr_read_b32 v7, a15
	v_add_co_u32_e32 v12, vcc, 1, v6
	v_addc_co_u32_e32 v13, vcc, 0, v7, vcc
	v_cmp_lt_u64_e32 vcc, v[2:3], v[12:13]
	v_mov_b32_e32 v1, 1
	v_accvgpr_read_b32 v5, a13
	s_and_saveexec_b64 s[50:51], vcc
	s_cbranch_execz .LBB6_1809
; %bb.1800:                             ;   in Loop: Header=BB6_49 Depth=1
	s_mov_b64 s[52:53], 0
	v_mov_b32_e32 v1, 0
                                        ; implicit-def: $sgpr54_sgpr55
	s_branch .LBB6_1804
.LBB6_1801:                             ;   in Loop: Header=BB6_1804 Depth=2
	s_or_b64 exec, exec, s[62:63]
	v_mov_b32_e32 v2, 0
	s_orn2_b64 s[60:61], s[60:61], exec
.LBB6_1802:                             ;   in Loop: Header=BB6_1804 Depth=2
	s_or_b64 exec, exec, s[58:59]
	s_andn2_b64 vcc, s[54:55], exec
	s_and_b64 s[54:55], s[60:61], exec
	s_or_b64 s[54:55], vcc, s[54:55]
	v_mov_b32_e32 v1, v2
.LBB6_1803:                             ;   in Loop: Header=BB6_1804 Depth=2
	s_or_b64 exec, exec, s[56:57]
	s_waitcnt vmcnt(0) lgkmcnt(0)
	v_add_co_u32_e32 v2, vcc, v36, v10
	v_addc_co_u32_e32 v3, vcc, 0, v37, vcc
	v_cmp_ge_u64_e32 vcc, v[2:3], v[12:13]
	s_xor_b64 s[56:57], s[54:55], -1
	s_or_b64 vcc, s[56:57], vcc
	s_and_b64 vcc, exec, vcc
	s_or_b64 s[52:53], vcc, s[52:53]
	s_andn2_b64 exec, exec, s[52:53]
	s_cbranch_execz .LBB6_1808
.LBB6_1804:                             ;   Parent Loop BB6_49 Depth=1
                                        ; =>  This Inner Loop Header: Depth=2
	s_sleep 1
	flat_load_dwordx2 v[36:37], v[60:61] glc
	v_and_b32_e32 v2, 64, v62
	v_cmp_eq_u32_e32 vcc, 0, v2
	s_andn2_b64 s[54:55], s[54:55], exec
	s_and_saveexec_b64 s[56:57], vcc
	s_cbranch_execz .LBB6_1803
; %bb.1805:                             ;   in Loop: Header=BB6_1804 Depth=2
	v_add_u32_e32 v2, 1, v1
	v_cmp_lt_i32_e32 vcc, s73, v1
	s_mov_b64 s[60:61], -1
	s_and_saveexec_b64 s[58:59], vcc
	s_cbranch_execz .LBB6_1802
; %bb.1806:                             ;   in Loop: Header=BB6_1804 Depth=2
	s_trap 2
	ds_read_b64 v[2:3], v0
	s_waitcnt vmcnt(0) lgkmcnt(0)
	flat_load_dword v1, v[2:3] glc
	s_waitcnt vmcnt(0) lgkmcnt(0)
	buffer_invl2
	buffer_wbinvl1_vol
	v_cmp_ne_u32_e32 vcc, 0, v1
	s_and_saveexec_b64 s[62:63], vcc
	s_cbranch_execz .LBB6_1801
; %bb.1807:                             ;   in Loop: Header=BB6_1804 Depth=2
	v_or_b32_e32 v62, 64, v62
	s_xor_b64 s[60:61], exec, -1
	ds_write_b32 v0, v1
	s_trap 2
	s_branch .LBB6_1801
.LBB6_1808:                             ;   in Loop: Header=BB6_49 Depth=1
	s_or_b64 exec, exec, s[52:53]
	v_and_b32_e32 v1, 12, v62
.LBB6_1809:                             ;   in Loop: Header=BB6_49 Depth=1
	s_or_b64 exec, exec, s[50:51]
	v_cmp_eq_u32_e32 vcc, 0, v1
	s_orn2_b64 s[50:51], vcc, exec
	v_mov_b32_e32 v6, v8
	;;#ASMSTART
	s_wakeup
	;;#ASMEND
.LBB6_1810:                             ;   in Loop: Header=BB6_49 Depth=1
	s_or_b64 exec, exec, s[22:23]
	v_sub_u32_e32 v0, v42, v0
	s_xor_b64 s[22:23], s[50:51], -1
	v_min_i32_e32 v10, v6, v0
	s_and_saveexec_b64 s[50:51], s[22:23]
	s_cbranch_execz .LBB6_1822
; %bb.1811:                             ;   in Loop: Header=BB6_49 Depth=1
	v_and_b32_e32 v0, 0x108, v62
	v_cmp_ne_u32_e32 vcc, s74, v0
	v_accvgpr_read_b32 v0, a12
	v_accvgpr_read_b32 v2, a14
	v_and_b32_e32 v12, 7, v2
	v_accvgpr_read_b32 v1, a13
	v_accvgpr_read_b32 v3, a15
	s_and_saveexec_b64 s[22:23], vcc
	s_xor_b64 s[22:23], exec, s[22:23]
	s_andn2_saveexec_b64 s[22:23], s[22:23]
	s_cbranch_execz .LBB6_1813
; %bb.1812:                             ;   in Loop: Header=BB6_49 Depth=1
	v_accvgpr_read_b32 v0, a12
	v_accvgpr_read_b32 v1, a13
	v_mad_u64_u32 v[0:1], vcc, v12, 24, v[0:1]
	v_ashrrev_i32_e32 v11, 31, v10
	v_accvgpr_read_b32 v2, a14
	v_accvgpr_read_b32 v3, a15
	flat_store_dwordx2 v[0:1], v[10:11] offset:8
.LBB6_1813:                             ;   in Loop: Header=BB6_49 Depth=1
	s_or_b64 exec, exec, s[22:23]
	v_and_b32_e32 v0, 0x100, v62
	v_cmp_ne_u32_e32 vcc, 0, v0
	s_mov_b64 s[22:23], -1
                                        ; implicit-def: $vgpr2_vgpr3
	s_and_saveexec_b64 s[52:53], vcc
	s_cbranch_execz .LBB6_1817
; %bb.1814:                             ;   in Loop: Header=BB6_49 Depth=1
	v_accvgpr_read_b32 v0, a12
	v_accvgpr_read_b32 v1, a13
	v_mad_u64_u32 v[14:15], s[22:23], v12, 24, v[0:1]
	v_mov_b32_e32 v0, v15
	v_mad_u64_u32 v[0:1], s[22:23], v57, 24, v[0:1]
	v_mov_b32_e32 v15, v0
	flat_load_dword v0, v[14:15]
	v_accvgpr_read_b32 v2, a14
	v_accvgpr_read_b32 v3, a15
                                        ; implicit-def: $vgpr2_vgpr3
	s_waitcnt vmcnt(0) lgkmcnt(0)
	v_cmp_ne_u32_e32 vcc, 1, v0
	v_cmp_eq_u32_e64 s[22:23], 1, v0
	s_and_saveexec_b64 s[54:55], s[22:23]
	s_cbranch_execz .LBB6_1816
; %bb.1815:                             ;   in Loop: Header=BB6_49 Depth=1
	flat_load_dword v2, v[14:15] offset:4 glc
	s_waitcnt vmcnt(0) lgkmcnt(0)
	v_ashrrev_i32_e32 v3, 31, v2
.LBB6_1816:                             ;   in Loop: Header=BB6_49 Depth=1
	s_or_b64 exec, exec, s[54:55]
	s_orn2_b64 s[22:23], vcc, exec
.LBB6_1817:                             ;   in Loop: Header=BB6_49 Depth=1
	s_or_b64 exec, exec, s[52:53]
	s_and_saveexec_b64 vcc, s[22:23]
; %bb.1818:                             ;   in Loop: Header=BB6_49 Depth=1
	v_accvgpr_read_b32 v2, a18
	v_accvgpr_read_b32 v1, a3
	v_mul_lo_u32 v0, v57, v2
	v_mul_lo_u32 v1, v12, v1
	v_mad_u64_u32 v[2:3], s[22:23], v12, v2, 0
	v_add3_u32 v3, v3, v1, v0
; %bb.1819:                             ;   in Loop: Header=BB6_49 Depth=1
	s_or_b64 exec, exec, vcc
	v_accvgpr_read_b32 v0, a20
	v_accvgpr_read_b32 v1, a21
	v_add_co_u32_e32 v0, vcc, v0, v2
	v_addc_co_u32_e32 v1, vcc, v1, v3, vcc
	s_trap 2
	ds_write_b64 v0, v[0:1]
	v_and_b32_e32 v0, 0x2000, v62
	v_cmp_ne_u32_e32 vcc, 0, v0
	s_and_saveexec_b64 s[22:23], vcc
	s_cbranch_execz .LBB6_1821
; %bb.1820:                             ;   in Loop: Header=BB6_49 Depth=1
	ds_read_b64 v[0:1], v0 offset:584
	s_waitcnt lgkmcnt(0)
	v_add_co_u32_e32 v0, vcc, 1, v0
	v_addc_co_u32_e32 v1, vcc, 0, v1, vcc
	ds_write_b64 v0, v[0:1] offset:584
.LBB6_1821:                             ;   in Loop: Header=BB6_49 Depth=1
	s_or_b64 exec, exec, s[22:23]
	v_accvgpr_read_b32 v0, a12
	v_accvgpr_read_b32 v2, a14
	;; [unrolled: 1-line block ×3, first 2 shown]
	v_add_co_u32_e32 v2, vcc, 1, v2
	v_addc_co_u32_e32 v3, vcc, 0, v3, vcc
	v_accvgpr_read_b32 v1, a13
	v_accvgpr_write_b32 a15, v3
	v_accvgpr_write_b32 a14, v2
	;; [unrolled: 1-line block ×4, first 2 shown]
.LBB6_1822:                             ;   in Loop: Header=BB6_49 Depth=1
	s_or_b64 exec, exec, s[50:51]
	s_and_saveexec_b64 s[22:23], s[12:13]
	s_cbranch_execz .LBB6_1841
; %bb.1823:                             ;   in Loop: Header=BB6_49 Depth=1
	s_and_saveexec_b64 vcc, s[36:37]
	s_xor_b64 s[50:51], exec, vcc
	s_cbranch_execz .LBB6_1838
; %bb.1824:                             ;   in Loop: Header=BB6_49 Depth=1
	s_and_saveexec_b64 s[52:53], s[14:15]
	s_cbranch_execz .LBB6_1837
; %bb.1825:                             ;   in Loop: Header=BB6_49 Depth=1
	s_mov_b64 s[56:57], exec
	v_mbcnt_lo_u32_b32 v0, s56, 0
	v_mbcnt_hi_u32_b32 v0, s57, v0
	v_cmp_eq_u32_e32 vcc, 0, v0
	s_waitcnt vmcnt(0) lgkmcnt(0)
	buffer_wbinvl1_vol
	s_and_saveexec_b64 s[54:55], vcc
	s_cbranch_execz .LBB6_1827
; %bb.1826:                             ;   in Loop: Header=BB6_49 Depth=1
	s_bcnt1_i32_b64 vcc_lo, s[56:57]
	v_mov_b32_e32 v56, vcc_lo
	ds_add_u64 v0, v[56:57]
	s_trap 2
.LBB6_1827:                             ;   in Loop: Header=BB6_49 Depth=1
	s_or_b64 exec, exec, s[54:55]
	s_trap 2
	ds_read_b64 v[0:1], v0
	v_accvgpr_read_b32 v2, a22
	v_accvgpr_read_b32 v4, a28
	v_accvgpr_read_b32 v3, a23
	v_add_co_u32_e32 v2, vcc, v2, v4
	v_addc_co_u32_e32 v3, vcc, 0, v3, vcc
	v_accvgpr_write_b32 a23, v3
	v_accvgpr_write_b32 a22, v2
	s_waitcnt lgkmcnt(0)
	v_cmp_lt_u64_e32 vcc, v[0:1], v[2:3]
	s_and_saveexec_b64 s[54:55], vcc
	s_cbranch_execz .LBB6_1836
; %bb.1828:                             ;   in Loop: Header=BB6_49 Depth=1
	s_mov_b32 s66, 0
	s_mov_b64 s[56:57], 0
                                        ; implicit-def: $sgpr58_sgpr59
                                        ; implicit-def: $sgpr60_sgpr61
	s_branch .LBB6_1830
.LBB6_1829:                             ;   in Loop: Header=BB6_1830 Depth=2
	s_or_b64 exec, exec, s[64:65]
	s_and_b64 vcc, exec, vcc
	s_or_b64 s[56:57], vcc, s[56:57]
	s_andn2_b64 vcc, s[58:59], exec
	s_and_b64 s[58:59], s[60:61], exec
	s_or_b64 s[58:59], vcc, s[58:59]
	s_andn2_b64 exec, exec, s[56:57]
	s_cbranch_execz .LBB6_1834
.LBB6_1830:                             ;   Parent Loop BB6_49 Depth=1
                                        ; =>  This Inner Loop Header: Depth=2
	s_add_i32 s66, s66, 1
	s_cmpk_lg_i32 s66, 0x2710
	s_cselect_b64 s[62:63], -1, 0
	s_and_b64 vcc, exec, s[62:63]
                                        ; implicit-def: $sgpr64_sgpr65
	s_cbranch_vccnz .LBB6_1832
; %bb.1831:                             ;   in Loop: Header=BB6_1830 Depth=2
	s_trap 2
	ds_read_b64 v[0:1], v0
	s_andn2_b64 s[62:63], s[62:63], exec
	s_mov_b32 s66, 0
	s_mov_b64 s[64:65], -1
	s_waitcnt lgkmcnt(0)
	flat_load_dword v0, v[0:1] glc
	s_waitcnt vmcnt(0) lgkmcnt(0)
	buffer_invl2
	buffer_wbinvl1_vol
	v_cmp_eq_u32_e32 vcc, 0, v0
	s_and_b64 vcc, vcc, exec
	s_or_b64 s[62:63], s[62:63], vcc
.LBB6_1832:                             ;   in Loop: Header=BB6_1830 Depth=2
	s_andn2_b64 s[60:61], s[60:61], exec
	s_and_b64 s[64:65], s[64:65], exec
	s_mov_b64 vcc, -1
	s_or_b64 s[60:61], s[60:61], s[64:65]
	s_and_saveexec_b64 s[64:65], s[62:63]
	s_cbranch_execz .LBB6_1829
; %bb.1833:                             ;   in Loop: Header=BB6_1830 Depth=2
	s_sleep 1
	s_trap 2
	ds_read_b64 v[0:1], v0
	v_accvgpr_read_b32 v2, a22
	v_accvgpr_read_b32 v3, a23
	s_andn2_b64 s[60:61], s[60:61], exec
	s_waitcnt lgkmcnt(0)
	v_cmp_ge_u64_e32 vcc, v[0:1], v[2:3]
	s_orn2_b64 vcc, vcc, exec
	s_branch .LBB6_1829
.LBB6_1834:                             ;   in Loop: Header=BB6_49 Depth=1
	s_or_b64 exec, exec, s[56:57]
	s_and_saveexec_b64 vcc, s[58:59]
	s_xor_b64 vcc, exec, vcc
	s_cbranch_execz .LBB6_1836
; %bb.1835:                             ;   in Loop: Header=BB6_49 Depth=1
	ds_write_b32 v0, v20
	s_trap 2
.LBB6_1836:                             ;   in Loop: Header=BB6_49 Depth=1
	s_or_b64 exec, exec, s[54:55]
	;;#ASMSTART
	s_wakeup
	;;#ASMEND
.LBB6_1837:                             ;   in Loop: Header=BB6_49 Depth=1
	s_or_b64 exec, exec, s[52:53]
.LBB6_1838:                             ;   in Loop: Header=BB6_49 Depth=1
	s_andn2_saveexec_b64 vcc, s[50:51]
	s_cbranch_execz .LBB6_1840
; %bb.1839:                             ;   in Loop: Header=BB6_49 Depth=1
	s_waitcnt vmcnt(0) lgkmcnt(0)
	buffer_wbinvl1_vol
	s_barrier
.LBB6_1840:                             ;   in Loop: Header=BB6_49 Depth=1
	s_or_b64 exec, exec, vcc
.LBB6_1841:                             ;   in Loop: Header=BB6_49 Depth=1
	s_or_b64 exec, exec, s[22:23]
	s_trap 2
	ds_read_b32 v1, v0
	v_cmp_lt_i32_e32 vcc, 0, v10
	v_and_b32_e32 v0, 16, v62
	s_waitcnt lgkmcnt(0)
	v_readfirstlane_b32 s22, v1
	s_cmp_eq_u32 s22, 0
	s_cselect_b64 s[22:23], -1, 0
	s_and_b64 s[22:23], vcc, s[22:23]
	v_cmp_ne_u32_e32 vcc, 0, v0
	s_and_b64 vcc, vcc, s[22:23]
	s_and_saveexec_b64 s[22:23], vcc
	s_cbranch_execz .LBB6_1843
; %bb.1842:                             ;   in Loop: Header=BB6_49 Depth=1
	s_waitcnt vmcnt(0)
	buffer_wbinvl1_vol
.LBB6_1843:                             ;   in Loop: Header=BB6_49 Depth=1
	s_or_b64 exec, exec, s[22:23]
	v_cmp_ne_u32_e32 vcc, 0, v0
	s_xor_b64 s[22:23], s[20:21], -1
	s_and_b64 vcc, vcc, s[22:23]
	s_and_saveexec_b64 s[22:23], vcc
	s_cbranch_execz .LBB6_1845
; %bb.1844:                             ;   in Loop: Header=BB6_49 Depth=1
	v_accvgpr_read_b32 v0, a26
	v_accvgpr_read_b32 v1, a27
	flat_store_dword v[0:1], v20
.LBB6_1845:                             ;   in Loop: Header=BB6_49 Depth=1
	s_or_b64 exec, exec, s[22:23]
	v_and_b32_e32 v0, 48, v62
	v_cmp_ne_u32_e32 vcc, 0, v0
	s_and_saveexec_b64 s[22:23], vcc
	s_cbranch_execz .LBB6_47
; %bb.1846:                             ;   in Loop: Header=BB6_49 Depth=1
	v_accvgpr_read_b32 v0, a12
	v_accvgpr_read_b32 v2, a14
	v_accvgpr_read_b32 v3, a15
	v_add_co_u32_e32 v2, vcc, 1, v2
	v_addc_co_u32_e32 v3, vcc, 0, v3, vcc
	v_accvgpr_read_b32 v1, a13
	v_accvgpr_write_b32 a15, v3
	v_accvgpr_write_b32 a14, v2
	;; [unrolled: 1-line block ×4, first 2 shown]
	flat_store_dwordx2 v[60:61], v[2:3]
	s_branch .LBB6_47
.LBB6_1847:
	s_or_b64 exec, exec, s[38:39]
	v_accvgpr_read_b32 v29, a11
	v_accvgpr_read_b32 v45, a15
	v_mov_b32_e32 v27, v39
	v_accvgpr_read_b32 v31, a0
	v_accvgpr_read_b32 v8, a1
	;; [unrolled: 1-line block ×6, first 2 shown]
.LBB6_1848:
	s_or_b64 exec, exec, s[34:35]
                                        ; implicit-def: $vgpr58_vgpr59
                                        ; implicit-def: $vgpr40_vgpr41
                                        ; implicit-def: $agpr18
                                        ; implicit-def: $vgpr36_vgpr37
                                        ; implicit-def: $agpr20_agpr21
                                        ; implicit-def: $vgpr60_vgpr61
                                        ; implicit-def: $vgpr46
                                        ; implicit-def: $vgpr1
                                        ; implicit-def: $vgpr32_vgpr33
.LBB6_1849:
	s_andn2_saveexec_b64 s[22:23], s[30:31]
	s_cbranch_execz .LBB6_3646
; %bb.1850:
	v_pk_mov_b32 v[2:3], 0, 0
	v_accvgpr_write_b32 a23, v3
	v_accvgpr_write_b32 a22, v2
	s_and_saveexec_b64 s[24:25], s[6:7]
	s_cbranch_execz .LBB6_3645
; %bb.1851:
	v_and_b32_e32 v0, 63, v31
	v_cmp_eq_u32_e64 s[12:13], 0, v0
	v_ashrrev_i32_e32 v0, 31, v46
	v_lshrrev_b32_e32 v0, 26, v0
	v_add_u32_e32 v0, v46, v0
	v_ashrrev_i32_e32 v54, 6, v0
	v_and_b32_e32 v0, 0xffffffc0, v0
	v_sub_u32_e32 v3, v46, v0
	v_lshlrev_b32_e32 v0, 11, v54
	v_lshl_add_u32 v0, v3, 4, v0
	v_lshrrev_b32_e32 v2, 6, v27
	v_cmp_le_i32_e64 s[14:15], v3, v1
	v_accvgpr_write_b32 a28, v0
	v_ashrrev_i32_e32 v1, 31, v0
	v_mov_b32_e32 v0, 0xfffff800
	v_lshl_add_u32 v0, v2, 11, v0
	s_movk_i32 s18, 0x800
	s_waitcnt vmcnt(0) lgkmcnt(0)
	v_accvgpr_write_b32 a27, v1
	v_ashrrev_i32_e32 v1, 31, v0
	v_add_co_u32_e64 v0, s[18:19], s18, v0
	v_accvgpr_write_b32 a29, v0
	v_addc_co_u32_e64 v0, s[18:19], 0, v1, s[18:19]
	v_accvgpr_write_b32 a12, v42
	s_ashr_i32 s6, s70, 31
	v_accvgpr_write_b32 a30, v0
	v_lshlrev_b32_e32 v0, 10, v2
	v_accvgpr_write_b32 a16, v60
	v_accvgpr_write_b32 a13, v43
	;; [unrolled: 1-line block ×4, first 2 shown]
	s_lshr_b32 s6, s6, 24
	v_accvgpr_write_b32 a31, v0
	v_add_u32_e32 v0, 0xfffffc00, v0
	s_movk_i32 s18, 0x400
	v_and_b32_e32 v44, 0xffffffc0, v27
	v_pk_mov_b32 v[42:43], 0, 0
	v_accvgpr_write_b32 a17, v61
	v_accvgpr_write_b32 a10, v28
	;; [unrolled: 1-line block ×3, first 2 shown]
	s_add_i32 s6, s70, s6
	v_cmp_eq_u32_e32 vcc, 64, v27
	v_ashrrev_i32_e32 v1, 31, v0
	v_add_co_u32_e64 v60, s[18:19], s18, v0
	v_ashrrev_i32_e32 v45, 31, v44
	s_mov_b32 s42, -1
	v_accvgpr_write_b32 a22, v42
	v_accvgpr_write_b32 a11, v29
	;; [unrolled: 1-line block ×3, first 2 shown]
	s_ashr_i32 s66, s6, 8
	v_cmp_ge_i32_e64 s[6:7], v46, v27
	v_cmp_ne_u32_e64 s[10:11], 64, v27
	v_accvgpr_write_b32 a1, v8
	v_cmp_ne_u32_sdwa s[30:31], v8, v27 src0_sel:WORD_0 src1_sel:DWORD
	v_accvgpr_write_b32 a0, v31
	v_mov_b32_e32 v53, 0
	s_movk_i32 s67, 0xffc0
	v_cmp_gt_i32_e64 s[16:17], 1, v3
	v_accvgpr_write_b32 a19, v3
	v_accvgpr_write_b32 a26, v2
	v_addc_co_u32_e64 v61, s[18:19], 0, v1, s[18:19]
	v_mov_b32_e32 v39, v27
	s_mov_b64 s[34:35], 0
	s_movk_i32 s68, 0x270e
	s_xor_b64 s[36:37], vcc, -1
	s_movk_i32 s69, 0x80
	s_movk_i32 s71, 0x7f
	s_mov_b64 s[38:39], 0x7f800000
	s_mov_b64 s[40:41], 0x43e00001
	s_movk_i32 s72, 0x7a
	s_mov_b32 s43, 0xffffff
	s_mov_b64 s[44:45], 0xffffff
	s_mov_b32 s73, 0xc0c0500
	v_bfrev_b32_e32 v29, 60
	v_mov_b32_e32 v38, 0x78
	v_accvgpr_write_b32 a23, v43
	v_accvgpr_write_b32 a2, v46
	;; [unrolled: 1-line block ×5, first 2 shown]
	s_trap 2
	s_branch .LBB6_1854
.LBB6_1852:                             ;   in Loop: Header=BB6_1854 Depth=1
	s_or_b64 exec, exec, s[18:19]
.LBB6_1853:                             ;   in Loop: Header=BB6_1854 Depth=1
	s_or_b64 exec, exec, s[20:21]
	v_accvgpr_read_b32 v33, a25
	v_accvgpr_read_b32 v32, a24
	v_add_co_u32_e32 v42, vcc, v42, v32
	v_accvgpr_read_b32 v41, a5
	v_addc_co_u32_e32 v43, vcc, 0, v43, vcc
	v_accvgpr_read_b32 v40, a4
	v_cmp_ge_u64_e32 vcc, v[42:43], v[40:41]
	s_or_b64 s[34:35], vcc, s[34:35]
	s_andn2_b64 exec, exec, s[34:35]
	s_cbranch_execz .LBB6_3644
.LBB6_1854:                             ; =>This Loop Header: Depth=1
                                        ;     Child Loop BB6_1865 Depth 2
                                        ;     Child Loop BB6_1887 Depth 2
	;; [unrolled: 1-line block ×10, first 2 shown]
	v_sub_co_u32_e32 v0, vcc, v40, v42
	v_subb_co_u32_e32 v1, vcc, v41, v43, vcc
	v_accvgpr_write_b32 a4, v40
	v_cmp_lt_u64_e32 vcc, v[32:33], v[0:1]
	v_accvgpr_write_b32 a5, v41
	v_cndmask_b32_e32 v40, v0, v32, vcc
	v_cndmask_b32_e64 v41, v1, 0, vcc
	v_add_u32_e32 v0, 15, v40
	v_accvgpr_write_b32 a24, v32
	v_and_b32_e32 v0, 0x7ffffff0, v0
	v_cmp_eq_u64_e32 vcc, 0, v[40:41]
	v_accvgpr_write_b32 a25, v33
	v_max_i32_e32 v47, s66, v0
	s_or_b64 s[46:47], s[6:7], vcc
	v_mov_b32_e32 v0, v53
	s_xor_b64 s[18:19], s[46:47], -1
	s_mov_b64 s[48:49], exec
	s_and_b64 s[18:19], s[48:49], s[18:19]
	v_mov_b32_e32 v33, 0xffffff82
	s_mov_b64 exec, s[18:19]
	s_cbranch_execz .LBB6_3598
; %bb.1855:                             ;   in Loop: Header=BB6_1854 Depth=1
	s_and_saveexec_b64 s[18:19], s[4:5]
	s_cbranch_execz .LBB6_1857
; %bb.1856:                             ;   in Loop: Header=BB6_1854 Depth=1
	s_trap 2
	ds_read2_b64 v[0:3], v0 offset1:1
	v_accvgpr_read_b32 v4, a6
	v_accvgpr_read_b32 v5, a7
	v_add_co_u32_e32 v6, vcc, v42, v4
	v_addc_co_u32_e32 v7, vcc, v43, v5, vcc
	s_waitcnt lgkmcnt(0)
	ds_read_b64 v[4:5], v0
	v_add_co_u32_e32 v0, vcc, v0, v6
	v_addc_co_u32_e32 v1, vcc, v1, v7, vcc
	ds_write_b64 v0, v[0:1]
	v_add_co_u32_e32 v0, vcc, v2, v6
	v_addc_co_u32_e32 v1, vcc, v3, v7, vcc
	ds_write_b64 v0, v[0:1]
	s_waitcnt lgkmcnt(0)
	v_add_co_u32_e32 v0, vcc, v4, v6
	v_addc_co_u32_e32 v1, vcc, v5, v7, vcc
	v_cmp_ne_u64_e32 vcc, 0, v[4:5]
	v_cndmask_b32_e32 v1, 0, v1, vcc
	v_cndmask_b32_e32 v0, 0, v0, vcc
	ds_write_b64 v0, v[0:1]
.LBB6_1857:                             ;   in Loop: Header=BB6_1854 Depth=1
	s_or_b64 exec, exec, s[18:19]
	v_and_b32_e32 v0, 4, v62
	v_cmp_ne_u32_e32 vcc, 0, v0
	s_mov_b64 s[20:21], -1
	s_and_saveexec_b64 s[18:19], vcc
	s_cbranch_execnz .LBB6_1860
; %bb.1858:                             ;   in Loop: Header=BB6_1854 Depth=1
	s_or_b64 exec, exec, s[18:19]
	s_xor_b64 s[18:19], s[20:21], -1
	s_and_saveexec_b64 s[20:21], s[18:19]
	s_cbranch_execnz .LBB6_1871
.LBB6_1859:                             ;   in Loop: Header=BB6_1854 Depth=1
	s_or_b64 exec, exec, s[20:21]
	s_and_saveexec_b64 s[18:19], s[10:11]
	s_cbranch_execnz .LBB6_1880
	s_branch .LBB6_1898
.LBB6_1860:                             ;   in Loop: Header=BB6_1854 Depth=1
	v_accvgpr_read_b32 v0, a12
	v_accvgpr_read_b32 v2, a14
	;; [unrolled: 1-line block ×3, first 2 shown]
	v_add_co_u32_e32 v10, vcc, 1, v2
	v_addc_co_u32_e32 v11, vcc, 0, v3, vcc
	v_cmp_lt_u64_e32 vcc, v[36:37], v[10:11]
	v_mov_b32_e32 v0, 1
	v_accvgpr_read_b32 v1, a13
	s_and_saveexec_b64 s[20:21], vcc
	s_cbranch_execz .LBB6_1870
; %bb.1861:                             ;   in Loop: Header=BB6_1854 Depth=1
	s_mov_b64 s[50:51], 0
	v_mov_b32_e32 v0, 0
                                        ; implicit-def: $sgpr52_sgpr53
	s_branch .LBB6_1865
.LBB6_1862:                             ;   in Loop: Header=BB6_1865 Depth=2
	s_or_b64 exec, exec, s[60:61]
	v_mov_b32_e32 v1, 0
	s_orn2_b64 s[58:59], s[58:59], exec
.LBB6_1863:                             ;   in Loop: Header=BB6_1865 Depth=2
	s_or_b64 exec, exec, s[56:57]
	s_andn2_b64 vcc, s[52:53], exec
	s_and_b64 s[52:53], s[58:59], exec
	s_or_b64 s[52:53], vcc, s[52:53]
	v_mov_b32_e32 v0, v1
.LBB6_1864:                             ;   in Loop: Header=BB6_1865 Depth=2
	s_or_b64 exec, exec, s[54:55]
	s_waitcnt vmcnt(0) lgkmcnt(0)
	v_cmp_ge_u64_e32 vcc, v[36:37], v[10:11]
	s_xor_b64 s[54:55], s[52:53], -1
	s_or_b64 vcc, s[54:55], vcc
	s_and_b64 vcc, exec, vcc
	s_or_b64 s[50:51], vcc, s[50:51]
	s_andn2_b64 exec, exec, s[50:51]
	s_cbranch_execz .LBB6_1869
.LBB6_1865:                             ;   Parent Loop BB6_1854 Depth=1
                                        ; =>  This Inner Loop Header: Depth=2
	v_accvgpr_read_b32 v2, a16
	v_accvgpr_read_b32 v3, a17
	s_sleep 1
	flat_load_dwordx2 v[36:37], v[2:3] glc
	v_and_b32_e32 v1, 64, v62
	v_cmp_eq_u32_e32 vcc, 0, v1
	s_andn2_b64 s[52:53], s[52:53], exec
	s_and_saveexec_b64 s[54:55], vcc
	s_cbranch_execz .LBB6_1864
; %bb.1866:                             ;   in Loop: Header=BB6_1865 Depth=2
	v_add_u32_e32 v1, 1, v0
	v_cmp_lt_i32_e32 vcc, s68, v0
	s_mov_b64 s[58:59], -1
	s_and_saveexec_b64 s[56:57], vcc
	s_cbranch_execz .LBB6_1863
; %bb.1867:                             ;   in Loop: Header=BB6_1865 Depth=2
	s_trap 2
	ds_read_b64 v[0:1], v0
	s_waitcnt vmcnt(0) lgkmcnt(0)
	flat_load_dword v0, v[0:1] glc
	s_waitcnt vmcnt(0) lgkmcnt(0)
	buffer_invl2
	buffer_wbinvl1_vol
	v_cmp_ne_u32_e32 vcc, 0, v0
	s_and_saveexec_b64 s[60:61], vcc
	s_cbranch_execz .LBB6_1862
; %bb.1868:                             ;   in Loop: Header=BB6_1865 Depth=2
	v_or_b32_e32 v62, 64, v62
	s_xor_b64 s[58:59], exec, -1
	ds_write_b32 v0, v0
	s_trap 2
	s_branch .LBB6_1862
.LBB6_1869:                             ;   in Loop: Header=BB6_1854 Depth=1
	s_or_b64 exec, exec, s[50:51]
	v_and_b32_e32 v0, 4, v62
.LBB6_1870:                             ;   in Loop: Header=BB6_1854 Depth=1
	s_or_b64 exec, exec, s[20:21]
	v_cmp_eq_u32_e32 vcc, 0, v0
	s_orn2_b64 s[20:21], vcc, exec
	;;#ASMSTART
	s_wakeup
	;;#ASMEND
	s_or_b64 exec, exec, s[18:19]
	s_xor_b64 s[18:19], s[20:21], -1
	s_and_saveexec_b64 s[20:21], s[18:19]
	s_cbranch_execz .LBB6_1859
.LBB6_1871:                             ;   in Loop: Header=BB6_1854 Depth=1
	v_and_b32_e32 v0, 0x100, v62
	v_cmp_ne_u32_e32 vcc, 0, v0
	v_accvgpr_read_b32 v0, a12
	v_accvgpr_read_b32 v2, a14
	;; [unrolled: 1-line block ×3, first 2 shown]
	v_and_b32_e32 v0, 7, v2
	s_mov_b64 s[18:19], -1
	v_accvgpr_read_b32 v1, a13
                                        ; implicit-def: $vgpr2_vgpr3
	s_and_saveexec_b64 s[50:51], vcc
	s_cbranch_execz .LBB6_1875
; %bb.1872:                             ;   in Loop: Header=BB6_1854 Depth=1
	v_accvgpr_read_b32 v2, a12
	v_accvgpr_read_b32 v3, a13
	v_mad_u64_u32 v[10:11], s[18:19], v0, 24, v[2:3]
	flat_load_dword v1, v[10:11]
	v_accvgpr_read_b32 v4, a14
	v_accvgpr_read_b32 v5, a15
                                        ; implicit-def: $vgpr2_vgpr3
	s_waitcnt vmcnt(0) lgkmcnt(0)
	v_cmp_ne_u32_e32 vcc, 1, v1
	v_cmp_eq_u32_e64 s[18:19], 1, v1
	s_and_saveexec_b64 s[52:53], s[18:19]
	s_cbranch_execz .LBB6_1874
; %bb.1873:                             ;   in Loop: Header=BB6_1854 Depth=1
	flat_load_dword v2, v[10:11] offset:4 glc
	s_waitcnt vmcnt(0) lgkmcnt(0)
	v_ashrrev_i32_e32 v3, 31, v2
.LBB6_1874:                             ;   in Loop: Header=BB6_1854 Depth=1
	s_or_b64 exec, exec, s[52:53]
	s_orn2_b64 s[18:19], vcc, exec
.LBB6_1875:                             ;   in Loop: Header=BB6_1854 Depth=1
	s_or_b64 exec, exec, s[50:51]
	s_and_saveexec_b64 vcc, s[18:19]
; %bb.1876:                             ;   in Loop: Header=BB6_1854 Depth=1
	v_accvgpr_read_b32 v2, a18
	v_mad_i64_i32 v[2:3], s[18:19], v0, v2, 0
; %bb.1877:                             ;   in Loop: Header=BB6_1854 Depth=1
	s_or_b64 exec, exec, vcc
	v_accvgpr_read_b32 v0, a20
	v_accvgpr_read_b32 v1, a21
	v_add_co_u32_e32 v0, vcc, v0, v2
	v_addc_co_u32_e32 v1, vcc, v1, v3, vcc
	ds_write_b64 v0, v[0:1] offset:728
	v_and_b32_e32 v0, 0x2000, v62
	v_cmp_ne_u32_e32 vcc, 0, v0
	s_and_saveexec_b64 s[18:19], vcc
	s_cbranch_execz .LBB6_1879
; %bb.1878:                             ;   in Loop: Header=BB6_1854 Depth=1
	ds_read_b64 v[0:1], v0 offset:584
	s_waitcnt lgkmcnt(0)
	v_add_co_u32_e32 v0, vcc, 1, v0
	v_addc_co_u32_e32 v1, vcc, 0, v1, vcc
	ds_write_b64 v0, v[0:1] offset:584
.LBB6_1879:                             ;   in Loop: Header=BB6_1854 Depth=1
	s_or_b64 exec, exec, s[18:19]
	v_accvgpr_read_b32 v0, a12
	v_accvgpr_read_b32 v2, a14
	;; [unrolled: 1-line block ×3, first 2 shown]
	v_add_co_u32_e32 v2, vcc, 1, v2
	v_addc_co_u32_e32 v3, vcc, 0, v3, vcc
	v_accvgpr_read_b32 v1, a13
	v_accvgpr_write_b32 a15, v3
	v_accvgpr_write_b32 a14, v2
	;; [unrolled: 1-line block ×4, first 2 shown]
	s_or_b64 exec, exec, s[20:21]
	s_and_saveexec_b64 s[18:19], s[10:11]
	s_cbranch_execz .LBB6_1898
.LBB6_1880:                             ;   in Loop: Header=BB6_1854 Depth=1
	s_and_saveexec_b64 s[20:21], s[30:31]
	s_xor_b64 s[20:21], exec, s[20:21]
	s_cbranch_execz .LBB6_1895
; %bb.1881:                             ;   in Loop: Header=BB6_1854 Depth=1
	s_and_saveexec_b64 s[50:51], s[12:13]
	s_cbranch_execz .LBB6_1894
; %bb.1882:                             ;   in Loop: Header=BB6_1854 Depth=1
	s_mov_b64 s[54:55], exec
	v_mbcnt_lo_u32_b32 v0, s54, 0
	v_mbcnt_hi_u32_b32 v0, s55, v0
	v_cmp_eq_u32_e32 vcc, 0, v0
	s_waitcnt vmcnt(0) lgkmcnt(0)
	buffer_wbinvl1_vol
	s_and_saveexec_b64 s[52:53], vcc
	s_cbranch_execz .LBB6_1884
; %bb.1883:                             ;   in Loop: Header=BB6_1854 Depth=1
	s_bcnt1_i32_b64 vcc_lo, s[54:55]
	v_mov_b32_e32 v52, vcc_lo
	ds_add_u64 v0, v[52:53]
	s_trap 2
.LBB6_1884:                             ;   in Loop: Header=BB6_1854 Depth=1
	s_or_b64 exec, exec, s[52:53]
	s_trap 2
	ds_read_b64 v[0:1], v0
	v_accvgpr_read_b32 v2, a22
	v_accvgpr_read_b32 v4, a26
	;; [unrolled: 1-line block ×3, first 2 shown]
	v_add_co_u32_e32 v2, vcc, v2, v4
	v_addc_co_u32_e32 v3, vcc, 0, v3, vcc
	v_accvgpr_write_b32 a23, v3
	v_accvgpr_write_b32 a22, v2
	s_waitcnt lgkmcnt(0)
	v_cmp_lt_u64_e32 vcc, v[0:1], v[2:3]
	s_and_saveexec_b64 s[52:53], vcc
	s_cbranch_execz .LBB6_1893
; %bb.1885:                             ;   in Loop: Header=BB6_1854 Depth=1
	s_mov_b32 s64, 0
	s_mov_b64 s[54:55], 0
                                        ; implicit-def: $sgpr56_sgpr57
                                        ; implicit-def: $sgpr58_sgpr59
	s_branch .LBB6_1887
.LBB6_1886:                             ;   in Loop: Header=BB6_1887 Depth=2
	s_or_b64 exec, exec, s[62:63]
	s_and_b64 vcc, exec, vcc
	s_or_b64 s[54:55], vcc, s[54:55]
	s_andn2_b64 vcc, s[56:57], exec
	s_and_b64 s[56:57], s[58:59], exec
	s_or_b64 s[56:57], vcc, s[56:57]
	s_andn2_b64 exec, exec, s[54:55]
	s_cbranch_execz .LBB6_1891
.LBB6_1887:                             ;   Parent Loop BB6_1854 Depth=1
                                        ; =>  This Inner Loop Header: Depth=2
	s_add_i32 s64, s64, 1
	s_cmpk_lg_i32 s64, 0x2710
	s_cselect_b64 s[60:61], -1, 0
	s_and_b64 vcc, exec, s[60:61]
                                        ; implicit-def: $sgpr62_sgpr63
	s_cbranch_vccnz .LBB6_1889
; %bb.1888:                             ;   in Loop: Header=BB6_1887 Depth=2
	s_trap 2
	ds_read_b64 v[0:1], v0
	s_andn2_b64 s[60:61], s[60:61], exec
	s_mov_b32 s64, 0
	s_mov_b64 s[62:63], -1
	s_waitcnt lgkmcnt(0)
	flat_load_dword v0, v[0:1] glc
	s_waitcnt vmcnt(0) lgkmcnt(0)
	buffer_invl2
	buffer_wbinvl1_vol
	v_cmp_eq_u32_e32 vcc, 0, v0
	s_and_b64 vcc, vcc, exec
	s_or_b64 s[60:61], s[60:61], vcc
.LBB6_1889:                             ;   in Loop: Header=BB6_1887 Depth=2
	s_andn2_b64 s[58:59], s[58:59], exec
	s_and_b64 s[62:63], s[62:63], exec
	s_mov_b64 vcc, -1
	s_or_b64 s[58:59], s[58:59], s[62:63]
	s_and_saveexec_b64 s[62:63], s[60:61]
	s_cbranch_execz .LBB6_1886
; %bb.1890:                             ;   in Loop: Header=BB6_1887 Depth=2
	s_sleep 1
	s_trap 2
	ds_read_b64 v[0:1], v0
	v_accvgpr_read_b32 v2, a22
	v_accvgpr_read_b32 v3, a23
	s_andn2_b64 s[58:59], s[58:59], exec
	s_waitcnt lgkmcnt(0)
	v_cmp_ge_u64_e32 vcc, v[0:1], v[2:3]
	s_orn2_b64 vcc, vcc, exec
	s_branch .LBB6_1886
.LBB6_1891:                             ;   in Loop: Header=BB6_1854 Depth=1
	s_or_b64 exec, exec, s[54:55]
	s_and_saveexec_b64 vcc, s[56:57]
	s_xor_b64 vcc, exec, vcc
	s_cbranch_execz .LBB6_1893
; %bb.1892:                             ;   in Loop: Header=BB6_1854 Depth=1
	v_mov_b32_e32 v0, 1
	ds_write_b32 v0, v0
	s_trap 2
.LBB6_1893:                             ;   in Loop: Header=BB6_1854 Depth=1
	s_or_b64 exec, exec, s[52:53]
	;;#ASMSTART
	s_wakeup
	;;#ASMEND
.LBB6_1894:                             ;   in Loop: Header=BB6_1854 Depth=1
	s_or_b64 exec, exec, s[50:51]
.LBB6_1895:                             ;   in Loop: Header=BB6_1854 Depth=1
	s_andn2_saveexec_b64 s[20:21], s[20:21]
	s_cbranch_execz .LBB6_1897
; %bb.1896:                             ;   in Loop: Header=BB6_1854 Depth=1
	s_waitcnt vmcnt(0) lgkmcnt(0)
	buffer_wbinvl1_vol
	s_barrier
.LBB6_1897:                             ;   in Loop: Header=BB6_1854 Depth=1
	s_or_b64 exec, exec, s[20:21]
.LBB6_1898:                             ;   in Loop: Header=BB6_1854 Depth=1
	s_or_b64 exec, exec, s[18:19]
	s_trap 2
	ds_read_b32 v1, v0
	v_and_b32_e32 v0, 0x4000, v62
	v_cmp_ne_u32_e32 vcc, 0, v0
	s_and_b64 s[20:21], s[36:37], vcc
	s_and_saveexec_b64 s[18:19], s[20:21]
	s_cbranch_execz .LBB6_1917
; %bb.1899:                             ;   in Loop: Header=BB6_1854 Depth=1
	s_and_saveexec_b64 s[20:21], s[30:31]
	s_xor_b64 s[20:21], exec, s[20:21]
	s_cbranch_execz .LBB6_1914
; %bb.1900:                             ;   in Loop: Header=BB6_1854 Depth=1
	s_and_saveexec_b64 s[50:51], s[12:13]
	s_cbranch_execz .LBB6_1913
; %bb.1901:                             ;   in Loop: Header=BB6_1854 Depth=1
	s_mov_b64 s[54:55], exec
	v_mbcnt_lo_u32_b32 v0, s54, 0
	v_mbcnt_hi_u32_b32 v0, s55, v0
	v_cmp_eq_u32_e32 vcc, 0, v0
	s_waitcnt vmcnt(0) lgkmcnt(0)
	buffer_wbinvl1_vol
	s_and_saveexec_b64 s[52:53], vcc
	s_cbranch_execz .LBB6_1903
; %bb.1902:                             ;   in Loop: Header=BB6_1854 Depth=1
	s_bcnt1_i32_b64 vcc_lo, s[54:55]
	v_mov_b32_e32 v52, vcc_lo
	ds_add_u64 v0, v[52:53]
	s_trap 2
.LBB6_1903:                             ;   in Loop: Header=BB6_1854 Depth=1
	s_or_b64 exec, exec, s[52:53]
	s_trap 2
	ds_read_b64 v[2:3], v0
	v_accvgpr_read_b32 v4, a22
	v_accvgpr_read_b32 v0, a26
	;; [unrolled: 1-line block ×3, first 2 shown]
	v_add_co_u32_e32 v4, vcc, v4, v0
	v_addc_co_u32_e32 v5, vcc, 0, v5, vcc
	v_accvgpr_write_b32 a23, v5
	v_accvgpr_write_b32 a22, v4
	s_waitcnt lgkmcnt(0)
	v_cmp_lt_u64_e32 vcc, v[2:3], v[4:5]
	s_and_saveexec_b64 s[52:53], vcc
	s_cbranch_execz .LBB6_1912
; %bb.1904:                             ;   in Loop: Header=BB6_1854 Depth=1
	s_mov_b32 s64, 0
	s_mov_b64 s[54:55], 0
                                        ; implicit-def: $sgpr56_sgpr57
                                        ; implicit-def: $sgpr58_sgpr59
	s_branch .LBB6_1906
.LBB6_1905:                             ;   in Loop: Header=BB6_1906 Depth=2
	s_or_b64 exec, exec, s[62:63]
	s_and_b64 vcc, exec, vcc
	s_or_b64 s[54:55], vcc, s[54:55]
	s_andn2_b64 vcc, s[56:57], exec
	s_and_b64 s[56:57], s[58:59], exec
	s_or_b64 s[56:57], vcc, s[56:57]
	s_andn2_b64 exec, exec, s[54:55]
	s_cbranch_execz .LBB6_1910
.LBB6_1906:                             ;   Parent Loop BB6_1854 Depth=1
                                        ; =>  This Inner Loop Header: Depth=2
	s_add_i32 s64, s64, 1
	s_cmpk_lg_i32 s64, 0x2710
	s_cselect_b64 s[60:61], -1, 0
	s_and_b64 vcc, exec, s[60:61]
                                        ; implicit-def: $sgpr62_sgpr63
	s_cbranch_vccnz .LBB6_1908
; %bb.1907:                             ;   in Loop: Header=BB6_1906 Depth=2
	s_trap 2
	ds_read_b64 v[2:3], v0
	s_andn2_b64 s[60:61], s[60:61], exec
	s_mov_b32 s64, 0
	s_mov_b64 s[62:63], -1
	s_waitcnt lgkmcnt(0)
	flat_load_dword v0, v[2:3] glc
	s_waitcnt vmcnt(0) lgkmcnt(0)
	buffer_invl2
	buffer_wbinvl1_vol
	v_cmp_eq_u32_e32 vcc, 0, v0
	s_and_b64 vcc, vcc, exec
	s_or_b64 s[60:61], s[60:61], vcc
.LBB6_1908:                             ;   in Loop: Header=BB6_1906 Depth=2
	s_andn2_b64 s[58:59], s[58:59], exec
	s_and_b64 s[62:63], s[62:63], exec
	s_mov_b64 vcc, -1
	s_or_b64 s[58:59], s[58:59], s[62:63]
	s_and_saveexec_b64 s[62:63], s[60:61]
	s_cbranch_execz .LBB6_1905
; %bb.1909:                             ;   in Loop: Header=BB6_1906 Depth=2
	s_sleep 1
	s_trap 2
	ds_read_b64 v[2:3], v0
	v_accvgpr_read_b32 v4, a22
	v_accvgpr_read_b32 v5, a23
	s_andn2_b64 s[58:59], s[58:59], exec
	s_waitcnt lgkmcnt(0)
	v_cmp_ge_u64_e32 vcc, v[2:3], v[4:5]
	s_orn2_b64 vcc, vcc, exec
	s_branch .LBB6_1905
.LBB6_1910:                             ;   in Loop: Header=BB6_1854 Depth=1
	s_or_b64 exec, exec, s[54:55]
	s_and_saveexec_b64 vcc, s[56:57]
	s_xor_b64 vcc, exec, vcc
	s_cbranch_execz .LBB6_1912
; %bb.1911:                             ;   in Loop: Header=BB6_1854 Depth=1
	v_mov_b32_e32 v0, 1
	ds_write_b32 v0, v0
	s_trap 2
.LBB6_1912:                             ;   in Loop: Header=BB6_1854 Depth=1
	s_or_b64 exec, exec, s[52:53]
	;;#ASMSTART
	s_wakeup
	;;#ASMEND
.LBB6_1913:                             ;   in Loop: Header=BB6_1854 Depth=1
	s_or_b64 exec, exec, s[50:51]
.LBB6_1914:                             ;   in Loop: Header=BB6_1854 Depth=1
	s_andn2_saveexec_b64 s[20:21], s[20:21]
	s_cbranch_execz .LBB6_1916
; %bb.1915:                             ;   in Loop: Header=BB6_1854 Depth=1
	s_waitcnt vmcnt(0) lgkmcnt(0)
	buffer_wbinvl1_vol
	s_barrier
.LBB6_1916:                             ;   in Loop: Header=BB6_1854 Depth=1
	s_or_b64 exec, exec, s[20:21]
.LBB6_1917:                             ;   in Loop: Header=BB6_1854 Depth=1
	s_or_b64 exec, exec, s[18:19]
	s_trap 2
	ds_read_b64 v[2:3], v0
	v_min_u32_e32 v47, v47, v40
	s_waitcnt lgkmcnt(0)
	v_readfirstlane_b32 s18, v2
	v_readfirstlane_b32 s19, v3
	s_cmp_eq_u64 s[18:19], 0
	s_cselect_b64 s[18:19], -1, 0
	s_or_b64 s[20:21], s[18:19], s[18:19]
	s_mov_b64 s[18:19], 0
	s_and_b64 vcc, exec, s[20:21]
	s_cbranch_vccnz .LBB6_3574
; %bb.1918:                             ;   in Loop: Header=BB6_1854 Depth=1
	s_mov_b64 s[20:21], -1
	s_and_saveexec_b64 s[18:19], s[14:15]
	s_cbranch_execz .LBB6_1920
; %bb.1919:                             ;   in Loop: Header=BB6_1854 Depth=1
	ds_read_b32 v0, v0 offset:720
	s_waitcnt lgkmcnt(0)
	v_and_b32_e32 v0, 15, v0
	v_cmp_eq_u32_e32 vcc, 0, v0
	s_orn2_b64 s[20:21], vcc, exec
.LBB6_1920:                             ;   in Loop: Header=BB6_1854 Depth=1
	s_or_b64 exec, exec, s[18:19]
	s_and_saveexec_b64 s[18:19], s[16:17]
	s_cbranch_execz .LBB6_1922
; %bb.1921:                             ;   in Loop: Header=BB6_1854 Depth=1
	ds_read_b32 v0, v0 offset:784
	s_waitcnt lgkmcnt(0)
	v_and_b32_e32 v0, 15, v0
	v_cmp_eq_u32_e32 vcc, 0, v0
	s_and_b64 vcc, s[20:21], vcc
	s_andn2_b64 s[20:21], s[20:21], exec
	s_and_b64 vcc, vcc, exec
	s_or_b64 s[20:21], s[20:21], vcc
.LBB6_1922:                             ;   in Loop: Header=BB6_1854 Depth=1
	s_or_b64 exec, exec, s[18:19]
	s_xor_b64 s[20:21], s[20:21], -1
	v_cmp_eq_u32_e32 vcc, 0, v1
	v_cndmask_b32_e64 v1, 0, 1, s[20:21]
	v_cndmask_b32_e32 v56, 0, v47, vcc
	;;#ASMSTART
	;;#ASMEND
	v_mov_b32_e32 v0, 0
	s_mov_b64 s[18:19], -1
	v_cmp_ne_u32_e32 vcc, 0, v1
	v_mov_b32_e32 v1, v56
	v_mov_b32_e32 v16, v46
	;; [unrolled: 1-line block ×3, first 2 shown]
	s_cbranch_vccz .LBB6_1924
; %bb.1923:                             ;   in Loop: Header=BB6_1854 Depth=1
	s_and_saveexec_b64 s[20:21], s[18:19]
	s_cbranch_execnz .LBB6_3089
	s_branch .LBB6_3573
.LBB6_1924:                             ;   in Loop: Header=BB6_1854 Depth=1
	v_lshrrev_b32_e32 v0, 11, v56
	v_sub_u32_e32 v41, v0, v54
	v_cmp_lt_i32_e32 vcc, 0, v41
	s_and_saveexec_b64 s[20:21], vcc
	s_cbranch_execz .LBB6_2696
; %bb.1925:                             ;   in Loop: Header=BB6_1854 Depth=1
	s_trap 2
	ds_read_b128 v[0:3], v0
	v_accvgpr_read_b32 v6, a28
	v_accvgpr_read_b32 v7, a27
	v_accvgpr_write_b32 a35, v47
	v_accvgpr_write_b32 a36, v56
	s_waitcnt lgkmcnt(0)
	ds_read_b64 v[4:5], v0
	v_add_co_u32_e32 v46, vcc, v0, v6
	v_addc_co_u32_e32 v47, vcc, v1, v7, vcc
	v_add_co_u32_e32 v56, vcc, v2, v6
	v_addc_co_u32_e32 v57, vcc, v3, v7, vcc
	s_waitcnt lgkmcnt(0)
	v_add_co_u32_e32 v58, vcc, v4, v6
	v_accvgpr_write_b32 a34, v40
	v_addc_co_u32_e32 v59, vcc, v5, v7, vcc
	s_mov_b64 s[50:51], 0
	s_branch .LBB6_1927
.LBB6_1926:                             ;   in Loop: Header=BB6_1927 Depth=2
	s_or_b64 exec, exec, s[18:19]
	v_lshlrev_b32_e32 v3, 8, v55
	v_perm_b32 v1, v3, v1, s73
	v_lshl_or_b32 v1, v34, 16, v1
	v_lshl_or_b32 v7, v19, 24, v1
	v_and_b32_e32 v1, 0xff, v27
	v_lshlrev_b32_e32 v3, 8, v26
	v_lshlrev_b32_e32 v0, 24, v0
	v_lshlrev_b32_e32 v1, 16, v1
	v_perm_b32 v3, v3, v45, s73
	v_or3_b32 v6, v0, v1, v3
	v_and_b32_e32 v0, 0xff, v35
	v_lshlrev_b32_e32 v3, 8, v23
	v_lshlrev_b32_e32 v1, 24, v40
	;; [unrolled: 1-line block ×3, first 2 shown]
	v_perm_b32 v3, v3, v22, s73
	v_or3_b32 v8, v1, v0, v3
	v_lshlrev_b32_e32 v0, 8, v44
	v_perm_b32 v0, v0, v50, s73
	v_lshl_or_b32 v0, v28, 16, v0
	v_lshl_or_b32 v9, v20, 24, v0
	v_lshlrev_b32_e32 v0, 8, v18
	v_perm_b32 v0, v0, v31, s73
	v_lshl_or_b32 v0, v51, 16, v0
	v_lshl_or_b32 v13, v11, 24, v0
	v_and_b32_e32 v0, 0xff, v25
	v_lshlrev_b32_e32 v3, 8, v24
	v_lshlrev_b32_e32 v1, 24, v30
	;; [unrolled: 1-line block ×3, first 2 shown]
	v_perm_b32 v3, v3, v21, s73
	v_or3_b32 v12, v1, v0, v3
	v_and_b32_e32 v0, 0xff, v54
	v_lshlrev_b32_e32 v3, 8, v15
	v_lshlrev_b32_e32 v1, 24, v4
	;; [unrolled: 1-line block ×3, first 2 shown]
	v_perm_b32 v3, v3, v14, s73
	v_or3_b32 v14, v1, v0, v3
	v_lshlrev_b32_e32 v0, 8, v10
	v_perm_b32 v0, v0, v5, s73
	v_lshl_or_b32 v0, v48, 16, v0
	v_accvgpr_read_b32 v1, a29
	v_lshl_or_b32 v15, v2, 24, v0
	v_add_co_u32_e32 v46, vcc, v46, v1
	v_accvgpr_read_b32 v2, a30
	v_addc_co_u32_e32 v47, vcc, v47, v2, vcc
	v_add_co_u32_e32 v56, vcc, v56, v1
	v_accvgpr_read_b32 v0, a26
	v_addc_co_u32_e32 v57, vcc, v57, v2, vcc
	v_sub_u32_e32 v41, v41, v0
	v_cmp_gt_i32_e32 vcc, 1, v41
	global_store_dwordx4 v[58:59], v[6:9], off glc slc
	global_store_dwordx4 v[58:59], v[12:15], off offset:1024 glc slc
	s_or_b64 s[50:51], vcc, s[50:51]
	v_add_co_u32_e32 v58, vcc, v58, v1
	v_addc_co_u32_e32 v59, vcc, v59, v2, vcc
	s_andn2_b64 exec, exec, s[50:51]
	s_cbranch_execz .LBB6_2695
.LBB6_1927:                             ;   Parent Loop BB6_1854 Depth=1
                                        ; =>  This Inner Loop Header: Depth=2
	global_load_dwordx4 v[22:25], v[46:47], off glc slc
	global_load_dwordx4 v[14:17], v[46:47], off offset:1024 glc slc
	global_load_dwordx4 v[18:21], v[56:57], off glc slc
	global_load_dwordx4 v[10:13], v[56:57], off offset:1024 glc slc
	v_mov_b32_e32 v0, 0
	v_mov_b32_e32 v1, 0
	s_waitcnt vmcnt(0)
	v_cmp_ne_u16_sdwa vcc, v22, v53 src0_sel:BYTE_0 src1_sel:DWORD
	s_and_saveexec_b64 s[18:19], vcc
	s_cbranch_execz .LBB6_1933
; %bb.1928:                             ;   in Loop: Header=BB6_1927 Depth=2
	v_cmp_ne_u16_sdwa vcc, v22, s69 src0_sel:BYTE_0 src1_sel:DWORD
	v_bfrev_b32_e32 v1, 1
	s_and_saveexec_b64 s[52:53], vcc
	s_cbranch_execz .LBB6_1932
; %bb.1929:                             ;   in Loop: Header=BB6_1927 Depth=2
	v_and_b32_e32 v2, 0x7f, v22
	v_cmp_ne_u32_e32 vcc, s71, v2
	v_mov_b32_e32 v1, 0x7f800001
	s_and_saveexec_b64 s[54:55], vcc
	s_cbranch_execz .LBB6_1931
; %bb.1930:                             ;   in Loop: Header=BB6_1927 Depth=2
	v_and_b32_e32 v1, 7, v22
	v_ffbh_u32_e32 v1, v1
	v_min_u32_e32 v1, 32, v1
	v_subrev_u32_e32 v4, 28, v1
	v_cmp_gt_u32_e32 vcc, 8, v2
	v_lshrrev_b32_e32 v3, 3, v2
	v_sub_u32_e32 v1, 29, v1
	v_cndmask_b32_e32 v2, 0, v4, vcc
	v_cndmask_b32_e32 v1, v3, v1, vcc
	v_lshlrev_b64 v[2:3], v2, v[22:23]
	v_lshlrev_b32_e32 v2, 20, v2
	v_lshlrev_b32_e32 v3, 24, v22
	v_and_b32_e32 v2, 0x700000, v2
	v_and_b32_e32 v3, 0x80000000, v3
	v_lshl_add_u32 v1, v1, 23, v29
	v_or3_b32 v1, v3, v1, v2
.LBB6_1931:                             ;   in Loop: Header=BB6_1927 Depth=2
	s_or_b64 exec, exec, s[54:55]
.LBB6_1932:                             ;   in Loop: Header=BB6_1927 Depth=2
	s_or_b64 exec, exec, s[52:53]
.LBB6_1933:                             ;   in Loop: Header=BB6_1927 Depth=2
	s_or_b64 exec, exec, s[18:19]
	s_waitcnt vmcnt(1)
	v_cmp_ne_u16_sdwa vcc, v18, v53 src0_sel:BYTE_0 src1_sel:DWORD
	s_and_saveexec_b64 s[18:19], vcc
	s_cbranch_execz .LBB6_1939
; %bb.1934:                             ;   in Loop: Header=BB6_1927 Depth=2
	v_cmp_ne_u16_sdwa vcc, v18, s69 src0_sel:BYTE_0 src1_sel:DWORD
	v_bfrev_b32_e32 v0, 1
	s_and_saveexec_b64 s[52:53], vcc
	s_cbranch_execz .LBB6_1938
; %bb.1935:                             ;   in Loop: Header=BB6_1927 Depth=2
	v_and_b32_e32 v2, 0x7f, v18
	v_cmp_ne_u32_e32 vcc, s71, v2
	v_mov_b32_e32 v0, 0x7f800001
	s_and_saveexec_b64 s[54:55], vcc
	s_cbranch_execz .LBB6_1937
; %bb.1936:                             ;   in Loop: Header=BB6_1927 Depth=2
	v_and_b32_e32 v0, 7, v18
	v_ffbh_u32_e32 v0, v0
	v_min_u32_e32 v0, 32, v0
	v_subrev_u32_e32 v4, 28, v0
	v_cmp_gt_u32_e32 vcc, 8, v2
	v_lshrrev_b32_e32 v3, 3, v2
	v_sub_u32_e32 v0, 29, v0
	v_cndmask_b32_e32 v2, 0, v4, vcc
	v_cndmask_b32_e32 v0, v3, v0, vcc
	v_lshlrev_b64 v[2:3], v2, v[18:19]
	v_lshlrev_b32_e32 v2, 20, v2
	v_lshlrev_b32_e32 v3, 24, v18
	v_and_b32_e32 v2, 0x700000, v2
	v_and_b32_e32 v3, 0x80000000, v3
	v_lshl_add_u32 v0, v0, 23, v29
	v_or3_b32 v0, v3, v0, v2
.LBB6_1937:                             ;   in Loop: Header=BB6_1927 Depth=2
	s_or_b64 exec, exec, s[54:55]
.LBB6_1938:                             ;   in Loop: Header=BB6_1927 Depth=2
	s_or_b64 exec, exec, s[52:53]
.LBB6_1939:                             ;   in Loop: Header=BB6_1927 Depth=2
	s_or_b64 exec, exec, s[18:19]
	v_add_f32_e32 v1, v1, v0
	v_and_b32_sdwa v0, v1, s69 dst_sel:DWORD dst_unused:UNUSED_PAD src0_sel:BYTE_3 src1_sel:DWORD
	v_and_b32_e32 v2, 0x7f800000, v1
	v_mov_b32_e32 v3, v53
	v_and_b32_e32 v52, 0x7fffff, v1
	v_or_b32_e32 v45, 0x7e, v0
	v_cmp_ne_u64_e32 vcc, s[38:39], v[2:3]
	s_and_saveexec_b64 s[18:19], vcc
	s_xor_b64 s[52:53], exec, s[18:19]
	s_cbranch_execz .LBB6_1949
; %bb.1940:                             ;   in Loop: Header=BB6_1927 Depth=2
	v_and_b32_e32 v2, 0x7fffffff, v1
	v_mov_b32_e32 v3, v53
	v_cmp_gt_u64_e32 vcc, s[40:41], v[2:3]
	s_and_saveexec_b64 s[54:55], vcc
	s_cbranch_execz .LBB6_1948
; %bb.1941:                             ;   in Loop: Header=BB6_1927 Depth=2
	v_cmp_ne_u32_e32 vcc, 0, v1
	v_mov_b32_e32 v45, 0
	s_and_saveexec_b64 s[56:57], vcc
	s_cbranch_execz .LBB6_1947
; %bb.1942:                             ;   in Loop: Header=BB6_1927 Depth=2
	v_bfe_u32 v1, v1, 23, 8
	v_sub_u32_e32 v3, 0x79, v1
	v_cmp_gt_u32_e32 vcc, s72, v1
	v_cndmask_b32_e32 v3, 0, v3, vcc
	v_cmp_eq_u32_e32 vcc, 0, v1
	v_add_u32_e32 v2, 0xffffff81, v1
	v_or_b32_e32 v4, 0x800000, v52
	v_cndmask_b32_e32 v5, v3, v38, vcc
	v_cndmask_b32_e32 v1, v2, v33, vcc
	;; [unrolled: 1-line block ×3, first 2 shown]
	v_add_u32_e32 v2, 20, v5
	v_lshlrev_b64 v[2:3], v2, -1
	v_add_u32_e32 v4, 19, v5
	v_lshrrev_b64 v[8:9], v5, v[52:53]
	v_not_b32_e32 v3, v3
	v_not_b32_e32 v2, v2
	v_lshlrev_b64 v[6:7], v4, 1
	v_lshrrev_b32_e32 v4, 23, v8
	v_and_b32_e32 v3, 0, v3
	v_and_b32_e32 v2, v52, v2
	v_add3_u32 v5, v5, v1, v4
	v_bfe_u32 v1, v8, 20, 1
	v_add_u32_e32 v1, -1, v1
	v_cmp_eq_u64_e32 vcc, v[2:3], v[6:7]
	v_cndmask_b32_e32 v1, 0, v1, vcc
	v_add_u32_e32 v1, v1, v8
	v_and_b32_e32 v1, 0xfffff, v1
	v_add_co_u32_e32 v2, vcc, v1, v8
	v_add_u32_e32 v4, 6, v5
	v_addc_co_u32_e32 v3, vcc, 0, v9, vcc
	v_cmp_ne_u32_e32 vcc, 0, v4
                                        ; implicit-def: $vgpr1
	s_and_saveexec_b64 s[18:19], vcc
	s_xor_b64 s[18:19], exec, s[18:19]
; %bb.1943:                             ;   in Loop: Header=BB6_1927 Depth=2
	v_add_u32_e32 v1, 7, v5
	v_cmp_lt_u64_e32 vcc, s[44:45], v[2:3]
	v_cndmask_b32_e32 v1, v4, v1, vcc
	v_cndmask_b32_e64 v4, 0, 1, vcc
	v_lshrrev_b64 v[2:3], v4, v[2:3]
; %bb.1944:                             ;   in Loop: Header=BB6_1927 Depth=2
	s_andn2_saveexec_b64 s[18:19], s[18:19]
; %bb.1945:                             ;   in Loop: Header=BB6_1927 Depth=2
	v_bfe_u32 v1, v2, 23, 1
; %bb.1946:                             ;   in Loop: Header=BB6_1927 Depth=2
	s_or_b64 exec, exec, s[18:19]
	v_lshrrev_b64 v[2:3], 20, v[2:3]
	v_cmp_gt_i32_e32 vcc, 16, v1
	v_cndmask_b32_e32 v3, 0, v3, vcc
	v_cndmask_b32_e32 v2, 7, v2, vcc
	v_cmp_eq_u32_e32 vcc, 0, v1
	v_min_i32_e32 v1, 15, v1
	v_cmp_eq_u64_e64 s[18:19], 0, v[2:3]
	v_lshlrev_b32_e32 v1, 3, v1
	v_and_or_b32 v1, v2, 7, v1
	s_and_b64 s[18:19], vcc, s[18:19]
	v_cndmask_b32_e64 v1, v1, 0, s[18:19]
	v_or_b32_e32 v45, v1, v0
.LBB6_1947:                             ;   in Loop: Header=BB6_1927 Depth=2
	s_or_b64 exec, exec, s[56:57]
.LBB6_1948:                             ;   in Loop: Header=BB6_1927 Depth=2
	s_or_b64 exec, exec, s[54:55]
                                        ; implicit-def: $vgpr1
.LBB6_1949:                             ;   in Loop: Header=BB6_1927 Depth=2
	s_andn2_saveexec_b64 s[18:19], s[52:53]
; %bb.1950:                             ;   in Loop: Header=BB6_1927 Depth=2
	v_or_b32_sdwa v0, v1, s71 dst_sel:DWORD dst_unused:UNUSED_PAD src0_sel:BYTE_3 src1_sel:DWORD
	v_cmp_eq_u64_e32 vcc, 0, v[52:53]
	v_cndmask_b32_e32 v45, v0, v45, vcc
; %bb.1951:                             ;   in Loop: Header=BB6_1927 Depth=2
	s_or_b64 exec, exec, s[18:19]
	v_lshrrev_b16_e32 v2, 8, v22
	v_cmp_ne_u16_e32 vcc, 0, v2
	v_mov_b32_e32 v0, 0
	v_mov_b32_e32 v1, 0
	s_and_saveexec_b64 s[18:19], vcc
	s_cbranch_execz .LBB6_1957
; %bb.1952:                             ;   in Loop: Header=BB6_1927 Depth=2
	v_cmp_ne_u16_e32 vcc, s69, v2
	v_bfrev_b32_e32 v1, 1
	s_and_saveexec_b64 s[52:53], vcc
	s_cbranch_execz .LBB6_1956
; %bb.1953:                             ;   in Loop: Header=BB6_1927 Depth=2
	v_and_b32_e32 v3, 0x7f, v2
	v_cmp_ne_u32_e32 vcc, s71, v3
	v_mov_b32_e32 v1, 0x7f800001
	s_and_saveexec_b64 s[54:55], vcc
	s_cbranch_execz .LBB6_1955
; %bb.1954:                             ;   in Loop: Header=BB6_1927 Depth=2
	v_and_b32_e32 v1, 7, v2
	v_ffbh_u32_e32 v4, v1
	v_min_u32_e32 v7, 32, v4
	v_subrev_u32_e32 v4, 28, v7
	v_lshlrev_b64 v[4:5], v4, v[2:3]
	v_lshrrev_b32_e32 v6, 3, v3
	v_sub_u32_e32 v2, 29, v7
	v_and_b32_e32 v4, 7, v4
	v_cmp_gt_u32_e32 vcc, 8, v3
	v_cndmask_b32_e32 v2, v6, v2, vcc
	v_cndmask_b32_e32 v1, v1, v4, vcc
	v_lshlrev_b32_e32 v3, 16, v22
	v_lshlrev_b32_e32 v1, 20, v1
	v_and_b32_e32 v3, 0x80000000, v3
	v_lshl_add_u32 v2, v2, 23, v29
	v_or3_b32 v1, v3, v2, v1
.LBB6_1955:                             ;   in Loop: Header=BB6_1927 Depth=2
	s_or_b64 exec, exec, s[54:55]
.LBB6_1956:                             ;   in Loop: Header=BB6_1927 Depth=2
	s_or_b64 exec, exec, s[52:53]
.LBB6_1957:                             ;   in Loop: Header=BB6_1927 Depth=2
	s_or_b64 exec, exec, s[18:19]
	v_lshrrev_b16_e32 v2, 8, v18
	v_cmp_ne_u16_e32 vcc, 0, v2
	s_and_saveexec_b64 s[18:19], vcc
	s_cbranch_execz .LBB6_1963
; %bb.1958:                             ;   in Loop: Header=BB6_1927 Depth=2
	v_cmp_ne_u16_e32 vcc, s69, v2
	v_bfrev_b32_e32 v0, 1
	s_and_saveexec_b64 s[52:53], vcc
	s_cbranch_execz .LBB6_1962
; %bb.1959:                             ;   in Loop: Header=BB6_1927 Depth=2
	v_and_b32_e32 v3, 0x7f, v2
	v_cmp_ne_u32_e32 vcc, s71, v3
	v_mov_b32_e32 v0, 0x7f800001
	s_and_saveexec_b64 s[54:55], vcc
	s_cbranch_execz .LBB6_1961
; %bb.1960:                             ;   in Loop: Header=BB6_1927 Depth=2
	v_and_b32_e32 v0, 7, v2
	v_ffbh_u32_e32 v4, v0
	v_min_u32_e32 v7, 32, v4
	v_subrev_u32_e32 v4, 28, v7
	v_lshlrev_b64 v[4:5], v4, v[2:3]
	v_lshrrev_b32_e32 v6, 3, v3
	v_sub_u32_e32 v2, 29, v7
	v_and_b32_e32 v4, 7, v4
	v_cmp_gt_u32_e32 vcc, 8, v3
	v_cndmask_b32_e32 v2, v6, v2, vcc
	v_cndmask_b32_e32 v0, v0, v4, vcc
	v_lshlrev_b32_e32 v3, 16, v18
	v_lshlrev_b32_e32 v0, 20, v0
	v_and_b32_e32 v3, 0x80000000, v3
	v_lshl_add_u32 v2, v2, 23, v29
	v_or3_b32 v0, v3, v2, v0
.LBB6_1961:                             ;   in Loop: Header=BB6_1927 Depth=2
	s_or_b64 exec, exec, s[54:55]
.LBB6_1962:                             ;   in Loop: Header=BB6_1927 Depth=2
	s_or_b64 exec, exec, s[52:53]
.LBB6_1963:                             ;   in Loop: Header=BB6_1927 Depth=2
	s_or_b64 exec, exec, s[18:19]
	v_add_f32_e32 v1, v1, v0
	v_and_b32_sdwa v0, v1, s69 dst_sel:DWORD dst_unused:UNUSED_PAD src0_sel:BYTE_3 src1_sel:DWORD
	v_and_b32_e32 v2, 0x7f800000, v1
	v_mov_b32_e32 v3, v53
	v_and_b32_e32 v52, 0x7fffff, v1
	v_or_b32_e32 v26, 0x7e, v0
	v_cmp_ne_u64_e32 vcc, s[38:39], v[2:3]
	s_and_saveexec_b64 s[18:19], vcc
	s_xor_b64 s[52:53], exec, s[18:19]
	s_cbranch_execz .LBB6_1973
; %bb.1964:                             ;   in Loop: Header=BB6_1927 Depth=2
	v_and_b32_e32 v2, 0x7fffffff, v1
	v_mov_b32_e32 v3, v53
	v_cmp_gt_u64_e32 vcc, s[40:41], v[2:3]
	s_and_saveexec_b64 s[54:55], vcc
	s_cbranch_execz .LBB6_1972
; %bb.1965:                             ;   in Loop: Header=BB6_1927 Depth=2
	v_cmp_ne_u32_e32 vcc, 0, v1
	v_mov_b32_e32 v26, 0
	s_and_saveexec_b64 s[56:57], vcc
	s_cbranch_execz .LBB6_1971
; %bb.1966:                             ;   in Loop: Header=BB6_1927 Depth=2
	v_bfe_u32 v1, v1, 23, 8
	v_sub_u32_e32 v3, 0x79, v1
	v_cmp_gt_u32_e32 vcc, s72, v1
	v_cndmask_b32_e32 v3, 0, v3, vcc
	v_cmp_eq_u32_e32 vcc, 0, v1
	v_add_u32_e32 v2, 0xffffff81, v1
	v_or_b32_e32 v4, 0x800000, v52
	v_cndmask_b32_e32 v5, v3, v38, vcc
	v_cndmask_b32_e32 v1, v2, v33, vcc
	;; [unrolled: 1-line block ×3, first 2 shown]
	v_add_u32_e32 v2, 20, v5
	v_lshlrev_b64 v[2:3], v2, -1
	v_add_u32_e32 v4, 19, v5
	v_lshrrev_b64 v[8:9], v5, v[52:53]
	v_not_b32_e32 v3, v3
	v_not_b32_e32 v2, v2
	v_lshlrev_b64 v[6:7], v4, 1
	v_lshrrev_b32_e32 v4, 23, v8
	v_and_b32_e32 v3, 0, v3
	v_and_b32_e32 v2, v52, v2
	v_add3_u32 v5, v5, v1, v4
	v_bfe_u32 v1, v8, 20, 1
	v_add_u32_e32 v1, -1, v1
	v_cmp_eq_u64_e32 vcc, v[2:3], v[6:7]
	v_cndmask_b32_e32 v1, 0, v1, vcc
	v_add_u32_e32 v1, v1, v8
	v_and_b32_e32 v1, 0xfffff, v1
	v_add_co_u32_e32 v2, vcc, v1, v8
	v_add_u32_e32 v4, 6, v5
	v_addc_co_u32_e32 v3, vcc, 0, v9, vcc
	v_cmp_ne_u32_e32 vcc, 0, v4
                                        ; implicit-def: $vgpr1
	s_and_saveexec_b64 s[18:19], vcc
	s_xor_b64 s[18:19], exec, s[18:19]
; %bb.1967:                             ;   in Loop: Header=BB6_1927 Depth=2
	v_add_u32_e32 v1, 7, v5
	v_cmp_lt_u64_e32 vcc, s[44:45], v[2:3]
	v_cndmask_b32_e32 v1, v4, v1, vcc
	v_cndmask_b32_e64 v4, 0, 1, vcc
	v_lshrrev_b64 v[2:3], v4, v[2:3]
; %bb.1968:                             ;   in Loop: Header=BB6_1927 Depth=2
	s_andn2_saveexec_b64 s[18:19], s[18:19]
; %bb.1969:                             ;   in Loop: Header=BB6_1927 Depth=2
	v_bfe_u32 v1, v2, 23, 1
; %bb.1970:                             ;   in Loop: Header=BB6_1927 Depth=2
	s_or_b64 exec, exec, s[18:19]
	v_lshrrev_b64 v[2:3], 20, v[2:3]
	v_cmp_gt_i32_e32 vcc, 16, v1
	v_cndmask_b32_e32 v3, 0, v3, vcc
	v_cndmask_b32_e32 v2, 7, v2, vcc
	v_cmp_eq_u32_e32 vcc, 0, v1
	v_min_i32_e32 v1, 15, v1
	v_cmp_eq_u64_e64 s[18:19], 0, v[2:3]
	v_lshlrev_b32_e32 v1, 3, v1
	v_and_or_b32 v1, v2, 7, v1
	s_and_b64 s[18:19], vcc, s[18:19]
	v_cndmask_b32_e64 v1, v1, 0, s[18:19]
	v_or_b32_e32 v26, v1, v0
.LBB6_1971:                             ;   in Loop: Header=BB6_1927 Depth=2
	s_or_b64 exec, exec, s[56:57]
.LBB6_1972:                             ;   in Loop: Header=BB6_1927 Depth=2
	s_or_b64 exec, exec, s[54:55]
                                        ; implicit-def: $vgpr1
.LBB6_1973:                             ;   in Loop: Header=BB6_1927 Depth=2
	s_andn2_saveexec_b64 s[18:19], s[52:53]
; %bb.1974:                             ;   in Loop: Header=BB6_1927 Depth=2
	v_or_b32_sdwa v0, v1, s71 dst_sel:DWORD dst_unused:UNUSED_PAD src0_sel:BYTE_3 src1_sel:DWORD
	v_cmp_eq_u64_e32 vcc, 0, v[52:53]
	v_cndmask_b32_e32 v26, v0, v26, vcc
; %bb.1975:                             ;   in Loop: Header=BB6_1927 Depth=2
	s_or_b64 exec, exec, s[18:19]
	v_lshrrev_b32_e32 v2, 16, v22
	v_cmp_ne_u16_sdwa vcc, v2, v53 src0_sel:BYTE_0 src1_sel:DWORD
	v_mov_b32_e32 v0, 0
	v_mov_b32_e32 v1, 0
	s_and_saveexec_b64 s[18:19], vcc
	s_cbranch_execz .LBB6_1981
; %bb.1976:                             ;   in Loop: Header=BB6_1927 Depth=2
	v_cmp_ne_u16_sdwa vcc, v2, s69 src0_sel:BYTE_0 src1_sel:DWORD
	v_bfrev_b32_e32 v1, 1
	s_and_saveexec_b64 s[52:53], vcc
	s_cbranch_execz .LBB6_1980
; %bb.1977:                             ;   in Loop: Header=BB6_1927 Depth=2
	v_bfe_u32 v3, v22, 16, 7
	v_cmp_ne_u32_e32 vcc, s71, v3
	v_mov_b32_e32 v1, 0x7f800001
	s_and_saveexec_b64 s[54:55], vcc
	s_cbranch_execz .LBB6_1979
; %bb.1978:                             ;   in Loop: Header=BB6_1927 Depth=2
	v_and_b32_e32 v1, 7, v2
	v_ffbh_u32_e32 v4, v1
	v_min_u32_e32 v7, 32, v4
	v_subrev_u32_e32 v4, 28, v7
	v_lshlrev_b64 v[4:5], v4, v[2:3]
	v_lshrrev_b32_e32 v6, 3, v3
	v_sub_u32_e32 v5, 29, v7
	v_and_b32_e32 v4, 7, v4
	v_cmp_gt_u32_e32 vcc, 8, v3
	v_cndmask_b32_e32 v3, v6, v5, vcc
	v_cndmask_b32_e32 v1, v1, v4, vcc
	v_lshlrev_b32_e32 v2, 24, v2
	v_lshlrev_b32_e32 v1, 20, v1
	v_and_b32_e32 v2, 0x80000000, v2
	v_lshl_add_u32 v3, v3, 23, v29
	v_or3_b32 v1, v2, v3, v1
.LBB6_1979:                             ;   in Loop: Header=BB6_1927 Depth=2
	s_or_b64 exec, exec, s[54:55]
.LBB6_1980:                             ;   in Loop: Header=BB6_1927 Depth=2
	s_or_b64 exec, exec, s[52:53]
.LBB6_1981:                             ;   in Loop: Header=BB6_1927 Depth=2
	s_or_b64 exec, exec, s[18:19]
	v_lshrrev_b32_e32 v2, 16, v18
	v_cmp_ne_u16_sdwa vcc, v2, v53 src0_sel:BYTE_0 src1_sel:DWORD
	s_and_saveexec_b64 s[18:19], vcc
	s_cbranch_execz .LBB6_1987
; %bb.1982:                             ;   in Loop: Header=BB6_1927 Depth=2
	v_cmp_ne_u16_sdwa vcc, v2, s69 src0_sel:BYTE_0 src1_sel:DWORD
	v_bfrev_b32_e32 v0, 1
	s_and_saveexec_b64 s[52:53], vcc
	s_cbranch_execz .LBB6_1986
; %bb.1983:                             ;   in Loop: Header=BB6_1927 Depth=2
	v_bfe_u32 v3, v18, 16, 7
	v_cmp_ne_u32_e32 vcc, s71, v3
	v_mov_b32_e32 v0, 0x7f800001
	s_and_saveexec_b64 s[54:55], vcc
	s_cbranch_execz .LBB6_1985
; %bb.1984:                             ;   in Loop: Header=BB6_1927 Depth=2
	v_and_b32_e32 v0, 7, v2
	v_ffbh_u32_e32 v4, v0
	v_min_u32_e32 v7, 32, v4
	v_subrev_u32_e32 v4, 28, v7
	v_lshlrev_b64 v[4:5], v4, v[2:3]
	v_lshrrev_b32_e32 v6, 3, v3
	v_sub_u32_e32 v2, 29, v7
	v_and_b32_e32 v4, 7, v4
	v_cmp_gt_u32_e32 vcc, 8, v3
	v_cndmask_b32_e32 v2, v6, v2, vcc
	v_cndmask_b32_e32 v0, v0, v4, vcc
	v_lshlrev_b32_e32 v3, 8, v18
	v_lshlrev_b32_e32 v0, 20, v0
	v_and_b32_e32 v3, 0x80000000, v3
	v_lshl_add_u32 v2, v2, 23, v29
	v_or3_b32 v0, v3, v2, v0
.LBB6_1985:                             ;   in Loop: Header=BB6_1927 Depth=2
	s_or_b64 exec, exec, s[54:55]
.LBB6_1986:                             ;   in Loop: Header=BB6_1927 Depth=2
	s_or_b64 exec, exec, s[52:53]
.LBB6_1987:                             ;   in Loop: Header=BB6_1927 Depth=2
	s_or_b64 exec, exec, s[18:19]
	v_add_f32_e32 v1, v1, v0
	v_and_b32_sdwa v0, v1, s69 dst_sel:DWORD dst_unused:UNUSED_PAD src0_sel:BYTE_3 src1_sel:DWORD
	v_and_b32_e32 v2, 0x7f800000, v1
	v_mov_b32_e32 v3, v53
	v_and_b32_e32 v52, 0x7fffff, v1
	v_or_b32_e32 v27, 0x7e, v0
	v_cmp_ne_u64_e32 vcc, s[38:39], v[2:3]
	s_and_saveexec_b64 s[18:19], vcc
	s_xor_b64 s[52:53], exec, s[18:19]
	s_cbranch_execz .LBB6_1997
; %bb.1988:                             ;   in Loop: Header=BB6_1927 Depth=2
	v_and_b32_e32 v2, 0x7fffffff, v1
	v_mov_b32_e32 v3, v53
	v_cmp_gt_u64_e32 vcc, s[40:41], v[2:3]
	s_and_saveexec_b64 s[54:55], vcc
	s_cbranch_execz .LBB6_1996
; %bb.1989:                             ;   in Loop: Header=BB6_1927 Depth=2
	v_cmp_ne_u32_e32 vcc, 0, v1
	v_mov_b32_e32 v27, 0
	s_and_saveexec_b64 s[56:57], vcc
	s_cbranch_execz .LBB6_1995
; %bb.1990:                             ;   in Loop: Header=BB6_1927 Depth=2
	v_bfe_u32 v1, v1, 23, 8
	v_sub_u32_e32 v3, 0x79, v1
	v_cmp_gt_u32_e32 vcc, s72, v1
	v_cndmask_b32_e32 v3, 0, v3, vcc
	v_cmp_eq_u32_e32 vcc, 0, v1
	v_add_u32_e32 v2, 0xffffff81, v1
	v_or_b32_e32 v4, 0x800000, v52
	v_cndmask_b32_e32 v5, v3, v38, vcc
	v_cndmask_b32_e32 v1, v2, v33, vcc
	;; [unrolled: 1-line block ×3, first 2 shown]
	v_add_u32_e32 v2, 20, v5
	v_lshlrev_b64 v[2:3], v2, -1
	v_add_u32_e32 v4, 19, v5
	v_lshrrev_b64 v[8:9], v5, v[52:53]
	v_not_b32_e32 v3, v3
	v_not_b32_e32 v2, v2
	v_lshlrev_b64 v[6:7], v4, 1
	v_lshrrev_b32_e32 v4, 23, v8
	v_and_b32_e32 v3, 0, v3
	v_and_b32_e32 v2, v52, v2
	v_add3_u32 v5, v5, v1, v4
	v_bfe_u32 v1, v8, 20, 1
	v_add_u32_e32 v1, -1, v1
	v_cmp_eq_u64_e32 vcc, v[2:3], v[6:7]
	v_cndmask_b32_e32 v1, 0, v1, vcc
	v_add_u32_e32 v1, v1, v8
	v_and_b32_e32 v1, 0xfffff, v1
	v_add_co_u32_e32 v2, vcc, v1, v8
	v_add_u32_e32 v4, 6, v5
	v_addc_co_u32_e32 v3, vcc, 0, v9, vcc
	v_cmp_ne_u32_e32 vcc, 0, v4
                                        ; implicit-def: $vgpr1
	s_and_saveexec_b64 s[18:19], vcc
	s_xor_b64 s[18:19], exec, s[18:19]
; %bb.1991:                             ;   in Loop: Header=BB6_1927 Depth=2
	v_add_u32_e32 v1, 7, v5
	v_cmp_lt_u64_e32 vcc, s[44:45], v[2:3]
	v_cndmask_b32_e32 v1, v4, v1, vcc
	v_cndmask_b32_e64 v4, 0, 1, vcc
	v_lshrrev_b64 v[2:3], v4, v[2:3]
; %bb.1992:                             ;   in Loop: Header=BB6_1927 Depth=2
	s_andn2_saveexec_b64 s[18:19], s[18:19]
; %bb.1993:                             ;   in Loop: Header=BB6_1927 Depth=2
	v_bfe_u32 v1, v2, 23, 1
; %bb.1994:                             ;   in Loop: Header=BB6_1927 Depth=2
	s_or_b64 exec, exec, s[18:19]
	v_lshrrev_b64 v[2:3], 20, v[2:3]
	v_cmp_gt_i32_e32 vcc, 16, v1
	v_cndmask_b32_e32 v3, 0, v3, vcc
	v_cndmask_b32_e32 v2, 7, v2, vcc
	v_cmp_eq_u32_e32 vcc, 0, v1
	v_min_i32_e32 v1, 15, v1
	v_cmp_eq_u64_e64 s[18:19], 0, v[2:3]
	v_lshlrev_b32_e32 v1, 3, v1
	v_and_or_b32 v1, v2, 7, v1
	s_and_b64 s[18:19], vcc, s[18:19]
	v_cndmask_b32_e64 v1, v1, 0, s[18:19]
	v_or_b32_e32 v27, v1, v0
.LBB6_1995:                             ;   in Loop: Header=BB6_1927 Depth=2
	s_or_b64 exec, exec, s[56:57]
.LBB6_1996:                             ;   in Loop: Header=BB6_1927 Depth=2
	s_or_b64 exec, exec, s[54:55]
                                        ; implicit-def: $vgpr1
.LBB6_1997:                             ;   in Loop: Header=BB6_1927 Depth=2
	s_andn2_saveexec_b64 s[18:19], s[52:53]
; %bb.1998:                             ;   in Loop: Header=BB6_1927 Depth=2
	v_or_b32_sdwa v0, v1, s71 dst_sel:DWORD dst_unused:UNUSED_PAD src0_sel:BYTE_3 src1_sel:DWORD
	v_cmp_eq_u64_e32 vcc, 0, v[52:53]
	v_cndmask_b32_e32 v27, v0, v27, vcc
; %bb.1999:                             ;   in Loop: Header=BB6_1927 Depth=2
	s_or_b64 exec, exec, s[18:19]
	v_cmp_lt_u32_e32 vcc, s43, v22
	v_mov_b32_e32 v0, 0
	v_mov_b32_e32 v1, 0
	s_and_saveexec_b64 s[18:19], vcc
	s_cbranch_execz .LBB6_2005
; %bb.2000:                             ;   in Loop: Header=BB6_1927 Depth=2
	v_lshrrev_b32_e32 v2, 24, v22
	v_cmp_ne_u32_e32 vcc, s69, v2
	v_bfrev_b32_e32 v1, 1
	s_and_saveexec_b64 s[52:53], vcc
	s_cbranch_execz .LBB6_2004
; %bb.2001:                             ;   in Loop: Header=BB6_1927 Depth=2
	v_bfe_u32 v3, v22, 24, 7
	v_cmp_ne_u32_e32 vcc, s71, v3
	v_mov_b32_e32 v1, 0x7f800001
	s_and_saveexec_b64 s[54:55], vcc
	s_cbranch_execz .LBB6_2003
; %bb.2002:                             ;   in Loop: Header=BB6_1927 Depth=2
	v_and_b32_e32 v1, 7, v2
	v_ffbh_u32_e32 v4, v1
	v_min_u32_e32 v7, 32, v4
	v_subrev_u32_e32 v4, 28, v7
	v_lshlrev_b64 v[4:5], v4, v[2:3]
	v_lshrrev_b32_e32 v6, 3, v3
	v_sub_u32_e32 v5, 29, v7
	v_and_b32_e32 v4, 7, v4
	v_cmp_gt_u32_e32 vcc, 8, v3
	v_cndmask_b32_e32 v3, v6, v5, vcc
	v_cndmask_b32_e32 v1, v1, v4, vcc
	v_lshlrev_b32_e32 v2, 24, v2
	v_lshlrev_b32_e32 v1, 20, v1
	v_and_b32_e32 v2, 0x80000000, v2
	v_lshl_add_u32 v3, v3, 23, v29
	v_or3_b32 v1, v2, v3, v1
.LBB6_2003:                             ;   in Loop: Header=BB6_1927 Depth=2
	s_or_b64 exec, exec, s[54:55]
.LBB6_2004:                             ;   in Loop: Header=BB6_1927 Depth=2
	s_or_b64 exec, exec, s[52:53]
.LBB6_2005:                             ;   in Loop: Header=BB6_1927 Depth=2
	s_or_b64 exec, exec, s[18:19]
	v_cmp_lt_u32_e32 vcc, s43, v18
	s_and_saveexec_b64 s[18:19], vcc
	s_cbranch_execz .LBB6_2011
; %bb.2006:                             ;   in Loop: Header=BB6_1927 Depth=2
	v_lshrrev_b32_e32 v2, 24, v18
	v_cmp_ne_u32_e32 vcc, s69, v2
	v_bfrev_b32_e32 v0, 1
	s_and_saveexec_b64 s[52:53], vcc
	s_cbranch_execz .LBB6_2010
; %bb.2007:                             ;   in Loop: Header=BB6_1927 Depth=2
	v_bfe_u32 v3, v18, 24, 7
	v_cmp_ne_u32_e32 vcc, s71, v3
	v_mov_b32_e32 v0, 0x7f800001
	s_and_saveexec_b64 s[54:55], vcc
	s_cbranch_execz .LBB6_2009
; %bb.2008:                             ;   in Loop: Header=BB6_1927 Depth=2
	v_and_b32_e32 v0, 7, v2
	v_ffbh_u32_e32 v4, v0
	v_min_u32_e32 v7, 32, v4
	v_subrev_u32_e32 v4, 28, v7
	v_lshlrev_b64 v[4:5], v4, v[2:3]
	v_lshrrev_b32_e32 v6, 3, v3
	v_sub_u32_e32 v5, 29, v7
	v_and_b32_e32 v4, 7, v4
	v_cmp_gt_u32_e32 vcc, 8, v3
	v_cndmask_b32_e32 v3, v6, v5, vcc
	v_cndmask_b32_e32 v0, v0, v4, vcc
	v_lshlrev_b32_e32 v2, 24, v2
	v_lshlrev_b32_e32 v0, 20, v0
	v_and_b32_e32 v2, 0x80000000, v2
	v_lshl_add_u32 v3, v3, 23, v29
	v_or3_b32 v0, v2, v3, v0
.LBB6_2009:                             ;   in Loop: Header=BB6_1927 Depth=2
	s_or_b64 exec, exec, s[54:55]
.LBB6_2010:                             ;   in Loop: Header=BB6_1927 Depth=2
	s_or_b64 exec, exec, s[52:53]
.LBB6_2011:                             ;   in Loop: Header=BB6_1927 Depth=2
	s_or_b64 exec, exec, s[18:19]
	v_add_f32_e32 v2, v1, v0
	v_and_b32_sdwa v1, v2, s69 dst_sel:DWORD dst_unused:UNUSED_PAD src0_sel:BYTE_3 src1_sel:DWORD
	v_and_b32_e32 v4, 0x7f800000, v2
	v_mov_b32_e32 v5, v53
	v_and_b32_e32 v52, 0x7fffff, v2
	v_or_b32_e32 v0, 0x7e, v1
	v_cmp_ne_u64_e32 vcc, s[38:39], v[4:5]
	s_and_saveexec_b64 s[18:19], vcc
	s_xor_b64 s[52:53], exec, s[18:19]
	s_cbranch_execz .LBB6_2021
; %bb.2012:                             ;   in Loop: Header=BB6_1927 Depth=2
	v_and_b32_e32 v4, 0x7fffffff, v2
	v_mov_b32_e32 v5, v53
	v_cmp_gt_u64_e32 vcc, s[40:41], v[4:5]
	s_and_saveexec_b64 s[54:55], vcc
	s_cbranch_execz .LBB6_2020
; %bb.2013:                             ;   in Loop: Header=BB6_1927 Depth=2
	v_cmp_ne_u32_e32 vcc, 0, v2
	v_mov_b32_e32 v0, 0
	s_and_saveexec_b64 s[56:57], vcc
	s_cbranch_execz .LBB6_2019
; %bb.2014:                             ;   in Loop: Header=BB6_1927 Depth=2
	v_bfe_u32 v0, v2, 23, 8
	v_sub_u32_e32 v3, 0x79, v0
	v_cmp_gt_u32_e32 vcc, s72, v0
	v_cndmask_b32_e32 v3, 0, v3, vcc
	v_cmp_eq_u32_e32 vcc, 0, v0
	v_add_u32_e32 v2, 0xffffff81, v0
	v_or_b32_e32 v4, 0x800000, v52
	v_cndmask_b32_e32 v5, v3, v38, vcc
	v_cndmask_b32_e32 v0, v2, v33, vcc
	;; [unrolled: 1-line block ×3, first 2 shown]
	v_add_u32_e32 v2, 20, v5
	v_lshlrev_b64 v[2:3], v2, -1
	v_add_u32_e32 v4, 19, v5
	v_lshrrev_b64 v[8:9], v5, v[52:53]
	v_not_b32_e32 v3, v3
	v_not_b32_e32 v2, v2
	v_lshlrev_b64 v[6:7], v4, 1
	v_lshrrev_b32_e32 v4, 23, v8
	v_and_b32_e32 v3, 0, v3
	v_and_b32_e32 v2, v52, v2
	v_add3_u32 v5, v5, v0, v4
	v_bfe_u32 v0, v8, 20, 1
	v_add_u32_e32 v0, -1, v0
	v_cmp_eq_u64_e32 vcc, v[2:3], v[6:7]
	v_cndmask_b32_e32 v0, 0, v0, vcc
	v_add_u32_e32 v0, v0, v8
	v_and_b32_e32 v0, 0xfffff, v0
	v_add_co_u32_e32 v2, vcc, v0, v8
	v_add_u32_e32 v4, 6, v5
	v_addc_co_u32_e32 v3, vcc, 0, v9, vcc
	v_cmp_ne_u32_e32 vcc, 0, v4
                                        ; implicit-def: $vgpr0
	s_and_saveexec_b64 s[18:19], vcc
	s_xor_b64 s[18:19], exec, s[18:19]
; %bb.2015:                             ;   in Loop: Header=BB6_1927 Depth=2
	v_add_u32_e32 v0, 7, v5
	v_cmp_lt_u64_e32 vcc, s[44:45], v[2:3]
	v_cndmask_b32_e32 v0, v4, v0, vcc
	v_cndmask_b32_e64 v4, 0, 1, vcc
	v_lshrrev_b64 v[2:3], v4, v[2:3]
; %bb.2016:                             ;   in Loop: Header=BB6_1927 Depth=2
	s_andn2_saveexec_b64 s[18:19], s[18:19]
; %bb.2017:                             ;   in Loop: Header=BB6_1927 Depth=2
	v_bfe_u32 v0, v2, 23, 1
; %bb.2018:                             ;   in Loop: Header=BB6_1927 Depth=2
	s_or_b64 exec, exec, s[18:19]
	v_lshrrev_b64 v[2:3], 20, v[2:3]
	v_cmp_gt_i32_e32 vcc, 16, v0
	v_cndmask_b32_e32 v3, 0, v3, vcc
	v_cndmask_b32_e32 v2, 7, v2, vcc
	v_cmp_eq_u32_e32 vcc, 0, v0
	v_min_i32_e32 v0, 15, v0
	v_cmp_eq_u64_e64 s[18:19], 0, v[2:3]
	v_lshlrev_b32_e32 v0, 3, v0
	v_and_or_b32 v0, v2, 7, v0
	s_and_b64 s[18:19], vcc, s[18:19]
	v_cndmask_b32_e64 v0, v0, 0, s[18:19]
	v_or_b32_e32 v0, v0, v1
.LBB6_2019:                             ;   in Loop: Header=BB6_1927 Depth=2
	s_or_b64 exec, exec, s[56:57]
.LBB6_2020:                             ;   in Loop: Header=BB6_1927 Depth=2
	s_or_b64 exec, exec, s[54:55]
                                        ; implicit-def: $vgpr2
.LBB6_2021:                             ;   in Loop: Header=BB6_1927 Depth=2
	s_andn2_saveexec_b64 s[18:19], s[52:53]
; %bb.2022:                             ;   in Loop: Header=BB6_1927 Depth=2
	v_or_b32_sdwa v1, v2, s71 dst_sel:DWORD dst_unused:UNUSED_PAD src0_sel:BYTE_3 src1_sel:DWORD
	v_cmp_eq_u64_e32 vcc, 0, v[52:53]
	v_cndmask_b32_e32 v0, v1, v0, vcc
; %bb.2023:                             ;   in Loop: Header=BB6_1927 Depth=2
	s_or_b64 exec, exec, s[18:19]
	v_mov_b32_e32 v52, v23
	v_cmp_ne_u16_sdwa vcc, v23, v53 src0_sel:BYTE_0 src1_sel:DWORD
	v_mov_b32_e32 v2, 0
	v_mov_b32_e32 v1, 0
	s_and_saveexec_b64 s[18:19], vcc
	s_cbranch_execz .LBB6_2029
; %bb.2024:                             ;   in Loop: Header=BB6_1927 Depth=2
	v_cmp_ne_u16_sdwa vcc, v23, s69 src0_sel:BYTE_0 src1_sel:DWORD
	v_bfrev_b32_e32 v1, 1
	s_and_saveexec_b64 s[52:53], vcc
	s_cbranch_execz .LBB6_2028
; %bb.2025:                             ;   in Loop: Header=BB6_1927 Depth=2
	v_and_b32_e32 v3, 0x7f, v23
	v_cmp_ne_u32_e32 vcc, s71, v3
	v_mov_b32_e32 v1, 0x7f800001
	s_and_saveexec_b64 s[54:55], vcc
	s_cbranch_execz .LBB6_2027
; %bb.2026:                             ;   in Loop: Header=BB6_1927 Depth=2
	v_and_b32_e32 v1, 7, v23
	v_ffbh_u32_e32 v1, v1
	v_min_u32_e32 v1, 32, v1
	v_subrev_u32_e32 v5, 28, v1
	v_cmp_gt_u32_e32 vcc, 8, v3
	v_lshrrev_b32_e32 v4, 3, v3
	v_sub_u32_e32 v1, 29, v1
	v_cndmask_b32_e32 v3, 0, v5, vcc
	v_cndmask_b32_e32 v1, v4, v1, vcc
	v_lshlrev_b64 v[4:5], v3, v[52:53]
	v_lshlrev_b32_e32 v3, 20, v4
	v_lshlrev_b32_e32 v4, 24, v52
	v_and_b32_e32 v3, 0x700000, v3
	v_and_b32_e32 v4, 0x80000000, v4
	v_lshl_add_u32 v1, v1, 23, v29
	v_or3_b32 v1, v4, v1, v3
.LBB6_2027:                             ;   in Loop: Header=BB6_1927 Depth=2
	s_or_b64 exec, exec, s[54:55]
.LBB6_2028:                             ;   in Loop: Header=BB6_1927 Depth=2
	s_or_b64 exec, exec, s[52:53]
.LBB6_2029:                             ;   in Loop: Header=BB6_1927 Depth=2
	s_or_b64 exec, exec, s[18:19]
	v_cmp_ne_u16_sdwa vcc, v19, v53 src0_sel:BYTE_0 src1_sel:DWORD
	s_and_saveexec_b64 s[18:19], vcc
	s_cbranch_execz .LBB6_2035
; %bb.2030:                             ;   in Loop: Header=BB6_1927 Depth=2
	v_cmp_ne_u16_sdwa vcc, v19, s69 src0_sel:BYTE_0 src1_sel:DWORD
	v_bfrev_b32_e32 v2, 1
	s_and_saveexec_b64 s[52:53], vcc
	s_cbranch_execz .LBB6_2034
; %bb.2031:                             ;   in Loop: Header=BB6_1927 Depth=2
	v_and_b32_e32 v3, 0x7f, v19
	v_cmp_ne_u32_e32 vcc, s71, v3
	v_mov_b32_e32 v2, 0x7f800001
	s_and_saveexec_b64 s[54:55], vcc
	s_cbranch_execz .LBB6_2033
; %bb.2032:                             ;   in Loop: Header=BB6_1927 Depth=2
	v_and_b32_e32 v2, 7, v19
	v_ffbh_u32_e32 v2, v2
	v_min_u32_e32 v2, 32, v2
	v_lshrrev_b32_e32 v6, 3, v3
	v_subrev_u32_e32 v7, 28, v2
	v_sub_u32_e32 v2, 29, v2
	v_cmp_gt_u32_e32 vcc, 8, v3
	v_mov_b32_e32 v4, v19
	v_mov_b32_e32 v5, v53
	v_cndmask_b32_e32 v6, v6, v2, vcc
	v_cndmask_b32_e32 v2, 0, v7, vcc
	v_lshlrev_b64 v[2:3], v2, v[4:5]
	v_lshlrev_b32_e32 v2, 20, v2
	v_lshlrev_b32_e32 v3, 24, v4
	v_and_b32_e32 v2, 0x700000, v2
	v_and_b32_e32 v3, 0x80000000, v3
	v_lshl_add_u32 v4, v6, 23, v29
	v_or3_b32 v2, v3, v4, v2
.LBB6_2033:                             ;   in Loop: Header=BB6_1927 Depth=2
	s_or_b64 exec, exec, s[54:55]
.LBB6_2034:                             ;   in Loop: Header=BB6_1927 Depth=2
	s_or_b64 exec, exec, s[52:53]
.LBB6_2035:                             ;   in Loop: Header=BB6_1927 Depth=2
	s_or_b64 exec, exec, s[18:19]
	v_add_f32_e32 v5, v1, v2
	v_and_b32_sdwa v4, v5, s69 dst_sel:DWORD dst_unused:UNUSED_PAD src0_sel:BYTE_3 src1_sel:DWORD
	v_and_b32_e32 v6, 0x7f800000, v5
	v_mov_b32_e32 v7, v53
	v_and_b32_e32 v2, 0x7fffff, v5
	v_mov_b32_e32 v3, v53
	v_or_b32_e32 v1, 0x7e, v4
	v_cmp_ne_u64_e32 vcc, s[38:39], v[6:7]
	s_and_saveexec_b64 s[18:19], vcc
	s_xor_b64 s[52:53], exec, s[18:19]
	s_cbranch_execz .LBB6_2045
; %bb.2036:                             ;   in Loop: Header=BB6_1927 Depth=2
	v_and_b32_e32 v6, 0x7fffffff, v5
	v_mov_b32_e32 v7, v53
	v_cmp_gt_u64_e32 vcc, s[40:41], v[6:7]
	s_and_saveexec_b64 s[54:55], vcc
	s_cbranch_execz .LBB6_2044
; %bb.2037:                             ;   in Loop: Header=BB6_1927 Depth=2
	v_cmp_ne_u32_e32 vcc, 0, v5
	v_mov_b32_e32 v1, 0
	s_and_saveexec_b64 s[56:57], vcc
	s_cbranch_execz .LBB6_2043
; %bb.2038:                             ;   in Loop: Header=BB6_1927 Depth=2
	v_bfe_u32 v1, v5, 23, 8
	v_sub_u32_e32 v6, 0x79, v1
	v_cmp_gt_u32_e32 vcc, s72, v1
	v_add_u32_e32 v5, 0xffffff81, v1
	v_cndmask_b32_e32 v6, 0, v6, vcc
	v_cmp_eq_u32_e32 vcc, 0, v1
	v_cndmask_b32_e32 v1, v5, v33, vcc
	v_cndmask_b32_e32 v5, v6, v38, vcc
	v_or_b32_e32 v7, 0x800000, v2
	v_add_u32_e32 v6, 20, v5
	v_cndmask_b32_e32 v2, v7, v2, vcc
	v_lshlrev_b64 v[6:7], v6, -1
	v_not_b32_e32 v6, v6
	v_and_b32_e32 v6, v2, v6
	v_lshrrev_b64 v[2:3], v5, v[2:3]
	v_not_b32_e32 v7, v7
	v_add_u32_e32 v8, 19, v5
	v_lshrrev_b32_e32 v28, 23, v2
	v_and_b32_e32 v7, 0, v7
	v_lshlrev_b64 v[8:9], v8, 1
	v_add3_u32 v28, v5, v1, v28
	v_bfe_u32 v1, v2, 20, 1
	v_add_u32_e32 v1, -1, v1
	v_cmp_eq_u64_e32 vcc, v[6:7], v[8:9]
	v_cndmask_b32_e32 v1, 0, v1, vcc
	v_add_u32_e32 v1, v1, v2
	v_and_b32_e32 v1, 0xfffff, v1
	v_add_co_u32_e32 v2, vcc, v1, v2
	v_add_u32_e32 v5, 6, v28
	v_addc_co_u32_e32 v3, vcc, 0, v3, vcc
	v_cmp_ne_u32_e32 vcc, 0, v5
                                        ; implicit-def: $vgpr1
	s_and_saveexec_b64 s[18:19], vcc
	s_xor_b64 s[18:19], exec, s[18:19]
; %bb.2039:                             ;   in Loop: Header=BB6_1927 Depth=2
	v_add_u32_e32 v1, 7, v28
	v_cmp_lt_u64_e32 vcc, s[44:45], v[2:3]
	v_cndmask_b32_e32 v1, v5, v1, vcc
	v_cndmask_b32_e64 v5, 0, 1, vcc
	v_lshrrev_b64 v[2:3], v5, v[2:3]
; %bb.2040:                             ;   in Loop: Header=BB6_1927 Depth=2
	s_andn2_saveexec_b64 s[18:19], s[18:19]
; %bb.2041:                             ;   in Loop: Header=BB6_1927 Depth=2
	v_bfe_u32 v1, v2, 23, 1
; %bb.2042:                             ;   in Loop: Header=BB6_1927 Depth=2
	s_or_b64 exec, exec, s[18:19]
	v_lshrrev_b64 v[2:3], 20, v[2:3]
	v_cmp_gt_i32_e32 vcc, 16, v1
	v_cndmask_b32_e32 v3, 0, v3, vcc
	v_cndmask_b32_e32 v2, 7, v2, vcc
	v_cmp_eq_u32_e32 vcc, 0, v1
	v_min_i32_e32 v1, 15, v1
	v_cmp_eq_u64_e64 s[18:19], 0, v[2:3]
	v_lshlrev_b32_e32 v1, 3, v1
	v_and_or_b32 v1, v2, 7, v1
	s_and_b64 s[18:19], vcc, s[18:19]
	v_cndmask_b32_e64 v1, v1, 0, s[18:19]
	v_or_b32_e32 v1, v1, v4
.LBB6_2043:                             ;   in Loop: Header=BB6_1927 Depth=2
	s_or_b64 exec, exec, s[56:57]
.LBB6_2044:                             ;   in Loop: Header=BB6_1927 Depth=2
	s_or_b64 exec, exec, s[54:55]
                                        ; implicit-def: $vgpr5
                                        ; implicit-def: $vgpr2_vgpr3
.LBB6_2045:                             ;   in Loop: Header=BB6_1927 Depth=2
	s_andn2_saveexec_b64 s[18:19], s[52:53]
; %bb.2046:                             ;   in Loop: Header=BB6_1927 Depth=2
	v_or_b32_sdwa v4, v5, s71 dst_sel:DWORD dst_unused:UNUSED_PAD src0_sel:BYTE_3 src1_sel:DWORD
	v_cmp_eq_u64_e32 vcc, 0, v[2:3]
	v_cndmask_b32_e32 v1, v4, v1, vcc
; %bb.2047:                             ;   in Loop: Header=BB6_1927 Depth=2
	s_or_b64 exec, exec, s[18:19]
	v_lshrrev_b16_e32 v2, 8, v52
	v_cmp_ne_u16_e32 vcc, 0, v2
	v_mov_b32_e32 v3, 0
	v_mov_b32_e32 v4, 0
	s_and_saveexec_b64 s[18:19], vcc
	s_cbranch_execz .LBB6_2053
; %bb.2048:                             ;   in Loop: Header=BB6_1927 Depth=2
	v_cmp_ne_u16_e32 vcc, s69, v2
	v_bfrev_b32_e32 v4, 1
	s_and_saveexec_b64 s[52:53], vcc
	s_cbranch_execz .LBB6_2052
; %bb.2049:                             ;   in Loop: Header=BB6_1927 Depth=2
	v_and_b32_e32 v5, 0x7f, v2
	v_cmp_ne_u32_e32 vcc, s71, v5
	v_mov_b32_e32 v4, 0x7f800001
	s_and_saveexec_b64 s[54:55], vcc
	s_cbranch_execz .LBB6_2051
; %bb.2050:                             ;   in Loop: Header=BB6_1927 Depth=2
	v_and_b32_e32 v4, 7, v2
	v_ffbh_u32_e32 v6, v4
	v_min_u32_e32 v9, 32, v6
	v_subrev_u32_e32 v6, 28, v9
	v_lshlrev_b64 v[6:7], v6, v[2:3]
	v_lshrrev_b32_e32 v8, 3, v5
	v_sub_u32_e32 v2, 29, v9
	v_and_b32_e32 v6, 7, v6
	v_cmp_gt_u32_e32 vcc, 8, v5
	v_cndmask_b32_e32 v2, v8, v2, vcc
	v_cndmask_b32_e32 v4, v4, v6, vcc
	v_lshlrev_b32_e32 v5, 16, v52
	v_lshlrev_b32_e32 v4, 20, v4
	v_and_b32_e32 v5, 0x80000000, v5
	v_lshl_add_u32 v2, v2, 23, v29
	v_or3_b32 v4, v5, v2, v4
.LBB6_2051:                             ;   in Loop: Header=BB6_1927 Depth=2
	s_or_b64 exec, exec, s[54:55]
.LBB6_2052:                             ;   in Loop: Header=BB6_1927 Depth=2
	s_or_b64 exec, exec, s[52:53]
.LBB6_2053:                             ;   in Loop: Header=BB6_1927 Depth=2
	s_or_b64 exec, exec, s[18:19]
	v_mov_b32_e32 v2, v19
	v_lshrrev_b16_e32 v52, 8, v2
	v_cmp_ne_u16_e32 vcc, 0, v52
	s_and_saveexec_b64 s[18:19], vcc
	s_cbranch_execz .LBB6_2059
; %bb.2054:                             ;   in Loop: Header=BB6_1927 Depth=2
	v_cmp_ne_u16_e32 vcc, s69, v52
	v_bfrev_b32_e32 v3, 1
	s_and_saveexec_b64 s[52:53], vcc
	s_cbranch_execz .LBB6_2058
; %bb.2055:                             ;   in Loop: Header=BB6_1927 Depth=2
	v_and_b32_e32 v5, 0x7f, v52
	v_cmp_ne_u32_e32 vcc, s71, v5
	v_mov_b32_e32 v3, 0x7f800001
	s_and_saveexec_b64 s[54:55], vcc
	s_cbranch_execz .LBB6_2057
; %bb.2056:                             ;   in Loop: Header=BB6_1927 Depth=2
	v_and_b32_e32 v3, 7, v52
	v_ffbh_u32_e32 v6, v3
	v_min_u32_e32 v9, 32, v6
	v_subrev_u32_e32 v6, 28, v9
	v_lshlrev_b64 v[6:7], v6, v[52:53]
	v_lshrrev_b32_e32 v8, 3, v5
	v_sub_u32_e32 v7, 29, v9
	v_and_b32_e32 v6, 7, v6
	v_cmp_gt_u32_e32 vcc, 8, v5
	v_cndmask_b32_e32 v5, v8, v7, vcc
	v_cndmask_b32_e32 v3, v3, v6, vcc
	v_lshlrev_b32_e32 v2, 16, v2
	v_lshlrev_b32_e32 v3, 20, v3
	v_and_b32_e32 v2, 0x80000000, v2
	v_lshl_add_u32 v5, v5, 23, v29
	v_or3_b32 v3, v2, v5, v3
.LBB6_2057:                             ;   in Loop: Header=BB6_1927 Depth=2
	s_or_b64 exec, exec, s[54:55]
.LBB6_2058:                             ;   in Loop: Header=BB6_1927 Depth=2
	s_or_b64 exec, exec, s[52:53]
.LBB6_2059:                             ;   in Loop: Header=BB6_1927 Depth=2
	s_or_b64 exec, exec, s[18:19]
	v_add_f32_e32 v2, v4, v3
	v_and_b32_sdwa v4, v2, s69 dst_sel:DWORD dst_unused:UNUSED_PAD src0_sel:BYTE_3 src1_sel:DWORD
	v_and_b32_e32 v6, 0x7f800000, v2
	v_mov_b32_e32 v7, v53
	v_and_b32_e32 v52, 0x7fffff, v2
	v_or_b32_e32 v55, 0x7e, v4
	v_cmp_ne_u64_e32 vcc, s[38:39], v[6:7]
	s_and_saveexec_b64 s[18:19], vcc
	s_xor_b64 s[52:53], exec, s[18:19]
	s_cbranch_execz .LBB6_2069
; %bb.2060:                             ;   in Loop: Header=BB6_1927 Depth=2
	v_and_b32_e32 v6, 0x7fffffff, v2
	v_mov_b32_e32 v7, v53
	v_cmp_gt_u64_e32 vcc, s[40:41], v[6:7]
	s_and_saveexec_b64 s[54:55], vcc
	s_cbranch_execz .LBB6_2068
; %bb.2061:                             ;   in Loop: Header=BB6_1927 Depth=2
	v_cmp_ne_u32_e32 vcc, 0, v2
	v_mov_b32_e32 v55, 0
	s_and_saveexec_b64 s[56:57], vcc
	s_cbranch_execz .LBB6_2067
; %bb.2062:                             ;   in Loop: Header=BB6_1927 Depth=2
	v_bfe_u32 v2, v2, 23, 8
	v_sub_u32_e32 v5, 0x79, v2
	v_cmp_gt_u32_e32 vcc, s72, v2
	v_cndmask_b32_e32 v5, 0, v5, vcc
	v_cmp_eq_u32_e32 vcc, 0, v2
	v_or_b32_e32 v6, 0x800000, v52
	v_cndmask_b32_e32 v5, v5, v38, vcc
	v_add_u32_e32 v3, 0xffffff81, v2
	v_cndmask_b32_e32 v52, v6, v52, vcc
	v_add_u32_e32 v2, 20, v5
	v_cndmask_b32_e32 v28, v3, v33, vcc
	v_lshlrev_b64 v[2:3], v2, -1
	v_lshrrev_b64 v[8:9], v5, v[52:53]
	v_not_b32_e32 v3, v3
	v_not_b32_e32 v2, v2
	v_add_u32_e32 v6, 19, v5
	v_lshrrev_b32_e32 v30, 23, v8
	v_and_b32_e32 v3, 0, v3
	v_and_b32_e32 v2, v52, v2
	v_lshlrev_b64 v[6:7], v6, 1
	v_add3_u32 v30, v5, v28, v30
	v_bfe_u32 v5, v8, 20, 1
	v_add_u32_e32 v5, -1, v5
	v_cmp_eq_u64_e32 vcc, v[2:3], v[6:7]
	v_cndmask_b32_e32 v2, 0, v5, vcc
	v_add_u32_e32 v2, v2, v8
	v_and_b32_e32 v2, 0xfffff, v2
	v_add_co_u32_e32 v2, vcc, v2, v8
	v_add_u32_e32 v28, 6, v30
	v_addc_co_u32_e32 v3, vcc, 0, v9, vcc
	v_cmp_ne_u32_e32 vcc, 0, v28
                                        ; implicit-def: $vgpr5
	s_and_saveexec_b64 s[18:19], vcc
	s_xor_b64 s[18:19], exec, s[18:19]
; %bb.2063:                             ;   in Loop: Header=BB6_1927 Depth=2
	v_cmp_lt_u64_e32 vcc, s[44:45], v[2:3]
	v_add_u32_e32 v5, 7, v30
	v_cndmask_b32_e64 v6, 0, 1, vcc
	v_cndmask_b32_e32 v5, v28, v5, vcc
	v_lshrrev_b64 v[2:3], v6, v[2:3]
; %bb.2064:                             ;   in Loop: Header=BB6_1927 Depth=2
	s_andn2_saveexec_b64 s[18:19], s[18:19]
; %bb.2065:                             ;   in Loop: Header=BB6_1927 Depth=2
	v_bfe_u32 v5, v2, 23, 1
; %bb.2066:                             ;   in Loop: Header=BB6_1927 Depth=2
	s_or_b64 exec, exec, s[18:19]
	v_lshrrev_b64 v[2:3], 20, v[2:3]
	v_cmp_gt_i32_e32 vcc, 16, v5
	v_cndmask_b32_e32 v3, 0, v3, vcc
	v_cndmask_b32_e32 v2, 7, v2, vcc
	v_cmp_eq_u64_e64 s[18:19], 0, v[2:3]
	v_min_i32_e32 v3, 15, v5
	v_cmp_eq_u32_e32 vcc, 0, v5
	v_lshlrev_b32_e32 v3, 3, v3
	v_and_or_b32 v2, v2, 7, v3
	s_and_b64 s[18:19], vcc, s[18:19]
	v_cndmask_b32_e64 v2, v2, 0, s[18:19]
	v_or_b32_e32 v55, v2, v4
.LBB6_2067:                             ;   in Loop: Header=BB6_1927 Depth=2
	s_or_b64 exec, exec, s[56:57]
.LBB6_2068:                             ;   in Loop: Header=BB6_1927 Depth=2
	s_or_b64 exec, exec, s[54:55]
                                        ; implicit-def: $vgpr2
.LBB6_2069:                             ;   in Loop: Header=BB6_1927 Depth=2
	s_andn2_saveexec_b64 s[18:19], s[52:53]
; %bb.2070:                             ;   in Loop: Header=BB6_1927 Depth=2
	v_or_b32_sdwa v2, v2, s71 dst_sel:DWORD dst_unused:UNUSED_PAD src0_sel:BYTE_3 src1_sel:DWORD
	v_cmp_eq_u64_e32 vcc, 0, v[52:53]
	v_cndmask_b32_e32 v55, v2, v55, vcc
; %bb.2071:                             ;   in Loop: Header=BB6_1927 Depth=2
	s_or_b64 exec, exec, s[18:19]
	v_lshrrev_b32_e32 v2, 16, v23
	v_cmp_ne_u16_sdwa vcc, v2, v53 src0_sel:BYTE_0 src1_sel:DWORD
	v_mov_b32_e32 v3, 0
	v_mov_b32_e32 v4, 0
	s_and_saveexec_b64 s[18:19], vcc
	s_cbranch_execz .LBB6_2077
; %bb.2072:                             ;   in Loop: Header=BB6_1927 Depth=2
	v_cmp_ne_u16_sdwa vcc, v2, s69 src0_sel:BYTE_0 src1_sel:DWORD
	v_bfrev_b32_e32 v4, 1
	s_and_saveexec_b64 s[52:53], vcc
	s_cbranch_execz .LBB6_2076
; %bb.2073:                             ;   in Loop: Header=BB6_1927 Depth=2
	v_bfe_u32 v5, v23, 16, 7
	v_cmp_ne_u32_e32 vcc, s71, v5
	v_mov_b32_e32 v4, 0x7f800001
	s_and_saveexec_b64 s[54:55], vcc
	s_cbranch_execz .LBB6_2075
; %bb.2074:                             ;   in Loop: Header=BB6_1927 Depth=2
	v_and_b32_e32 v4, 7, v2
	v_ffbh_u32_e32 v6, v4
	v_min_u32_e32 v9, 32, v6
	v_subrev_u32_e32 v6, 28, v9
	v_lshlrev_b64 v[6:7], v6, v[2:3]
	v_lshrrev_b32_e32 v8, 3, v5
	v_sub_u32_e32 v7, 29, v9
	v_and_b32_e32 v6, 7, v6
	v_cmp_gt_u32_e32 vcc, 8, v5
	v_cndmask_b32_e32 v5, v8, v7, vcc
	v_cndmask_b32_e32 v4, v4, v6, vcc
	v_lshlrev_b32_e32 v2, 24, v2
	v_lshlrev_b32_e32 v4, 20, v4
	v_and_b32_e32 v2, 0x80000000, v2
	v_lshl_add_u32 v5, v5, 23, v29
	v_or3_b32 v4, v2, v5, v4
.LBB6_2075:                             ;   in Loop: Header=BB6_1927 Depth=2
	s_or_b64 exec, exec, s[54:55]
.LBB6_2076:                             ;   in Loop: Header=BB6_1927 Depth=2
	s_or_b64 exec, exec, s[52:53]
.LBB6_2077:                             ;   in Loop: Header=BB6_1927 Depth=2
	s_or_b64 exec, exec, s[18:19]
	v_lshrrev_b32_e32 v2, 16, v19
	v_cmp_ne_u16_sdwa vcc, v2, v53 src0_sel:BYTE_0 src1_sel:DWORD
	s_and_saveexec_b64 s[18:19], vcc
	s_cbranch_execz .LBB6_2083
; %bb.2078:                             ;   in Loop: Header=BB6_1927 Depth=2
	v_cmp_ne_u16_sdwa vcc, v2, s69 src0_sel:BYTE_0 src1_sel:DWORD
	v_bfrev_b32_e32 v3, 1
	s_and_saveexec_b64 s[52:53], vcc
	s_cbranch_execz .LBB6_2082
; %bb.2079:                             ;   in Loop: Header=BB6_1927 Depth=2
	v_bfe_u32 v5, v19, 16, 7
	v_cmp_ne_u32_e32 vcc, s71, v5
	v_mov_b32_e32 v3, 0x7f800001
	s_and_saveexec_b64 s[54:55], vcc
	s_cbranch_execz .LBB6_2081
; %bb.2080:                             ;   in Loop: Header=BB6_1927 Depth=2
	v_and_b32_e32 v6, 7, v2
	v_ffbh_u32_e32 v3, v6
	v_min_u32_e32 v8, 32, v3
	v_subrev_u32_e32 v3, 28, v8
	v_lshlrev_b64 v[2:3], v3, v[2:3]
	v_lshrrev_b32_e32 v7, 3, v5
	v_sub_u32_e32 v3, 29, v8
	v_and_b32_e32 v2, 7, v2
	v_cmp_gt_u32_e32 vcc, 8, v5
	v_cndmask_b32_e32 v3, v7, v3, vcc
	v_cndmask_b32_e32 v2, v6, v2, vcc
	v_lshlrev_b32_e32 v5, 8, v19
	v_lshlrev_b32_e32 v2, 20, v2
	v_and_b32_e32 v5, 0x80000000, v5
	v_lshl_add_u32 v3, v3, 23, v29
	v_or3_b32 v3, v5, v3, v2
.LBB6_2081:                             ;   in Loop: Header=BB6_1927 Depth=2
	s_or_b64 exec, exec, s[54:55]
.LBB6_2082:                             ;   in Loop: Header=BB6_1927 Depth=2
	s_or_b64 exec, exec, s[52:53]
.LBB6_2083:                             ;   in Loop: Header=BB6_1927 Depth=2
	s_or_b64 exec, exec, s[18:19]
	v_add_f32_e32 v2, v4, v3
	v_and_b32_sdwa v4, v2, s69 dst_sel:DWORD dst_unused:UNUSED_PAD src0_sel:BYTE_3 src1_sel:DWORD
	v_and_b32_e32 v6, 0x7f800000, v2
	v_mov_b32_e32 v7, v53
	v_and_b32_e32 v52, 0x7fffff, v2
	v_or_b32_e32 v34, 0x7e, v4
	v_cmp_ne_u64_e32 vcc, s[38:39], v[6:7]
	s_and_saveexec_b64 s[18:19], vcc
	s_xor_b64 s[52:53], exec, s[18:19]
	s_cbranch_execz .LBB6_2093
; %bb.2084:                             ;   in Loop: Header=BB6_1927 Depth=2
	v_and_b32_e32 v6, 0x7fffffff, v2
	v_mov_b32_e32 v7, v53
	v_cmp_gt_u64_e32 vcc, s[40:41], v[6:7]
	s_and_saveexec_b64 s[54:55], vcc
	s_cbranch_execz .LBB6_2092
; %bb.2085:                             ;   in Loop: Header=BB6_1927 Depth=2
	v_cmp_ne_u32_e32 vcc, 0, v2
	v_mov_b32_e32 v34, 0
	s_and_saveexec_b64 s[56:57], vcc
	s_cbranch_execz .LBB6_2091
; %bb.2086:                             ;   in Loop: Header=BB6_1927 Depth=2
	v_bfe_u32 v2, v2, 23, 8
	v_sub_u32_e32 v5, 0x79, v2
	v_cmp_gt_u32_e32 vcc, s72, v2
	v_cndmask_b32_e32 v5, 0, v5, vcc
	v_cmp_eq_u32_e32 vcc, 0, v2
	v_or_b32_e32 v6, 0x800000, v52
	v_cndmask_b32_e32 v5, v5, v38, vcc
	v_add_u32_e32 v3, 0xffffff81, v2
	v_cndmask_b32_e32 v52, v6, v52, vcc
	v_add_u32_e32 v2, 20, v5
	v_cndmask_b32_e32 v28, v3, v33, vcc
	v_lshlrev_b64 v[2:3], v2, -1
	v_lshrrev_b64 v[8:9], v5, v[52:53]
	v_not_b32_e32 v3, v3
	v_not_b32_e32 v2, v2
	v_add_u32_e32 v6, 19, v5
	v_lshrrev_b32_e32 v30, 23, v8
	v_and_b32_e32 v3, 0, v3
	v_and_b32_e32 v2, v52, v2
	v_lshlrev_b64 v[6:7], v6, 1
	v_add3_u32 v30, v5, v28, v30
	v_bfe_u32 v5, v8, 20, 1
	v_add_u32_e32 v5, -1, v5
	v_cmp_eq_u64_e32 vcc, v[2:3], v[6:7]
	v_cndmask_b32_e32 v2, 0, v5, vcc
	v_add_u32_e32 v2, v2, v8
	v_and_b32_e32 v2, 0xfffff, v2
	v_add_co_u32_e32 v2, vcc, v2, v8
	v_add_u32_e32 v28, 6, v30
	v_addc_co_u32_e32 v3, vcc, 0, v9, vcc
	v_cmp_ne_u32_e32 vcc, 0, v28
                                        ; implicit-def: $vgpr5
	s_and_saveexec_b64 s[18:19], vcc
	s_xor_b64 s[18:19], exec, s[18:19]
; %bb.2087:                             ;   in Loop: Header=BB6_1927 Depth=2
	v_cmp_lt_u64_e32 vcc, s[44:45], v[2:3]
	v_add_u32_e32 v5, 7, v30
	v_cndmask_b32_e64 v6, 0, 1, vcc
	v_cndmask_b32_e32 v5, v28, v5, vcc
	v_lshrrev_b64 v[2:3], v6, v[2:3]
; %bb.2088:                             ;   in Loop: Header=BB6_1927 Depth=2
	s_andn2_saveexec_b64 s[18:19], s[18:19]
; %bb.2089:                             ;   in Loop: Header=BB6_1927 Depth=2
	v_bfe_u32 v5, v2, 23, 1
; %bb.2090:                             ;   in Loop: Header=BB6_1927 Depth=2
	s_or_b64 exec, exec, s[18:19]
	v_lshrrev_b64 v[2:3], 20, v[2:3]
	v_cmp_gt_i32_e32 vcc, 16, v5
	v_cndmask_b32_e32 v3, 0, v3, vcc
	v_cndmask_b32_e32 v2, 7, v2, vcc
	v_cmp_eq_u64_e64 s[18:19], 0, v[2:3]
	v_min_i32_e32 v3, 15, v5
	v_lshlrev_b32_e32 v3, 3, v3
	v_cmp_eq_u32_e32 vcc, 0, v5
	v_and_b32_e32 v3, 0xf8, v3
	v_and_or_b32 v2, v2, 7, v3
	s_and_b64 s[18:19], vcc, s[18:19]
	v_cndmask_b32_e64 v2, v2, 0, s[18:19]
	v_or_b32_e32 v34, v2, v4
.LBB6_2091:                             ;   in Loop: Header=BB6_1927 Depth=2
	s_or_b64 exec, exec, s[56:57]
.LBB6_2092:                             ;   in Loop: Header=BB6_1927 Depth=2
	s_or_b64 exec, exec, s[54:55]
                                        ; implicit-def: $vgpr2
.LBB6_2093:                             ;   in Loop: Header=BB6_1927 Depth=2
	s_andn2_saveexec_b64 s[18:19], s[52:53]
; %bb.2094:                             ;   in Loop: Header=BB6_1927 Depth=2
	v_or_b32_sdwa v2, v2, s71 dst_sel:DWORD dst_unused:UNUSED_PAD src0_sel:BYTE_3 src1_sel:DWORD
	v_cmp_eq_u64_e32 vcc, 0, v[52:53]
	v_cndmask_b32_e32 v34, v2, v34, vcc
; %bb.2095:                             ;   in Loop: Header=BB6_1927 Depth=2
	s_or_b64 exec, exec, s[18:19]
	v_cmp_lt_u64_e32 vcc, s[42:43], v[22:23]
	v_mov_b32_e32 v3, 0
	v_mov_b32_e32 v4, 0
	s_and_saveexec_b64 s[18:19], vcc
	s_cbranch_execz .LBB6_2101
; %bb.2096:                             ;   in Loop: Header=BB6_1927 Depth=2
	v_lshrrev_b32_e32 v2, 24, v23
	v_cmp_ne_u32_e32 vcc, s69, v2
	v_bfrev_b32_e32 v4, 1
	s_and_saveexec_b64 s[52:53], vcc
	s_cbranch_execz .LBB6_2100
; %bb.2097:                             ;   in Loop: Header=BB6_1927 Depth=2
	v_bfe_u32 v5, v23, 24, 7
	v_cmp_ne_u32_e32 vcc, s71, v5
	v_mov_b32_e32 v4, 0x7f800001
	s_and_saveexec_b64 s[54:55], vcc
	s_cbranch_execz .LBB6_2099
; %bb.2098:                             ;   in Loop: Header=BB6_1927 Depth=2
	v_and_b32_e32 v4, 7, v2
	v_ffbh_u32_e32 v6, v4
	v_min_u32_e32 v9, 32, v6
	v_subrev_u32_e32 v6, 28, v9
	v_lshlrev_b64 v[6:7], v6, v[2:3]
	v_lshrrev_b32_e32 v8, 3, v5
	v_sub_u32_e32 v7, 29, v9
	v_and_b32_e32 v6, 7, v6
	v_cmp_gt_u32_e32 vcc, 8, v5
	v_cndmask_b32_e32 v5, v8, v7, vcc
	v_cndmask_b32_e32 v4, v4, v6, vcc
	v_lshlrev_b32_e32 v2, 24, v2
	v_lshlrev_b32_e32 v4, 20, v4
	v_and_b32_e32 v2, 0x80000000, v2
	v_lshl_add_u32 v5, v5, 23, v29
	v_or3_b32 v4, v2, v5, v4
.LBB6_2099:                             ;   in Loop: Header=BB6_1927 Depth=2
	s_or_b64 exec, exec, s[54:55]
.LBB6_2100:                             ;   in Loop: Header=BB6_1927 Depth=2
	s_or_b64 exec, exec, s[52:53]
.LBB6_2101:                             ;   in Loop: Header=BB6_1927 Depth=2
	s_or_b64 exec, exec, s[18:19]
	v_cmp_lt_u64_e32 vcc, s[42:43], v[18:19]
	s_and_saveexec_b64 s[18:19], vcc
	s_cbranch_execz .LBB6_2107
; %bb.2102:                             ;   in Loop: Header=BB6_1927 Depth=2
	v_lshrrev_b32_e32 v2, 24, v19
	v_cmp_ne_u32_e32 vcc, s69, v2
	v_bfrev_b32_e32 v3, 1
	s_and_saveexec_b64 s[52:53], vcc
	s_cbranch_execz .LBB6_2106
; %bb.2103:                             ;   in Loop: Header=BB6_1927 Depth=2
	v_bfe_u32 v5, v19, 24, 7
	v_cmp_ne_u32_e32 vcc, s71, v5
	v_mov_b32_e32 v3, 0x7f800001
	s_and_saveexec_b64 s[54:55], vcc
	s_cbranch_execz .LBB6_2105
; %bb.2104:                             ;   in Loop: Header=BB6_1927 Depth=2
	v_and_b32_e32 v3, 7, v2
	v_ffbh_u32_e32 v6, v3
	v_min_u32_e32 v9, 32, v6
	v_subrev_u32_e32 v6, 28, v9
	v_lshlrev_b64 v[6:7], v6, v[2:3]
	v_lshrrev_b32_e32 v8, 3, v5
	v_sub_u32_e32 v7, 29, v9
	v_and_b32_e32 v6, 7, v6
	v_cmp_gt_u32_e32 vcc, 8, v5
	v_cndmask_b32_e32 v5, v8, v7, vcc
	v_cndmask_b32_e32 v3, v3, v6, vcc
	v_lshlrev_b32_e32 v2, 24, v2
	v_lshlrev_b32_e32 v3, 20, v3
	v_and_b32_e32 v2, 0x80000000, v2
	v_lshl_add_u32 v5, v5, 23, v29
	v_or3_b32 v3, v2, v5, v3
.LBB6_2105:                             ;   in Loop: Header=BB6_1927 Depth=2
	s_or_b64 exec, exec, s[54:55]
.LBB6_2106:                             ;   in Loop: Header=BB6_1927 Depth=2
	s_or_b64 exec, exec, s[52:53]
.LBB6_2107:                             ;   in Loop: Header=BB6_1927 Depth=2
	s_or_b64 exec, exec, s[18:19]
	v_add_f32_e32 v2, v4, v3
	v_and_b32_sdwa v4, v2, s69 dst_sel:DWORD dst_unused:UNUSED_PAD src0_sel:BYTE_3 src1_sel:DWORD
	v_and_b32_e32 v6, 0x7f800000, v2
	v_mov_b32_e32 v7, v53
	v_and_b32_e32 v52, 0x7fffff, v2
	v_or_b32_e32 v19, 0x7e, v4
	v_cmp_ne_u64_e32 vcc, s[38:39], v[6:7]
	s_and_saveexec_b64 s[18:19], vcc
	s_xor_b64 s[52:53], exec, s[18:19]
	s_cbranch_execz .LBB6_2117
; %bb.2108:                             ;   in Loop: Header=BB6_1927 Depth=2
	v_and_b32_e32 v6, 0x7fffffff, v2
	v_mov_b32_e32 v7, v53
	v_cmp_gt_u64_e32 vcc, s[40:41], v[6:7]
	s_and_saveexec_b64 s[54:55], vcc
	s_cbranch_execz .LBB6_2116
; %bb.2109:                             ;   in Loop: Header=BB6_1927 Depth=2
	v_cmp_ne_u32_e32 vcc, 0, v2
	v_mov_b32_e32 v19, 0
	s_and_saveexec_b64 s[56:57], vcc
	s_cbranch_execz .LBB6_2115
; %bb.2110:                             ;   in Loop: Header=BB6_1927 Depth=2
	v_bfe_u32 v2, v2, 23, 8
	v_sub_u32_e32 v5, 0x79, v2
	v_cmp_gt_u32_e32 vcc, s72, v2
	v_cndmask_b32_e32 v5, 0, v5, vcc
	v_cmp_eq_u32_e32 vcc, 0, v2
	v_or_b32_e32 v6, 0x800000, v52
	v_cndmask_b32_e32 v5, v5, v38, vcc
	v_add_u32_e32 v3, 0xffffff81, v2
	v_cndmask_b32_e32 v52, v6, v52, vcc
	v_add_u32_e32 v2, 20, v5
	v_cndmask_b32_e32 v18, v3, v33, vcc
	v_lshlrev_b64 v[2:3], v2, -1
	v_lshrrev_b64 v[8:9], v5, v[52:53]
	v_not_b32_e32 v3, v3
	v_not_b32_e32 v2, v2
	v_add_u32_e32 v6, 19, v5
	v_lshrrev_b32_e32 v19, 23, v8
	v_and_b32_e32 v3, 0, v3
	v_and_b32_e32 v2, v52, v2
	v_lshlrev_b64 v[6:7], v6, 1
	v_add3_u32 v19, v5, v18, v19
	v_bfe_u32 v5, v8, 20, 1
	v_add_u32_e32 v5, -1, v5
	v_cmp_eq_u64_e32 vcc, v[2:3], v[6:7]
	v_cndmask_b32_e32 v2, 0, v5, vcc
	v_add_u32_e32 v2, v2, v8
	v_and_b32_e32 v2, 0xfffff, v2
	v_add_co_u32_e32 v2, vcc, v2, v8
	v_add_u32_e32 v18, 6, v19
	v_addc_co_u32_e32 v3, vcc, 0, v9, vcc
	v_cmp_ne_u32_e32 vcc, 0, v18
                                        ; implicit-def: $vgpr5
	s_and_saveexec_b64 s[18:19], vcc
	s_xor_b64 s[18:19], exec, s[18:19]
; %bb.2111:                             ;   in Loop: Header=BB6_1927 Depth=2
	v_cmp_lt_u64_e32 vcc, s[44:45], v[2:3]
	v_add_u32_e32 v5, 7, v19
	v_cndmask_b32_e64 v6, 0, 1, vcc
	v_cndmask_b32_e32 v5, v18, v5, vcc
	v_lshrrev_b64 v[2:3], v6, v[2:3]
; %bb.2112:                             ;   in Loop: Header=BB6_1927 Depth=2
	s_andn2_saveexec_b64 s[18:19], s[18:19]
; %bb.2113:                             ;   in Loop: Header=BB6_1927 Depth=2
	v_bfe_u32 v5, v2, 23, 1
; %bb.2114:                             ;   in Loop: Header=BB6_1927 Depth=2
	s_or_b64 exec, exec, s[18:19]
	v_lshrrev_b64 v[2:3], 20, v[2:3]
	v_cmp_gt_i32_e32 vcc, 16, v5
	v_cndmask_b32_e32 v3, 0, v3, vcc
	v_cndmask_b32_e32 v2, 7, v2, vcc
	v_cmp_eq_u64_e64 s[18:19], 0, v[2:3]
	v_min_i32_e32 v3, 15, v5
	v_lshlrev_b32_e32 v3, 3, v3
	v_cmp_eq_u32_e32 vcc, 0, v5
	v_and_b32_e32 v3, 0xf8, v3
	v_and_or_b32 v2, v2, 7, v3
	s_and_b64 s[18:19], vcc, s[18:19]
	v_cndmask_b32_e64 v2, v2, 0, s[18:19]
	v_or_b32_e32 v19, v2, v4
.LBB6_2115:                             ;   in Loop: Header=BB6_1927 Depth=2
	s_or_b64 exec, exec, s[56:57]
.LBB6_2116:                             ;   in Loop: Header=BB6_1927 Depth=2
	s_or_b64 exec, exec, s[54:55]
                                        ; implicit-def: $vgpr2
.LBB6_2117:                             ;   in Loop: Header=BB6_1927 Depth=2
	s_andn2_saveexec_b64 s[18:19], s[52:53]
; %bb.2118:                             ;   in Loop: Header=BB6_1927 Depth=2
	v_or_b32_sdwa v2, v2, s71 dst_sel:DWORD dst_unused:UNUSED_PAD src0_sel:BYTE_3 src1_sel:DWORD
	v_cmp_eq_u64_e32 vcc, 0, v[52:53]
	v_cndmask_b32_e32 v19, v2, v19, vcc
; %bb.2119:                             ;   in Loop: Header=BB6_1927 Depth=2
	s_or_b64 exec, exec, s[18:19]
	v_cmp_ne_u16_sdwa vcc, v24, v53 src0_sel:BYTE_0 src1_sel:DWORD
	v_mov_b32_e32 v2, 0
	v_mov_b32_e32 v3, 0
	s_and_saveexec_b64 s[18:19], vcc
	s_cbranch_execz .LBB6_2125
; %bb.2120:                             ;   in Loop: Header=BB6_1927 Depth=2
	v_cmp_ne_u16_sdwa vcc, v24, s69 src0_sel:BYTE_0 src1_sel:DWORD
	v_bfrev_b32_e32 v3, 1
	s_and_saveexec_b64 s[52:53], vcc
	s_cbranch_execz .LBB6_2124
; %bb.2121:                             ;   in Loop: Header=BB6_1927 Depth=2
	v_and_b32_e32 v4, 0x7f, v24
	v_cmp_ne_u32_e32 vcc, s71, v4
	v_mov_b32_e32 v3, 0x7f800001
	s_and_saveexec_b64 s[54:55], vcc
	s_cbranch_execz .LBB6_2123
; %bb.2122:                             ;   in Loop: Header=BB6_1927 Depth=2
	v_and_b32_e32 v3, 7, v24
	v_ffbh_u32_e32 v3, v3
	v_min_u32_e32 v3, 32, v3
	v_subrev_u32_e32 v6, 28, v3
	v_cmp_gt_u32_e32 vcc, 8, v4
	v_lshrrev_b32_e32 v5, 3, v4
	v_sub_u32_e32 v3, 29, v3
	v_cndmask_b32_e32 v4, 0, v6, vcc
	v_cndmask_b32_e32 v3, v5, v3, vcc
	v_lshlrev_b64 v[4:5], v4, v[24:25]
	v_lshlrev_b32_e32 v4, 20, v4
	v_lshlrev_b32_e32 v5, 24, v24
	v_and_b32_e32 v4, 0x700000, v4
	v_and_b32_e32 v5, 0x80000000, v5
	v_lshl_add_u32 v3, v3, 23, v29
	v_or3_b32 v3, v5, v3, v4
.LBB6_2123:                             ;   in Loop: Header=BB6_1927 Depth=2
	s_or_b64 exec, exec, s[54:55]
.LBB6_2124:                             ;   in Loop: Header=BB6_1927 Depth=2
	s_or_b64 exec, exec, s[52:53]
.LBB6_2125:                             ;   in Loop: Header=BB6_1927 Depth=2
	s_or_b64 exec, exec, s[18:19]
	v_cmp_ne_u16_sdwa vcc, v20, v53 src0_sel:BYTE_0 src1_sel:DWORD
	s_and_saveexec_b64 s[18:19], vcc
	s_cbranch_execz .LBB6_2131
; %bb.2126:                             ;   in Loop: Header=BB6_1927 Depth=2
	v_cmp_ne_u16_sdwa vcc, v20, s69 src0_sel:BYTE_0 src1_sel:DWORD
	v_bfrev_b32_e32 v2, 1
	s_and_saveexec_b64 s[52:53], vcc
	s_cbranch_execz .LBB6_2130
; %bb.2127:                             ;   in Loop: Header=BB6_1927 Depth=2
	v_and_b32_e32 v4, 0x7f, v20
	v_cmp_ne_u32_e32 vcc, s71, v4
	v_mov_b32_e32 v2, 0x7f800001
	s_and_saveexec_b64 s[54:55], vcc
	s_cbranch_execz .LBB6_2129
; %bb.2128:                             ;   in Loop: Header=BB6_1927 Depth=2
	v_and_b32_e32 v2, 7, v20
	v_ffbh_u32_e32 v2, v2
	v_min_u32_e32 v2, 32, v2
	v_subrev_u32_e32 v6, 28, v2
	v_cmp_gt_u32_e32 vcc, 8, v4
	v_lshrrev_b32_e32 v5, 3, v4
	v_sub_u32_e32 v2, 29, v2
	v_cndmask_b32_e32 v4, 0, v6, vcc
	v_cndmask_b32_e32 v2, v5, v2, vcc
	v_lshlrev_b64 v[4:5], v4, v[20:21]
	v_lshlrev_b32_e32 v4, 20, v4
	v_lshlrev_b32_e32 v5, 24, v20
	v_and_b32_e32 v4, 0x700000, v4
	v_and_b32_e32 v5, 0x80000000, v5
	v_lshl_add_u32 v2, v2, 23, v29
	v_or3_b32 v2, v5, v2, v4
.LBB6_2129:                             ;   in Loop: Header=BB6_1927 Depth=2
	s_or_b64 exec, exec, s[54:55]
.LBB6_2130:                             ;   in Loop: Header=BB6_1927 Depth=2
	s_or_b64 exec, exec, s[52:53]
.LBB6_2131:                             ;   in Loop: Header=BB6_1927 Depth=2
	s_or_b64 exec, exec, s[18:19]
	v_add_f32_e32 v2, v3, v2
	v_and_b32_sdwa v4, v2, s69 dst_sel:DWORD dst_unused:UNUSED_PAD src0_sel:BYTE_3 src1_sel:DWORD
	v_and_b32_e32 v6, 0x7f800000, v2
	v_mov_b32_e32 v7, v53
	v_and_b32_e32 v52, 0x7fffff, v2
	v_or_b32_e32 v22, 0x7e, v4
	v_cmp_ne_u64_e32 vcc, s[38:39], v[6:7]
	s_and_saveexec_b64 s[18:19], vcc
	s_xor_b64 s[52:53], exec, s[18:19]
	s_cbranch_execz .LBB6_2141
; %bb.2132:                             ;   in Loop: Header=BB6_1927 Depth=2
	v_and_b32_e32 v6, 0x7fffffff, v2
	v_mov_b32_e32 v7, v53
	v_cmp_gt_u64_e32 vcc, s[40:41], v[6:7]
	s_and_saveexec_b64 s[54:55], vcc
	s_cbranch_execz .LBB6_2140
; %bb.2133:                             ;   in Loop: Header=BB6_1927 Depth=2
	v_cmp_ne_u32_e32 vcc, 0, v2
	v_mov_b32_e32 v22, 0
	s_and_saveexec_b64 s[56:57], vcc
	s_cbranch_execz .LBB6_2139
; %bb.2134:                             ;   in Loop: Header=BB6_1927 Depth=2
	v_bfe_u32 v2, v2, 23, 8
	v_sub_u32_e32 v5, 0x79, v2
	v_cmp_gt_u32_e32 vcc, s72, v2
	v_cndmask_b32_e32 v5, 0, v5, vcc
	v_cmp_eq_u32_e32 vcc, 0, v2
	v_or_b32_e32 v6, 0x800000, v52
	v_cndmask_b32_e32 v5, v5, v38, vcc
	v_add_u32_e32 v3, 0xffffff81, v2
	v_cndmask_b32_e32 v52, v6, v52, vcc
	v_add_u32_e32 v2, 20, v5
	v_cndmask_b32_e32 v18, v3, v33, vcc
	v_lshlrev_b64 v[2:3], v2, -1
	v_lshrrev_b64 v[8:9], v5, v[52:53]
	v_not_b32_e32 v3, v3
	v_not_b32_e32 v2, v2
	v_add_u32_e32 v6, 19, v5
	v_lshrrev_b32_e32 v22, 23, v8
	v_and_b32_e32 v3, 0, v3
	v_and_b32_e32 v2, v52, v2
	v_lshlrev_b64 v[6:7], v6, 1
	v_add3_u32 v22, v5, v18, v22
	v_bfe_u32 v5, v8, 20, 1
	v_add_u32_e32 v5, -1, v5
	v_cmp_eq_u64_e32 vcc, v[2:3], v[6:7]
	v_cndmask_b32_e32 v2, 0, v5, vcc
	v_add_u32_e32 v2, v2, v8
	v_and_b32_e32 v2, 0xfffff, v2
	v_add_co_u32_e32 v2, vcc, v2, v8
	v_add_u32_e32 v18, 6, v22
	v_addc_co_u32_e32 v3, vcc, 0, v9, vcc
	v_cmp_ne_u32_e32 vcc, 0, v18
                                        ; implicit-def: $vgpr5
	s_and_saveexec_b64 s[18:19], vcc
	s_xor_b64 s[18:19], exec, s[18:19]
; %bb.2135:                             ;   in Loop: Header=BB6_1927 Depth=2
	v_cmp_lt_u64_e32 vcc, s[44:45], v[2:3]
	v_add_u32_e32 v5, 7, v22
	v_cndmask_b32_e64 v6, 0, 1, vcc
	v_cndmask_b32_e32 v5, v18, v5, vcc
	v_lshrrev_b64 v[2:3], v6, v[2:3]
; %bb.2136:                             ;   in Loop: Header=BB6_1927 Depth=2
	s_andn2_saveexec_b64 s[18:19], s[18:19]
; %bb.2137:                             ;   in Loop: Header=BB6_1927 Depth=2
	v_bfe_u32 v5, v2, 23, 1
; %bb.2138:                             ;   in Loop: Header=BB6_1927 Depth=2
	s_or_b64 exec, exec, s[18:19]
	v_lshrrev_b64 v[2:3], 20, v[2:3]
	v_cmp_gt_i32_e32 vcc, 16, v5
	v_cndmask_b32_e32 v3, 0, v3, vcc
	v_cndmask_b32_e32 v2, 7, v2, vcc
	v_cmp_eq_u64_e64 s[18:19], 0, v[2:3]
	v_min_i32_e32 v3, 15, v5
	v_cmp_eq_u32_e32 vcc, 0, v5
	v_lshlrev_b32_e32 v3, 3, v3
	v_and_or_b32 v2, v2, 7, v3
	s_and_b64 s[18:19], vcc, s[18:19]
	v_cndmask_b32_e64 v2, v2, 0, s[18:19]
	v_or_b32_e32 v22, v2, v4
.LBB6_2139:                             ;   in Loop: Header=BB6_1927 Depth=2
	s_or_b64 exec, exec, s[56:57]
.LBB6_2140:                             ;   in Loop: Header=BB6_1927 Depth=2
	s_or_b64 exec, exec, s[54:55]
                                        ; implicit-def: $vgpr2
.LBB6_2141:                             ;   in Loop: Header=BB6_1927 Depth=2
	s_andn2_saveexec_b64 s[18:19], s[52:53]
; %bb.2142:                             ;   in Loop: Header=BB6_1927 Depth=2
	v_or_b32_sdwa v2, v2, s71 dst_sel:DWORD dst_unused:UNUSED_PAD src0_sel:BYTE_3 src1_sel:DWORD
	v_cmp_eq_u64_e32 vcc, 0, v[52:53]
	v_cndmask_b32_e32 v22, v2, v22, vcc
; %bb.2143:                             ;   in Loop: Header=BB6_1927 Depth=2
	s_or_b64 exec, exec, s[18:19]
	v_lshrrev_b16_e32 v2, 8, v24
	v_cmp_ne_u16_e32 vcc, 0, v2
	v_mov_b32_e32 v3, 0
	v_mov_b32_e32 v4, 0
	s_and_saveexec_b64 s[18:19], vcc
	s_cbranch_execz .LBB6_2149
; %bb.2144:                             ;   in Loop: Header=BB6_1927 Depth=2
	v_cmp_ne_u16_e32 vcc, s69, v2
	v_bfrev_b32_e32 v4, 1
	s_and_saveexec_b64 s[52:53], vcc
	s_cbranch_execz .LBB6_2148
; %bb.2145:                             ;   in Loop: Header=BB6_1927 Depth=2
	v_and_b32_e32 v5, 0x7f, v2
	v_cmp_ne_u32_e32 vcc, s71, v5
	v_mov_b32_e32 v4, 0x7f800001
	s_and_saveexec_b64 s[54:55], vcc
	s_cbranch_execz .LBB6_2147
; %bb.2146:                             ;   in Loop: Header=BB6_1927 Depth=2
	v_and_b32_e32 v4, 7, v2
	v_ffbh_u32_e32 v6, v4
	v_min_u32_e32 v9, 32, v6
	v_subrev_u32_e32 v6, 28, v9
	v_lshlrev_b64 v[6:7], v6, v[2:3]
	v_lshrrev_b32_e32 v8, 3, v5
	v_sub_u32_e32 v2, 29, v9
	v_and_b32_e32 v6, 7, v6
	v_cmp_gt_u32_e32 vcc, 8, v5
	v_cndmask_b32_e32 v2, v8, v2, vcc
	v_cndmask_b32_e32 v4, v4, v6, vcc
	v_lshlrev_b32_e32 v5, 16, v24
	v_lshlrev_b32_e32 v4, 20, v4
	v_and_b32_e32 v5, 0x80000000, v5
	v_lshl_add_u32 v2, v2, 23, v29
	v_or3_b32 v4, v5, v2, v4
.LBB6_2147:                             ;   in Loop: Header=BB6_1927 Depth=2
	s_or_b64 exec, exec, s[54:55]
.LBB6_2148:                             ;   in Loop: Header=BB6_1927 Depth=2
	s_or_b64 exec, exec, s[52:53]
.LBB6_2149:                             ;   in Loop: Header=BB6_1927 Depth=2
	s_or_b64 exec, exec, s[18:19]
	v_lshrrev_b16_e32 v2, 8, v20
	v_cmp_ne_u16_e32 vcc, 0, v2
	s_and_saveexec_b64 s[18:19], vcc
	s_cbranch_execz .LBB6_2155
; %bb.2150:                             ;   in Loop: Header=BB6_1927 Depth=2
	v_cmp_ne_u16_e32 vcc, s69, v2
	v_bfrev_b32_e32 v3, 1
	s_and_saveexec_b64 s[52:53], vcc
	s_cbranch_execz .LBB6_2154
; %bb.2151:                             ;   in Loop: Header=BB6_1927 Depth=2
	v_and_b32_e32 v5, 0x7f, v2
	v_cmp_ne_u32_e32 vcc, s71, v5
	v_mov_b32_e32 v3, 0x7f800001
	s_and_saveexec_b64 s[54:55], vcc
	s_cbranch_execz .LBB6_2153
; %bb.2152:                             ;   in Loop: Header=BB6_1927 Depth=2
	v_and_b32_e32 v6, 7, v2
	v_ffbh_u32_e32 v3, v6
	v_min_u32_e32 v8, 32, v3
	v_subrev_u32_e32 v3, 28, v8
	v_lshlrev_b64 v[2:3], v3, v[2:3]
	v_lshrrev_b32_e32 v7, 3, v5
	v_sub_u32_e32 v3, 29, v8
	v_and_b32_e32 v2, 7, v2
	v_cmp_gt_u32_e32 vcc, 8, v5
	v_cndmask_b32_e32 v3, v7, v3, vcc
	v_cndmask_b32_e32 v2, v6, v2, vcc
	v_lshlrev_b32_e32 v5, 16, v20
	v_lshlrev_b32_e32 v2, 20, v2
	v_and_b32_e32 v5, 0x80000000, v5
	v_lshl_add_u32 v3, v3, 23, v29
	v_or3_b32 v3, v5, v3, v2
.LBB6_2153:                             ;   in Loop: Header=BB6_1927 Depth=2
	s_or_b64 exec, exec, s[54:55]
.LBB6_2154:                             ;   in Loop: Header=BB6_1927 Depth=2
	s_or_b64 exec, exec, s[52:53]
.LBB6_2155:                             ;   in Loop: Header=BB6_1927 Depth=2
	s_or_b64 exec, exec, s[18:19]
	v_add_f32_e32 v2, v4, v3
	v_and_b32_sdwa v4, v2, s69 dst_sel:DWORD dst_unused:UNUSED_PAD src0_sel:BYTE_3 src1_sel:DWORD
	v_and_b32_e32 v6, 0x7f800000, v2
	v_mov_b32_e32 v7, v53
	v_and_b32_e32 v52, 0x7fffff, v2
	v_or_b32_e32 v23, 0x7e, v4
	v_cmp_ne_u64_e32 vcc, s[38:39], v[6:7]
	s_and_saveexec_b64 s[18:19], vcc
	s_xor_b64 s[52:53], exec, s[18:19]
	s_cbranch_execz .LBB6_2165
; %bb.2156:                             ;   in Loop: Header=BB6_1927 Depth=2
	v_and_b32_e32 v6, 0x7fffffff, v2
	v_mov_b32_e32 v7, v53
	v_cmp_gt_u64_e32 vcc, s[40:41], v[6:7]
	s_and_saveexec_b64 s[54:55], vcc
	s_cbranch_execz .LBB6_2164
; %bb.2157:                             ;   in Loop: Header=BB6_1927 Depth=2
	v_cmp_ne_u32_e32 vcc, 0, v2
	v_mov_b32_e32 v23, 0
	s_and_saveexec_b64 s[56:57], vcc
	s_cbranch_execz .LBB6_2163
; %bb.2158:                             ;   in Loop: Header=BB6_1927 Depth=2
	v_bfe_u32 v2, v2, 23, 8
	v_sub_u32_e32 v5, 0x79, v2
	v_cmp_gt_u32_e32 vcc, s72, v2
	v_cndmask_b32_e32 v5, 0, v5, vcc
	v_cmp_eq_u32_e32 vcc, 0, v2
	v_or_b32_e32 v6, 0x800000, v52
	v_cndmask_b32_e32 v5, v5, v38, vcc
	v_add_u32_e32 v3, 0xffffff81, v2
	v_cndmask_b32_e32 v52, v6, v52, vcc
	v_add_u32_e32 v2, 20, v5
	v_cndmask_b32_e32 v18, v3, v33, vcc
	v_lshlrev_b64 v[2:3], v2, -1
	v_lshrrev_b64 v[8:9], v5, v[52:53]
	v_not_b32_e32 v3, v3
	v_not_b32_e32 v2, v2
	v_add_u32_e32 v6, 19, v5
	v_lshrrev_b32_e32 v23, 23, v8
	v_and_b32_e32 v3, 0, v3
	v_and_b32_e32 v2, v52, v2
	v_lshlrev_b64 v[6:7], v6, 1
	v_add3_u32 v23, v5, v18, v23
	v_bfe_u32 v5, v8, 20, 1
	v_add_u32_e32 v5, -1, v5
	v_cmp_eq_u64_e32 vcc, v[2:3], v[6:7]
	v_cndmask_b32_e32 v2, 0, v5, vcc
	v_add_u32_e32 v2, v2, v8
	v_and_b32_e32 v2, 0xfffff, v2
	v_add_co_u32_e32 v2, vcc, v2, v8
	v_add_u32_e32 v18, 6, v23
	v_addc_co_u32_e32 v3, vcc, 0, v9, vcc
	v_cmp_ne_u32_e32 vcc, 0, v18
                                        ; implicit-def: $vgpr5
	s_and_saveexec_b64 s[18:19], vcc
	s_xor_b64 s[18:19], exec, s[18:19]
; %bb.2159:                             ;   in Loop: Header=BB6_1927 Depth=2
	v_cmp_lt_u64_e32 vcc, s[44:45], v[2:3]
	v_add_u32_e32 v5, 7, v23
	v_cndmask_b32_e64 v6, 0, 1, vcc
	v_cndmask_b32_e32 v5, v18, v5, vcc
	v_lshrrev_b64 v[2:3], v6, v[2:3]
; %bb.2160:                             ;   in Loop: Header=BB6_1927 Depth=2
	s_andn2_saveexec_b64 s[18:19], s[18:19]
; %bb.2161:                             ;   in Loop: Header=BB6_1927 Depth=2
	v_bfe_u32 v5, v2, 23, 1
; %bb.2162:                             ;   in Loop: Header=BB6_1927 Depth=2
	s_or_b64 exec, exec, s[18:19]
	v_lshrrev_b64 v[2:3], 20, v[2:3]
	v_cmp_gt_i32_e32 vcc, 16, v5
	v_cndmask_b32_e32 v3, 0, v3, vcc
	v_cndmask_b32_e32 v2, 7, v2, vcc
	v_cmp_eq_u64_e64 s[18:19], 0, v[2:3]
	v_min_i32_e32 v3, 15, v5
	v_cmp_eq_u32_e32 vcc, 0, v5
	v_lshlrev_b32_e32 v3, 3, v3
	v_and_or_b32 v2, v2, 7, v3
	s_and_b64 s[18:19], vcc, s[18:19]
	v_cndmask_b32_e64 v2, v2, 0, s[18:19]
	v_or_b32_e32 v23, v2, v4
.LBB6_2163:                             ;   in Loop: Header=BB6_1927 Depth=2
	s_or_b64 exec, exec, s[56:57]
.LBB6_2164:                             ;   in Loop: Header=BB6_1927 Depth=2
	s_or_b64 exec, exec, s[54:55]
                                        ; implicit-def: $vgpr2
.LBB6_2165:                             ;   in Loop: Header=BB6_1927 Depth=2
	s_andn2_saveexec_b64 s[18:19], s[52:53]
; %bb.2166:                             ;   in Loop: Header=BB6_1927 Depth=2
	v_or_b32_sdwa v2, v2, s71 dst_sel:DWORD dst_unused:UNUSED_PAD src0_sel:BYTE_3 src1_sel:DWORD
	v_cmp_eq_u64_e32 vcc, 0, v[52:53]
	v_cndmask_b32_e32 v23, v2, v23, vcc
; %bb.2167:                             ;   in Loop: Header=BB6_1927 Depth=2
	s_or_b64 exec, exec, s[18:19]
	v_lshrrev_b32_e32 v2, 16, v24
	v_cmp_ne_u16_sdwa vcc, v2, v53 src0_sel:BYTE_0 src1_sel:DWORD
	v_mov_b32_e32 v3, 0
	v_mov_b32_e32 v4, 0
	s_and_saveexec_b64 s[18:19], vcc
	s_cbranch_execz .LBB6_2173
; %bb.2168:                             ;   in Loop: Header=BB6_1927 Depth=2
	v_cmp_ne_u16_sdwa vcc, v2, s69 src0_sel:BYTE_0 src1_sel:DWORD
	v_bfrev_b32_e32 v4, 1
	s_and_saveexec_b64 s[52:53], vcc
	s_cbranch_execz .LBB6_2172
; %bb.2169:                             ;   in Loop: Header=BB6_1927 Depth=2
	v_bfe_u32 v5, v24, 16, 7
	v_cmp_ne_u32_e32 vcc, s71, v5
	v_mov_b32_e32 v4, 0x7f800001
	s_and_saveexec_b64 s[54:55], vcc
	s_cbranch_execz .LBB6_2171
; %bb.2170:                             ;   in Loop: Header=BB6_1927 Depth=2
	v_and_b32_e32 v4, 7, v2
	v_ffbh_u32_e32 v6, v4
	v_min_u32_e32 v9, 32, v6
	v_subrev_u32_e32 v6, 28, v9
	v_lshlrev_b64 v[6:7], v6, v[2:3]
	v_lshrrev_b32_e32 v8, 3, v5
	v_sub_u32_e32 v7, 29, v9
	v_and_b32_e32 v6, 7, v6
	v_cmp_gt_u32_e32 vcc, 8, v5
	v_cndmask_b32_e32 v5, v8, v7, vcc
	v_cndmask_b32_e32 v4, v4, v6, vcc
	v_lshlrev_b32_e32 v2, 24, v2
	v_lshlrev_b32_e32 v4, 20, v4
	v_and_b32_e32 v2, 0x80000000, v2
	v_lshl_add_u32 v5, v5, 23, v29
	v_or3_b32 v4, v2, v5, v4
.LBB6_2171:                             ;   in Loop: Header=BB6_1927 Depth=2
	s_or_b64 exec, exec, s[54:55]
.LBB6_2172:                             ;   in Loop: Header=BB6_1927 Depth=2
	s_or_b64 exec, exec, s[52:53]
.LBB6_2173:                             ;   in Loop: Header=BB6_1927 Depth=2
	s_or_b64 exec, exec, s[18:19]
	v_lshrrev_b32_e32 v2, 16, v20
	v_cmp_ne_u16_sdwa vcc, v2, v53 src0_sel:BYTE_0 src1_sel:DWORD
	s_and_saveexec_b64 s[18:19], vcc
	s_cbranch_execz .LBB6_2179
; %bb.2174:                             ;   in Loop: Header=BB6_1927 Depth=2
	v_cmp_ne_u16_sdwa vcc, v2, s69 src0_sel:BYTE_0 src1_sel:DWORD
	v_bfrev_b32_e32 v3, 1
	s_and_saveexec_b64 s[52:53], vcc
	s_cbranch_execz .LBB6_2178
; %bb.2175:                             ;   in Loop: Header=BB6_1927 Depth=2
	v_bfe_u32 v5, v20, 16, 7
	v_cmp_ne_u32_e32 vcc, s71, v5
	v_mov_b32_e32 v3, 0x7f800001
	s_and_saveexec_b64 s[54:55], vcc
	s_cbranch_execz .LBB6_2177
; %bb.2176:                             ;   in Loop: Header=BB6_1927 Depth=2
	v_and_b32_e32 v6, 7, v2
	v_ffbh_u32_e32 v3, v6
	v_min_u32_e32 v8, 32, v3
	v_subrev_u32_e32 v3, 28, v8
	v_lshlrev_b64 v[2:3], v3, v[2:3]
	v_lshrrev_b32_e32 v7, 3, v5
	v_sub_u32_e32 v3, 29, v8
	v_and_b32_e32 v2, 7, v2
	v_cmp_gt_u32_e32 vcc, 8, v5
	v_cndmask_b32_e32 v3, v7, v3, vcc
	v_cndmask_b32_e32 v2, v6, v2, vcc
	v_lshlrev_b32_e32 v5, 8, v20
	v_lshlrev_b32_e32 v2, 20, v2
	v_and_b32_e32 v5, 0x80000000, v5
	v_lshl_add_u32 v3, v3, 23, v29
	v_or3_b32 v3, v5, v3, v2
.LBB6_2177:                             ;   in Loop: Header=BB6_1927 Depth=2
	s_or_b64 exec, exec, s[54:55]
.LBB6_2178:                             ;   in Loop: Header=BB6_1927 Depth=2
	s_or_b64 exec, exec, s[52:53]
.LBB6_2179:                             ;   in Loop: Header=BB6_1927 Depth=2
	s_or_b64 exec, exec, s[18:19]
	v_add_f32_e32 v2, v4, v3
	v_and_b32_sdwa v4, v2, s69 dst_sel:DWORD dst_unused:UNUSED_PAD src0_sel:BYTE_3 src1_sel:DWORD
	v_and_b32_e32 v6, 0x7f800000, v2
	v_mov_b32_e32 v7, v53
	v_and_b32_e32 v52, 0x7fffff, v2
	v_or_b32_e32 v35, 0x7e, v4
	v_cmp_ne_u64_e32 vcc, s[38:39], v[6:7]
	s_and_saveexec_b64 s[18:19], vcc
	s_xor_b64 s[52:53], exec, s[18:19]
	s_cbranch_execz .LBB6_2189
; %bb.2180:                             ;   in Loop: Header=BB6_1927 Depth=2
	v_and_b32_e32 v6, 0x7fffffff, v2
	v_mov_b32_e32 v7, v53
	v_cmp_gt_u64_e32 vcc, s[40:41], v[6:7]
	s_and_saveexec_b64 s[54:55], vcc
	s_cbranch_execz .LBB6_2188
; %bb.2181:                             ;   in Loop: Header=BB6_1927 Depth=2
	v_cmp_ne_u32_e32 vcc, 0, v2
	v_mov_b32_e32 v35, 0
	s_and_saveexec_b64 s[56:57], vcc
	s_cbranch_execz .LBB6_2187
; %bb.2182:                             ;   in Loop: Header=BB6_1927 Depth=2
	v_bfe_u32 v2, v2, 23, 8
	v_sub_u32_e32 v5, 0x79, v2
	v_cmp_gt_u32_e32 vcc, s72, v2
	v_cndmask_b32_e32 v5, 0, v5, vcc
	v_cmp_eq_u32_e32 vcc, 0, v2
	v_or_b32_e32 v6, 0x800000, v52
	v_cndmask_b32_e32 v5, v5, v38, vcc
	v_add_u32_e32 v3, 0xffffff81, v2
	v_cndmask_b32_e32 v52, v6, v52, vcc
	v_add_u32_e32 v2, 20, v5
	v_cndmask_b32_e32 v18, v3, v33, vcc
	v_lshlrev_b64 v[2:3], v2, -1
	v_lshrrev_b64 v[8:9], v5, v[52:53]
	v_not_b32_e32 v3, v3
	v_not_b32_e32 v2, v2
	v_add_u32_e32 v6, 19, v5
	v_lshrrev_b32_e32 v28, 23, v8
	v_and_b32_e32 v3, 0, v3
	v_and_b32_e32 v2, v52, v2
	v_lshlrev_b64 v[6:7], v6, 1
	v_add3_u32 v28, v5, v18, v28
	v_bfe_u32 v5, v8, 20, 1
	v_add_u32_e32 v5, -1, v5
	v_cmp_eq_u64_e32 vcc, v[2:3], v[6:7]
	v_cndmask_b32_e32 v2, 0, v5, vcc
	v_add_u32_e32 v2, v2, v8
	v_and_b32_e32 v2, 0xfffff, v2
	v_add_co_u32_e32 v2, vcc, v2, v8
	v_add_u32_e32 v18, 6, v28
	v_addc_co_u32_e32 v3, vcc, 0, v9, vcc
	v_cmp_ne_u32_e32 vcc, 0, v18
                                        ; implicit-def: $vgpr5
	s_and_saveexec_b64 s[18:19], vcc
	s_xor_b64 s[18:19], exec, s[18:19]
; %bb.2183:                             ;   in Loop: Header=BB6_1927 Depth=2
	v_cmp_lt_u64_e32 vcc, s[44:45], v[2:3]
	v_add_u32_e32 v5, 7, v28
	v_cndmask_b32_e64 v6, 0, 1, vcc
	v_cndmask_b32_e32 v5, v18, v5, vcc
	v_lshrrev_b64 v[2:3], v6, v[2:3]
; %bb.2184:                             ;   in Loop: Header=BB6_1927 Depth=2
	s_andn2_saveexec_b64 s[18:19], s[18:19]
; %bb.2185:                             ;   in Loop: Header=BB6_1927 Depth=2
	v_bfe_u32 v5, v2, 23, 1
; %bb.2186:                             ;   in Loop: Header=BB6_1927 Depth=2
	s_or_b64 exec, exec, s[18:19]
	v_lshrrev_b64 v[2:3], 20, v[2:3]
	v_cmp_gt_i32_e32 vcc, 16, v5
	v_cndmask_b32_e32 v3, 0, v3, vcc
	v_cndmask_b32_e32 v2, 7, v2, vcc
	v_cmp_eq_u64_e64 s[18:19], 0, v[2:3]
	v_min_i32_e32 v3, 15, v5
	v_cmp_eq_u32_e32 vcc, 0, v5
	v_lshlrev_b32_e32 v3, 3, v3
	v_and_or_b32 v2, v2, 7, v3
	s_and_b64 s[18:19], vcc, s[18:19]
	v_cndmask_b32_e64 v2, v2, 0, s[18:19]
	v_or_b32_e32 v35, v2, v4
.LBB6_2187:                             ;   in Loop: Header=BB6_1927 Depth=2
	s_or_b64 exec, exec, s[56:57]
.LBB6_2188:                             ;   in Loop: Header=BB6_1927 Depth=2
	s_or_b64 exec, exec, s[54:55]
                                        ; implicit-def: $vgpr2
.LBB6_2189:                             ;   in Loop: Header=BB6_1927 Depth=2
	s_andn2_saveexec_b64 s[18:19], s[52:53]
; %bb.2190:                             ;   in Loop: Header=BB6_1927 Depth=2
	v_or_b32_sdwa v2, v2, s71 dst_sel:DWORD dst_unused:UNUSED_PAD src0_sel:BYTE_3 src1_sel:DWORD
	v_cmp_eq_u64_e32 vcc, 0, v[52:53]
	v_cndmask_b32_e32 v35, v2, v35, vcc
; %bb.2191:                             ;   in Loop: Header=BB6_1927 Depth=2
	s_or_b64 exec, exec, s[18:19]
	v_cmp_lt_u32_e32 vcc, s43, v24
	v_mov_b32_e32 v3, 0
	v_mov_b32_e32 v4, 0
	s_and_saveexec_b64 s[18:19], vcc
	s_cbranch_execz .LBB6_2197
; %bb.2192:                             ;   in Loop: Header=BB6_1927 Depth=2
	v_lshrrev_b32_e32 v2, 24, v24
	v_cmp_ne_u32_e32 vcc, s69, v2
	v_bfrev_b32_e32 v4, 1
	s_and_saveexec_b64 s[52:53], vcc
	s_cbranch_execz .LBB6_2196
; %bb.2193:                             ;   in Loop: Header=BB6_1927 Depth=2
	v_bfe_u32 v5, v24, 24, 7
	v_cmp_ne_u32_e32 vcc, s71, v5
	v_mov_b32_e32 v4, 0x7f800001
	s_and_saveexec_b64 s[54:55], vcc
	s_cbranch_execz .LBB6_2195
; %bb.2194:                             ;   in Loop: Header=BB6_1927 Depth=2
	v_and_b32_e32 v4, 7, v2
	v_ffbh_u32_e32 v6, v4
	v_min_u32_e32 v9, 32, v6
	v_subrev_u32_e32 v6, 28, v9
	v_lshlrev_b64 v[6:7], v6, v[2:3]
	v_lshrrev_b32_e32 v8, 3, v5
	v_sub_u32_e32 v7, 29, v9
	v_and_b32_e32 v6, 7, v6
	v_cmp_gt_u32_e32 vcc, 8, v5
	v_cndmask_b32_e32 v5, v8, v7, vcc
	v_cndmask_b32_e32 v4, v4, v6, vcc
	v_lshlrev_b32_e32 v2, 24, v2
	v_lshlrev_b32_e32 v4, 20, v4
	v_and_b32_e32 v2, 0x80000000, v2
	v_lshl_add_u32 v5, v5, 23, v29
	v_or3_b32 v4, v2, v5, v4
.LBB6_2195:                             ;   in Loop: Header=BB6_1927 Depth=2
	s_or_b64 exec, exec, s[54:55]
.LBB6_2196:                             ;   in Loop: Header=BB6_1927 Depth=2
	s_or_b64 exec, exec, s[52:53]
.LBB6_2197:                             ;   in Loop: Header=BB6_1927 Depth=2
	s_or_b64 exec, exec, s[18:19]
	v_cmp_lt_u32_e32 vcc, s43, v20
	s_and_saveexec_b64 s[18:19], vcc
	s_cbranch_execz .LBB6_2203
; %bb.2198:                             ;   in Loop: Header=BB6_1927 Depth=2
	v_lshrrev_b32_e32 v2, 24, v20
	v_cmp_ne_u32_e32 vcc, s69, v2
	v_bfrev_b32_e32 v3, 1
	s_and_saveexec_b64 s[52:53], vcc
	s_cbranch_execz .LBB6_2202
; %bb.2199:                             ;   in Loop: Header=BB6_1927 Depth=2
	v_bfe_u32 v5, v20, 24, 7
	v_cmp_ne_u32_e32 vcc, s71, v5
	v_mov_b32_e32 v3, 0x7f800001
	s_and_saveexec_b64 s[54:55], vcc
	s_cbranch_execz .LBB6_2201
; %bb.2200:                             ;   in Loop: Header=BB6_1927 Depth=2
	v_and_b32_e32 v3, 7, v2
	v_ffbh_u32_e32 v6, v3
	v_min_u32_e32 v9, 32, v6
	v_subrev_u32_e32 v6, 28, v9
	v_lshlrev_b64 v[6:7], v6, v[2:3]
	v_lshrrev_b32_e32 v8, 3, v5
	v_sub_u32_e32 v7, 29, v9
	v_and_b32_e32 v6, 7, v6
	v_cmp_gt_u32_e32 vcc, 8, v5
	v_cndmask_b32_e32 v5, v8, v7, vcc
	v_cndmask_b32_e32 v3, v3, v6, vcc
	v_lshlrev_b32_e32 v2, 24, v2
	v_lshlrev_b32_e32 v3, 20, v3
	v_and_b32_e32 v2, 0x80000000, v2
	v_lshl_add_u32 v5, v5, 23, v29
	v_or3_b32 v3, v2, v5, v3
.LBB6_2201:                             ;   in Loop: Header=BB6_1927 Depth=2
	s_or_b64 exec, exec, s[54:55]
.LBB6_2202:                             ;   in Loop: Header=BB6_1927 Depth=2
	s_or_b64 exec, exec, s[52:53]
.LBB6_2203:                             ;   in Loop: Header=BB6_1927 Depth=2
	s_or_b64 exec, exec, s[18:19]
	v_add_f32_e32 v2, v4, v3
	v_and_b32_sdwa v4, v2, s69 dst_sel:DWORD dst_unused:UNUSED_PAD src0_sel:BYTE_3 src1_sel:DWORD
	v_and_b32_e32 v6, 0x7f800000, v2
	v_mov_b32_e32 v7, v53
	v_and_b32_e32 v52, 0x7fffff, v2
	v_or_b32_e32 v40, 0x7e, v4
	v_cmp_ne_u64_e32 vcc, s[38:39], v[6:7]
	s_and_saveexec_b64 s[18:19], vcc
	s_xor_b64 s[52:53], exec, s[18:19]
	s_cbranch_execz .LBB6_2213
; %bb.2204:                             ;   in Loop: Header=BB6_1927 Depth=2
	v_and_b32_e32 v6, 0x7fffffff, v2
	v_mov_b32_e32 v7, v53
	v_cmp_gt_u64_e32 vcc, s[40:41], v[6:7]
	s_and_saveexec_b64 s[54:55], vcc
	s_cbranch_execz .LBB6_2212
; %bb.2205:                             ;   in Loop: Header=BB6_1927 Depth=2
	v_cmp_ne_u32_e32 vcc, 0, v2
	v_mov_b32_e32 v40, 0
	s_and_saveexec_b64 s[56:57], vcc
	s_cbranch_execz .LBB6_2211
; %bb.2206:                             ;   in Loop: Header=BB6_1927 Depth=2
	v_bfe_u32 v2, v2, 23, 8
	v_sub_u32_e32 v5, 0x79, v2
	v_cmp_gt_u32_e32 vcc, s72, v2
	v_cndmask_b32_e32 v5, 0, v5, vcc
	v_cmp_eq_u32_e32 vcc, 0, v2
	v_or_b32_e32 v6, 0x800000, v52
	v_cndmask_b32_e32 v5, v5, v38, vcc
	v_add_u32_e32 v3, 0xffffff81, v2
	v_cndmask_b32_e32 v52, v6, v52, vcc
	v_add_u32_e32 v2, 20, v5
	v_cndmask_b32_e32 v18, v3, v33, vcc
	v_lshlrev_b64 v[2:3], v2, -1
	v_lshrrev_b64 v[8:9], v5, v[52:53]
	v_not_b32_e32 v3, v3
	v_not_b32_e32 v2, v2
	v_add_u32_e32 v6, 19, v5
	v_lshrrev_b32_e32 v28, 23, v8
	v_and_b32_e32 v3, 0, v3
	v_and_b32_e32 v2, v52, v2
	v_lshlrev_b64 v[6:7], v6, 1
	v_add3_u32 v28, v5, v18, v28
	v_bfe_u32 v5, v8, 20, 1
	v_add_u32_e32 v5, -1, v5
	v_cmp_eq_u64_e32 vcc, v[2:3], v[6:7]
	v_cndmask_b32_e32 v2, 0, v5, vcc
	v_add_u32_e32 v2, v2, v8
	v_and_b32_e32 v2, 0xfffff, v2
	v_add_co_u32_e32 v2, vcc, v2, v8
	v_add_u32_e32 v18, 6, v28
	v_addc_co_u32_e32 v3, vcc, 0, v9, vcc
	v_cmp_ne_u32_e32 vcc, 0, v18
                                        ; implicit-def: $vgpr5
	s_and_saveexec_b64 s[18:19], vcc
	s_xor_b64 s[18:19], exec, s[18:19]
; %bb.2207:                             ;   in Loop: Header=BB6_1927 Depth=2
	v_cmp_lt_u64_e32 vcc, s[44:45], v[2:3]
	v_add_u32_e32 v5, 7, v28
	v_cndmask_b32_e64 v6, 0, 1, vcc
	v_cndmask_b32_e32 v5, v18, v5, vcc
	v_lshrrev_b64 v[2:3], v6, v[2:3]
; %bb.2208:                             ;   in Loop: Header=BB6_1927 Depth=2
	s_andn2_saveexec_b64 s[18:19], s[18:19]
; %bb.2209:                             ;   in Loop: Header=BB6_1927 Depth=2
	v_bfe_u32 v5, v2, 23, 1
; %bb.2210:                             ;   in Loop: Header=BB6_1927 Depth=2
	s_or_b64 exec, exec, s[18:19]
	v_lshrrev_b64 v[2:3], 20, v[2:3]
	v_cmp_gt_i32_e32 vcc, 16, v5
	v_cndmask_b32_e32 v3, 0, v3, vcc
	v_cndmask_b32_e32 v2, 7, v2, vcc
	v_cmp_eq_u64_e64 s[18:19], 0, v[2:3]
	v_min_i32_e32 v3, 15, v5
	v_cmp_eq_u32_e32 vcc, 0, v5
	v_lshlrev_b32_e32 v3, 3, v3
	v_and_or_b32 v2, v2, 7, v3
	s_and_b64 s[18:19], vcc, s[18:19]
	v_cndmask_b32_e64 v2, v2, 0, s[18:19]
	v_or_b32_e32 v40, v2, v4
.LBB6_2211:                             ;   in Loop: Header=BB6_1927 Depth=2
	s_or_b64 exec, exec, s[56:57]
.LBB6_2212:                             ;   in Loop: Header=BB6_1927 Depth=2
	s_or_b64 exec, exec, s[54:55]
                                        ; implicit-def: $vgpr2
.LBB6_2213:                             ;   in Loop: Header=BB6_1927 Depth=2
	s_andn2_saveexec_b64 s[18:19], s[52:53]
; %bb.2214:                             ;   in Loop: Header=BB6_1927 Depth=2
	v_or_b32_sdwa v2, v2, s71 dst_sel:DWORD dst_unused:UNUSED_PAD src0_sel:BYTE_3 src1_sel:DWORD
	v_cmp_eq_u64_e32 vcc, 0, v[52:53]
	v_cndmask_b32_e32 v40, v2, v40, vcc
; %bb.2215:                             ;   in Loop: Header=BB6_1927 Depth=2
	s_or_b64 exec, exec, s[18:19]
	v_mov_b32_e32 v52, v25
	v_cmp_ne_u16_sdwa vcc, v25, v53 src0_sel:BYTE_0 src1_sel:DWORD
	v_mov_b32_e32 v3, 0
	v_mov_b32_e32 v2, 0
	s_and_saveexec_b64 s[18:19], vcc
	s_cbranch_execz .LBB6_2221
; %bb.2216:                             ;   in Loop: Header=BB6_1927 Depth=2
	v_cmp_ne_u16_sdwa vcc, v25, s69 src0_sel:BYTE_0 src1_sel:DWORD
	v_bfrev_b32_e32 v2, 1
	s_and_saveexec_b64 s[52:53], vcc
	s_cbranch_execz .LBB6_2220
; %bb.2217:                             ;   in Loop: Header=BB6_1927 Depth=2
	v_and_b32_e32 v4, 0x7f, v25
	v_cmp_ne_u32_e32 vcc, s71, v4
	v_mov_b32_e32 v2, 0x7f800001
	s_and_saveexec_b64 s[54:55], vcc
	s_cbranch_execz .LBB6_2219
; %bb.2218:                             ;   in Loop: Header=BB6_1927 Depth=2
	v_and_b32_e32 v2, 7, v25
	v_ffbh_u32_e32 v2, v2
	v_min_u32_e32 v2, 32, v2
	v_subrev_u32_e32 v6, 28, v2
	v_cmp_gt_u32_e32 vcc, 8, v4
	v_lshrrev_b32_e32 v5, 3, v4
	v_sub_u32_e32 v2, 29, v2
	v_cndmask_b32_e32 v4, 0, v6, vcc
	v_cndmask_b32_e32 v2, v5, v2, vcc
	v_lshlrev_b64 v[4:5], v4, v[52:53]
	v_lshlrev_b32_e32 v4, 20, v4
	v_lshlrev_b32_e32 v5, 24, v52
	v_and_b32_e32 v4, 0x700000, v4
	v_and_b32_e32 v5, 0x80000000, v5
	v_lshl_add_u32 v2, v2, 23, v29
	v_or3_b32 v2, v5, v2, v4
.LBB6_2219:                             ;   in Loop: Header=BB6_1927 Depth=2
	s_or_b64 exec, exec, s[54:55]
.LBB6_2220:                             ;   in Loop: Header=BB6_1927 Depth=2
	s_or_b64 exec, exec, s[52:53]
.LBB6_2221:                             ;   in Loop: Header=BB6_1927 Depth=2
	s_or_b64 exec, exec, s[18:19]
	v_cmp_ne_u16_sdwa vcc, v21, v53 src0_sel:BYTE_0 src1_sel:DWORD
	s_and_saveexec_b64 s[18:19], vcc
	s_cbranch_execz .LBB6_2227
; %bb.2222:                             ;   in Loop: Header=BB6_1927 Depth=2
	v_cmp_ne_u16_sdwa vcc, v21, s69 src0_sel:BYTE_0 src1_sel:DWORD
	v_bfrev_b32_e32 v3, 1
	s_and_saveexec_b64 s[52:53], vcc
	s_cbranch_execz .LBB6_2226
; %bb.2223:                             ;   in Loop: Header=BB6_1927 Depth=2
	v_and_b32_e32 v4, 0x7f, v21
	v_cmp_ne_u32_e32 vcc, s71, v4
	v_mov_b32_e32 v3, 0x7f800001
	s_and_saveexec_b64 s[54:55], vcc
	s_cbranch_execz .LBB6_2225
; %bb.2224:                             ;   in Loop: Header=BB6_1927 Depth=2
	v_and_b32_e32 v3, 7, v21
	v_ffbh_u32_e32 v3, v3
	v_min_u32_e32 v3, 32, v3
	v_subrev_u32_e32 v8, 28, v3
	v_cmp_gt_u32_e32 vcc, 8, v4
	v_mov_b32_e32 v6, v21
	v_mov_b32_e32 v7, v53
	v_lshrrev_b32_e32 v5, 3, v4
	v_sub_u32_e32 v3, 29, v3
	v_cndmask_b32_e32 v4, 0, v8, vcc
	v_cndmask_b32_e32 v3, v5, v3, vcc
	v_lshlrev_b64 v[4:5], v4, v[6:7]
	v_lshlrev_b32_e32 v4, 20, v4
	v_lshlrev_b32_e32 v5, 24, v6
	v_and_b32_e32 v4, 0x700000, v4
	v_and_b32_e32 v5, 0x80000000, v5
	v_lshl_add_u32 v3, v3, 23, v29
	v_or3_b32 v3, v5, v3, v4
.LBB6_2225:                             ;   in Loop: Header=BB6_1927 Depth=2
	s_or_b64 exec, exec, s[54:55]
.LBB6_2226:                             ;   in Loop: Header=BB6_1927 Depth=2
	s_or_b64 exec, exec, s[52:53]
.LBB6_2227:                             ;   in Loop: Header=BB6_1927 Depth=2
	s_or_b64 exec, exec, s[18:19]
	v_add_f32_e32 v5, v2, v3
	v_and_b32_sdwa v4, v5, s69 dst_sel:DWORD dst_unused:UNUSED_PAD src0_sel:BYTE_3 src1_sel:DWORD
	v_and_b32_e32 v6, 0x7f800000, v5
	v_mov_b32_e32 v7, v53
	v_and_b32_e32 v2, 0x7fffff, v5
	v_mov_b32_e32 v3, v53
	v_or_b32_e32 v50, 0x7e, v4
	v_cmp_ne_u64_e32 vcc, s[38:39], v[6:7]
	s_and_saveexec_b64 s[18:19], vcc
	s_xor_b64 s[52:53], exec, s[18:19]
	s_cbranch_execz .LBB6_2237
; %bb.2228:                             ;   in Loop: Header=BB6_1927 Depth=2
	v_and_b32_e32 v6, 0x7fffffff, v5
	v_mov_b32_e32 v7, v53
	v_cmp_gt_u64_e32 vcc, s[40:41], v[6:7]
	s_and_saveexec_b64 s[54:55], vcc
	s_cbranch_execz .LBB6_2236
; %bb.2229:                             ;   in Loop: Header=BB6_1927 Depth=2
	v_cmp_ne_u32_e32 vcc, 0, v5
	v_mov_b32_e32 v50, 0
	s_and_saveexec_b64 s[56:57], vcc
	s_cbranch_execz .LBB6_2235
; %bb.2230:                             ;   in Loop: Header=BB6_1927 Depth=2
	v_bfe_u32 v5, v5, 23, 8
	v_sub_u32_e32 v7, 0x79, v5
	v_cmp_gt_u32_e32 vcc, s72, v5
	v_cndmask_b32_e32 v7, 0, v7, vcc
	v_cmp_eq_u32_e32 vcc, 0, v5
	v_add_u32_e32 v6, 0xffffff81, v5
	v_cndmask_b32_e32 v18, v7, v38, vcc
	v_cndmask_b32_e32 v5, v6, v33, vcc
	v_add_u32_e32 v6, 20, v18
	v_or_b32_e32 v8, 0x800000, v2
	v_lshlrev_b64 v[6:7], v6, -1
	v_cndmask_b32_e32 v2, v8, v2, vcc
	v_not_b32_e32 v6, v6
	v_and_b32_e32 v6, v2, v6
	v_lshrrev_b64 v[2:3], v18, v[2:3]
	v_not_b32_e32 v7, v7
	v_add_u32_e32 v8, 19, v18
	v_lshrrev_b32_e32 v28, 23, v2
	v_and_b32_e32 v7, 0, v7
	v_lshlrev_b64 v[8:9], v8, 1
	v_add3_u32 v28, v18, v5, v28
	v_bfe_u32 v5, v2, 20, 1
	v_add_u32_e32 v5, -1, v5
	v_cmp_eq_u64_e32 vcc, v[6:7], v[8:9]
	v_cndmask_b32_e32 v5, 0, v5, vcc
	v_add_u32_e32 v5, v5, v2
	v_and_b32_e32 v5, 0xfffff, v5
	v_add_co_u32_e32 v2, vcc, v5, v2
	v_add_u32_e32 v18, 6, v28
	v_addc_co_u32_e32 v3, vcc, 0, v3, vcc
	v_cmp_ne_u32_e32 vcc, 0, v18
                                        ; implicit-def: $vgpr5
	s_and_saveexec_b64 s[18:19], vcc
	s_xor_b64 s[18:19], exec, s[18:19]
; %bb.2231:                             ;   in Loop: Header=BB6_1927 Depth=2
	v_cmp_lt_u64_e32 vcc, s[44:45], v[2:3]
	v_add_u32_e32 v5, 7, v28
	v_cndmask_b32_e64 v6, 0, 1, vcc
	v_cndmask_b32_e32 v5, v18, v5, vcc
	v_lshrrev_b64 v[2:3], v6, v[2:3]
; %bb.2232:                             ;   in Loop: Header=BB6_1927 Depth=2
	s_andn2_saveexec_b64 s[18:19], s[18:19]
; %bb.2233:                             ;   in Loop: Header=BB6_1927 Depth=2
	v_bfe_u32 v5, v2, 23, 1
; %bb.2234:                             ;   in Loop: Header=BB6_1927 Depth=2
	s_or_b64 exec, exec, s[18:19]
	v_lshrrev_b64 v[2:3], 20, v[2:3]
	v_cmp_gt_i32_e32 vcc, 16, v5
	v_cndmask_b32_e32 v3, 0, v3, vcc
	v_cndmask_b32_e32 v2, 7, v2, vcc
	v_cmp_eq_u64_e64 s[18:19], 0, v[2:3]
	v_min_i32_e32 v3, 15, v5
	v_cmp_eq_u32_e32 vcc, 0, v5
	v_lshlrev_b32_e32 v3, 3, v3
	v_and_or_b32 v2, v2, 7, v3
	s_and_b64 s[18:19], vcc, s[18:19]
	v_cndmask_b32_e64 v2, v2, 0, s[18:19]
	v_or_b32_e32 v50, v2, v4
.LBB6_2235:                             ;   in Loop: Header=BB6_1927 Depth=2
	s_or_b64 exec, exec, s[56:57]
.LBB6_2236:                             ;   in Loop: Header=BB6_1927 Depth=2
	s_or_b64 exec, exec, s[54:55]
                                        ; implicit-def: $vgpr5
                                        ; implicit-def: $vgpr2_vgpr3
.LBB6_2237:                             ;   in Loop: Header=BB6_1927 Depth=2
	s_andn2_saveexec_b64 s[18:19], s[52:53]
; %bb.2238:                             ;   in Loop: Header=BB6_1927 Depth=2
	v_or_b32_sdwa v4, v5, s71 dst_sel:DWORD dst_unused:UNUSED_PAD src0_sel:BYTE_3 src1_sel:DWORD
	v_cmp_eq_u64_e32 vcc, 0, v[2:3]
	v_cndmask_b32_e32 v50, v4, v50, vcc
; %bb.2239:                             ;   in Loop: Header=BB6_1927 Depth=2
	s_or_b64 exec, exec, s[18:19]
	v_lshrrev_b16_e32 v2, 8, v52
	v_cmp_ne_u16_e32 vcc, 0, v2
	v_mov_b32_e32 v3, 0
	v_mov_b32_e32 v4, 0
	s_and_saveexec_b64 s[18:19], vcc
	s_cbranch_execz .LBB6_2245
; %bb.2240:                             ;   in Loop: Header=BB6_1927 Depth=2
	v_cmp_ne_u16_e32 vcc, s69, v2
	v_bfrev_b32_e32 v4, 1
	s_and_saveexec_b64 s[52:53], vcc
	s_cbranch_execz .LBB6_2244
; %bb.2241:                             ;   in Loop: Header=BB6_1927 Depth=2
	v_and_b32_e32 v5, 0x7f, v2
	v_cmp_ne_u32_e32 vcc, s71, v5
	v_mov_b32_e32 v4, 0x7f800001
	s_and_saveexec_b64 s[54:55], vcc
	s_cbranch_execz .LBB6_2243
; %bb.2242:                             ;   in Loop: Header=BB6_1927 Depth=2
	v_and_b32_e32 v4, 7, v2
	v_ffbh_u32_e32 v6, v4
	v_min_u32_e32 v9, 32, v6
	v_subrev_u32_e32 v6, 28, v9
	v_lshlrev_b64 v[6:7], v6, v[2:3]
	v_lshrrev_b32_e32 v8, 3, v5
	v_sub_u32_e32 v2, 29, v9
	v_and_b32_e32 v6, 7, v6
	v_cmp_gt_u32_e32 vcc, 8, v5
	v_cndmask_b32_e32 v2, v8, v2, vcc
	v_cndmask_b32_e32 v4, v4, v6, vcc
	v_lshlrev_b32_e32 v5, 16, v52
	v_lshlrev_b32_e32 v4, 20, v4
	v_and_b32_e32 v5, 0x80000000, v5
	v_lshl_add_u32 v2, v2, 23, v29
	v_or3_b32 v4, v5, v2, v4
.LBB6_2243:                             ;   in Loop: Header=BB6_1927 Depth=2
	s_or_b64 exec, exec, s[54:55]
.LBB6_2244:                             ;   in Loop: Header=BB6_1927 Depth=2
	s_or_b64 exec, exec, s[52:53]
.LBB6_2245:                             ;   in Loop: Header=BB6_1927 Depth=2
	s_or_b64 exec, exec, s[18:19]
	v_mov_b32_e32 v2, v21
	v_lshrrev_b16_e32 v18, 8, v2
	v_cmp_ne_u16_e32 vcc, 0, v18
	s_and_saveexec_b64 s[18:19], vcc
	s_cbranch_execz .LBB6_2251
; %bb.2246:                             ;   in Loop: Header=BB6_1927 Depth=2
	v_cmp_ne_u16_e32 vcc, s69, v18
	v_bfrev_b32_e32 v3, 1
	s_and_saveexec_b64 s[52:53], vcc
	s_cbranch_execz .LBB6_2250
; %bb.2247:                             ;   in Loop: Header=BB6_1927 Depth=2
	v_and_b32_e32 v5, 0x7f, v18
	v_cmp_ne_u32_e32 vcc, s71, v5
	v_mov_b32_e32 v3, 0x7f800001
	s_and_saveexec_b64 s[54:55], vcc
	s_cbranch_execz .LBB6_2249
; %bb.2248:                             ;   in Loop: Header=BB6_1927 Depth=2
	v_and_b32_e32 v3, 7, v18
	v_ffbh_u32_e32 v6, v3
	v_min_u32_e32 v9, 32, v6
	v_subrev_u32_e32 v6, 28, v9
	v_lshlrev_b64 v[6:7], v6, v[18:19]
	v_lshrrev_b32_e32 v8, 3, v5
	v_sub_u32_e32 v7, 29, v9
	v_and_b32_e32 v6, 7, v6
	v_cmp_gt_u32_e32 vcc, 8, v5
	v_cndmask_b32_e32 v5, v8, v7, vcc
	v_cndmask_b32_e32 v3, v3, v6, vcc
	v_lshlrev_b32_e32 v2, 16, v2
	v_lshlrev_b32_e32 v3, 20, v3
	v_and_b32_e32 v2, 0x80000000, v2
	v_lshl_add_u32 v5, v5, 23, v29
	v_or3_b32 v3, v2, v5, v3
.LBB6_2249:                             ;   in Loop: Header=BB6_1927 Depth=2
	s_or_b64 exec, exec, s[54:55]
.LBB6_2250:                             ;   in Loop: Header=BB6_1927 Depth=2
	s_or_b64 exec, exec, s[52:53]
.LBB6_2251:                             ;   in Loop: Header=BB6_1927 Depth=2
	s_or_b64 exec, exec, s[18:19]
	v_add_f32_e32 v2, v4, v3
	v_and_b32_sdwa v4, v2, s69 dst_sel:DWORD dst_unused:UNUSED_PAD src0_sel:BYTE_3 src1_sel:DWORD
	v_and_b32_e32 v6, 0x7f800000, v2
	v_mov_b32_e32 v7, v53
	v_and_b32_e32 v52, 0x7fffff, v2
	v_or_b32_e32 v44, 0x7e, v4
	v_cmp_ne_u64_e32 vcc, s[38:39], v[6:7]
	s_and_saveexec_b64 s[18:19], vcc
	s_xor_b64 s[52:53], exec, s[18:19]
	s_cbranch_execz .LBB6_2261
; %bb.2252:                             ;   in Loop: Header=BB6_1927 Depth=2
	v_and_b32_e32 v6, 0x7fffffff, v2
	v_mov_b32_e32 v7, v53
	v_cmp_gt_u64_e32 vcc, s[40:41], v[6:7]
	s_and_saveexec_b64 s[54:55], vcc
	s_cbranch_execz .LBB6_2260
; %bb.2253:                             ;   in Loop: Header=BB6_1927 Depth=2
	v_cmp_ne_u32_e32 vcc, 0, v2
	v_mov_b32_e32 v44, 0
	s_and_saveexec_b64 s[56:57], vcc
	s_cbranch_execz .LBB6_2259
; %bb.2254:                             ;   in Loop: Header=BB6_1927 Depth=2
	v_bfe_u32 v2, v2, 23, 8
	v_sub_u32_e32 v5, 0x79, v2
	v_cmp_gt_u32_e32 vcc, s72, v2
	v_cndmask_b32_e32 v5, 0, v5, vcc
	v_cmp_eq_u32_e32 vcc, 0, v2
	v_or_b32_e32 v6, 0x800000, v52
	v_cndmask_b32_e32 v5, v5, v38, vcc
	v_add_u32_e32 v3, 0xffffff81, v2
	v_cndmask_b32_e32 v52, v6, v52, vcc
	v_add_u32_e32 v2, 20, v5
	v_cndmask_b32_e32 v18, v3, v33, vcc
	v_lshlrev_b64 v[2:3], v2, -1
	v_lshrrev_b64 v[8:9], v5, v[52:53]
	v_not_b32_e32 v3, v3
	v_not_b32_e32 v2, v2
	v_add_u32_e32 v6, 19, v5
	v_lshrrev_b32_e32 v28, 23, v8
	v_and_b32_e32 v3, 0, v3
	v_and_b32_e32 v2, v52, v2
	v_lshlrev_b64 v[6:7], v6, 1
	v_add3_u32 v28, v5, v18, v28
	v_bfe_u32 v5, v8, 20, 1
	v_add_u32_e32 v5, -1, v5
	v_cmp_eq_u64_e32 vcc, v[2:3], v[6:7]
	v_cndmask_b32_e32 v2, 0, v5, vcc
	v_add_u32_e32 v2, v2, v8
	v_and_b32_e32 v2, 0xfffff, v2
	v_add_co_u32_e32 v2, vcc, v2, v8
	v_add_u32_e32 v18, 6, v28
	v_addc_co_u32_e32 v3, vcc, 0, v9, vcc
	v_cmp_ne_u32_e32 vcc, 0, v18
                                        ; implicit-def: $vgpr5
	s_and_saveexec_b64 s[18:19], vcc
	s_xor_b64 s[18:19], exec, s[18:19]
; %bb.2255:                             ;   in Loop: Header=BB6_1927 Depth=2
	v_cmp_lt_u64_e32 vcc, s[44:45], v[2:3]
	v_add_u32_e32 v5, 7, v28
	v_cndmask_b32_e64 v6, 0, 1, vcc
	v_cndmask_b32_e32 v5, v18, v5, vcc
	v_lshrrev_b64 v[2:3], v6, v[2:3]
; %bb.2256:                             ;   in Loop: Header=BB6_1927 Depth=2
	s_andn2_saveexec_b64 s[18:19], s[18:19]
; %bb.2257:                             ;   in Loop: Header=BB6_1927 Depth=2
	v_bfe_u32 v5, v2, 23, 1
; %bb.2258:                             ;   in Loop: Header=BB6_1927 Depth=2
	s_or_b64 exec, exec, s[18:19]
	v_lshrrev_b64 v[2:3], 20, v[2:3]
	v_cmp_gt_i32_e32 vcc, 16, v5
	v_cndmask_b32_e32 v3, 0, v3, vcc
	v_cndmask_b32_e32 v2, 7, v2, vcc
	v_cmp_eq_u64_e64 s[18:19], 0, v[2:3]
	v_min_i32_e32 v3, 15, v5
	v_cmp_eq_u32_e32 vcc, 0, v5
	v_lshlrev_b32_e32 v3, 3, v3
	v_and_or_b32 v2, v2, 7, v3
	s_and_b64 s[18:19], vcc, s[18:19]
	v_cndmask_b32_e64 v2, v2, 0, s[18:19]
	v_or_b32_e32 v44, v2, v4
.LBB6_2259:                             ;   in Loop: Header=BB6_1927 Depth=2
	s_or_b64 exec, exec, s[56:57]
.LBB6_2260:                             ;   in Loop: Header=BB6_1927 Depth=2
	s_or_b64 exec, exec, s[54:55]
                                        ; implicit-def: $vgpr2
.LBB6_2261:                             ;   in Loop: Header=BB6_1927 Depth=2
	s_andn2_saveexec_b64 s[18:19], s[52:53]
; %bb.2262:                             ;   in Loop: Header=BB6_1927 Depth=2
	v_or_b32_sdwa v2, v2, s71 dst_sel:DWORD dst_unused:UNUSED_PAD src0_sel:BYTE_3 src1_sel:DWORD
	v_cmp_eq_u64_e32 vcc, 0, v[52:53]
	v_cndmask_b32_e32 v44, v2, v44, vcc
; %bb.2263:                             ;   in Loop: Header=BB6_1927 Depth=2
	s_or_b64 exec, exec, s[18:19]
	v_lshrrev_b32_e32 v2, 16, v25
	v_cmp_ne_u16_sdwa vcc, v2, v53 src0_sel:BYTE_0 src1_sel:DWORD
	v_mov_b32_e32 v3, 0
	v_mov_b32_e32 v4, 0
	s_and_saveexec_b64 s[18:19], vcc
	s_cbranch_execz .LBB6_2269
; %bb.2264:                             ;   in Loop: Header=BB6_1927 Depth=2
	v_cmp_ne_u16_sdwa vcc, v2, s69 src0_sel:BYTE_0 src1_sel:DWORD
	v_bfrev_b32_e32 v4, 1
	s_and_saveexec_b64 s[52:53], vcc
	s_cbranch_execz .LBB6_2268
; %bb.2265:                             ;   in Loop: Header=BB6_1927 Depth=2
	v_bfe_u32 v5, v25, 16, 7
	v_cmp_ne_u32_e32 vcc, s71, v5
	v_mov_b32_e32 v4, 0x7f800001
	s_and_saveexec_b64 s[54:55], vcc
	s_cbranch_execz .LBB6_2267
; %bb.2266:                             ;   in Loop: Header=BB6_1927 Depth=2
	v_and_b32_e32 v4, 7, v2
	v_ffbh_u32_e32 v6, v4
	v_min_u32_e32 v9, 32, v6
	v_subrev_u32_e32 v6, 28, v9
	v_lshlrev_b64 v[6:7], v6, v[2:3]
	v_lshrrev_b32_e32 v8, 3, v5
	v_sub_u32_e32 v7, 29, v9
	v_and_b32_e32 v6, 7, v6
	v_cmp_gt_u32_e32 vcc, 8, v5
	v_cndmask_b32_e32 v5, v8, v7, vcc
	v_cndmask_b32_e32 v4, v4, v6, vcc
	v_lshlrev_b32_e32 v2, 24, v2
	v_lshlrev_b32_e32 v4, 20, v4
	v_and_b32_e32 v2, 0x80000000, v2
	v_lshl_add_u32 v5, v5, 23, v29
	v_or3_b32 v4, v2, v5, v4
.LBB6_2267:                             ;   in Loop: Header=BB6_1927 Depth=2
	s_or_b64 exec, exec, s[54:55]
.LBB6_2268:                             ;   in Loop: Header=BB6_1927 Depth=2
	s_or_b64 exec, exec, s[52:53]
.LBB6_2269:                             ;   in Loop: Header=BB6_1927 Depth=2
	s_or_b64 exec, exec, s[18:19]
	v_lshrrev_b32_e32 v2, 16, v21
	v_cmp_ne_u16_sdwa vcc, v2, v53 src0_sel:BYTE_0 src1_sel:DWORD
	s_and_saveexec_b64 s[18:19], vcc
	s_cbranch_execz .LBB6_2275
; %bb.2270:                             ;   in Loop: Header=BB6_1927 Depth=2
	v_cmp_ne_u16_sdwa vcc, v2, s69 src0_sel:BYTE_0 src1_sel:DWORD
	v_bfrev_b32_e32 v3, 1
	s_and_saveexec_b64 s[52:53], vcc
	s_cbranch_execz .LBB6_2274
; %bb.2271:                             ;   in Loop: Header=BB6_1927 Depth=2
	v_bfe_u32 v5, v21, 16, 7
	v_cmp_ne_u32_e32 vcc, s71, v5
	v_mov_b32_e32 v3, 0x7f800001
	s_and_saveexec_b64 s[54:55], vcc
	s_cbranch_execz .LBB6_2273
; %bb.2272:                             ;   in Loop: Header=BB6_1927 Depth=2
	v_and_b32_e32 v6, 7, v2
	v_ffbh_u32_e32 v3, v6
	v_min_u32_e32 v8, 32, v3
	v_subrev_u32_e32 v3, 28, v8
	v_lshlrev_b64 v[2:3], v3, v[2:3]
	v_lshrrev_b32_e32 v7, 3, v5
	v_sub_u32_e32 v3, 29, v8
	v_and_b32_e32 v2, 7, v2
	v_cmp_gt_u32_e32 vcc, 8, v5
	v_cndmask_b32_e32 v3, v7, v3, vcc
	v_cndmask_b32_e32 v2, v6, v2, vcc
	v_lshlrev_b32_e32 v5, 8, v21
	v_lshlrev_b32_e32 v2, 20, v2
	v_and_b32_e32 v5, 0x80000000, v5
	v_lshl_add_u32 v3, v3, 23, v29
	v_or3_b32 v3, v5, v3, v2
.LBB6_2273:                             ;   in Loop: Header=BB6_1927 Depth=2
	s_or_b64 exec, exec, s[54:55]
.LBB6_2274:                             ;   in Loop: Header=BB6_1927 Depth=2
	s_or_b64 exec, exec, s[52:53]
.LBB6_2275:                             ;   in Loop: Header=BB6_1927 Depth=2
	s_or_b64 exec, exec, s[18:19]
	v_add_f32_e32 v2, v4, v3
	v_and_b32_sdwa v4, v2, s69 dst_sel:DWORD dst_unused:UNUSED_PAD src0_sel:BYTE_3 src1_sel:DWORD
	v_and_b32_e32 v6, 0x7f800000, v2
	v_mov_b32_e32 v7, v53
	v_and_b32_e32 v52, 0x7fffff, v2
	v_or_b32_e32 v28, 0x7e, v4
	v_cmp_ne_u64_e32 vcc, s[38:39], v[6:7]
	s_and_saveexec_b64 s[18:19], vcc
	s_xor_b64 s[52:53], exec, s[18:19]
	s_cbranch_execz .LBB6_2285
; %bb.2276:                             ;   in Loop: Header=BB6_1927 Depth=2
	v_and_b32_e32 v6, 0x7fffffff, v2
	v_mov_b32_e32 v7, v53
	v_cmp_gt_u64_e32 vcc, s[40:41], v[6:7]
	s_and_saveexec_b64 s[54:55], vcc
	s_cbranch_execz .LBB6_2284
; %bb.2277:                             ;   in Loop: Header=BB6_1927 Depth=2
	v_cmp_ne_u32_e32 vcc, 0, v2
	v_mov_b32_e32 v28, 0
	s_and_saveexec_b64 s[56:57], vcc
	s_cbranch_execz .LBB6_2283
; %bb.2278:                             ;   in Loop: Header=BB6_1927 Depth=2
	v_bfe_u32 v2, v2, 23, 8
	v_sub_u32_e32 v5, 0x79, v2
	v_cmp_gt_u32_e32 vcc, s72, v2
	v_cndmask_b32_e32 v5, 0, v5, vcc
	v_cmp_eq_u32_e32 vcc, 0, v2
	v_or_b32_e32 v6, 0x800000, v52
	v_cndmask_b32_e32 v5, v5, v38, vcc
	v_add_u32_e32 v3, 0xffffff81, v2
	v_cndmask_b32_e32 v52, v6, v52, vcc
	v_add_u32_e32 v2, 20, v5
	v_cndmask_b32_e32 v18, v3, v33, vcc
	v_lshlrev_b64 v[2:3], v2, -1
	v_lshrrev_b64 v[8:9], v5, v[52:53]
	v_not_b32_e32 v3, v3
	v_not_b32_e32 v2, v2
	v_add_u32_e32 v6, 19, v5
	v_lshrrev_b32_e32 v28, 23, v8
	v_and_b32_e32 v3, 0, v3
	v_and_b32_e32 v2, v52, v2
	v_lshlrev_b64 v[6:7], v6, 1
	v_add3_u32 v28, v5, v18, v28
	v_bfe_u32 v5, v8, 20, 1
	v_add_u32_e32 v5, -1, v5
	v_cmp_eq_u64_e32 vcc, v[2:3], v[6:7]
	v_cndmask_b32_e32 v2, 0, v5, vcc
	v_add_u32_e32 v2, v2, v8
	v_and_b32_e32 v2, 0xfffff, v2
	v_add_co_u32_e32 v2, vcc, v2, v8
	v_add_u32_e32 v18, 6, v28
	v_addc_co_u32_e32 v3, vcc, 0, v9, vcc
	v_cmp_ne_u32_e32 vcc, 0, v18
                                        ; implicit-def: $vgpr5
	s_and_saveexec_b64 s[18:19], vcc
	s_xor_b64 s[18:19], exec, s[18:19]
; %bb.2279:                             ;   in Loop: Header=BB6_1927 Depth=2
	v_cmp_lt_u64_e32 vcc, s[44:45], v[2:3]
	v_add_u32_e32 v5, 7, v28
	v_cndmask_b32_e64 v6, 0, 1, vcc
	v_cndmask_b32_e32 v5, v18, v5, vcc
	v_lshrrev_b64 v[2:3], v6, v[2:3]
; %bb.2280:                             ;   in Loop: Header=BB6_1927 Depth=2
	s_andn2_saveexec_b64 s[18:19], s[18:19]
; %bb.2281:                             ;   in Loop: Header=BB6_1927 Depth=2
	v_bfe_u32 v5, v2, 23, 1
; %bb.2282:                             ;   in Loop: Header=BB6_1927 Depth=2
	s_or_b64 exec, exec, s[18:19]
	v_lshrrev_b64 v[2:3], 20, v[2:3]
	v_cmp_gt_i32_e32 vcc, 16, v5
	v_cndmask_b32_e32 v3, 0, v3, vcc
	v_cndmask_b32_e32 v2, 7, v2, vcc
	v_cmp_eq_u64_e64 s[18:19], 0, v[2:3]
	v_min_i32_e32 v3, 15, v5
	v_lshlrev_b32_e32 v3, 3, v3
	v_cmp_eq_u32_e32 vcc, 0, v5
	v_and_b32_e32 v3, 0xf8, v3
	v_and_or_b32 v2, v2, 7, v3
	s_and_b64 s[18:19], vcc, s[18:19]
	v_cndmask_b32_e64 v2, v2, 0, s[18:19]
	v_or_b32_e32 v28, v2, v4
.LBB6_2283:                             ;   in Loop: Header=BB6_1927 Depth=2
	s_or_b64 exec, exec, s[56:57]
.LBB6_2284:                             ;   in Loop: Header=BB6_1927 Depth=2
	s_or_b64 exec, exec, s[54:55]
                                        ; implicit-def: $vgpr2
.LBB6_2285:                             ;   in Loop: Header=BB6_1927 Depth=2
	s_andn2_saveexec_b64 s[18:19], s[52:53]
; %bb.2286:                             ;   in Loop: Header=BB6_1927 Depth=2
	v_or_b32_sdwa v2, v2, s71 dst_sel:DWORD dst_unused:UNUSED_PAD src0_sel:BYTE_3 src1_sel:DWORD
	v_cmp_eq_u64_e32 vcc, 0, v[52:53]
	v_cndmask_b32_e32 v28, v2, v28, vcc
; %bb.2287:                             ;   in Loop: Header=BB6_1927 Depth=2
	s_or_b64 exec, exec, s[18:19]
	v_cmp_lt_u64_e32 vcc, s[42:43], v[24:25]
	v_mov_b32_e32 v3, 0
	v_mov_b32_e32 v4, 0
	s_and_saveexec_b64 s[18:19], vcc
	s_cbranch_execz .LBB6_2293
; %bb.2288:                             ;   in Loop: Header=BB6_1927 Depth=2
	v_lshrrev_b32_e32 v2, 24, v25
	v_cmp_ne_u32_e32 vcc, s69, v2
	v_bfrev_b32_e32 v4, 1
	s_and_saveexec_b64 s[52:53], vcc
	s_cbranch_execz .LBB6_2292
; %bb.2289:                             ;   in Loop: Header=BB6_1927 Depth=2
	v_bfe_u32 v5, v25, 24, 7
	v_cmp_ne_u32_e32 vcc, s71, v5
	v_mov_b32_e32 v4, 0x7f800001
	s_and_saveexec_b64 s[54:55], vcc
	s_cbranch_execz .LBB6_2291
; %bb.2290:                             ;   in Loop: Header=BB6_1927 Depth=2
	v_and_b32_e32 v4, 7, v2
	v_ffbh_u32_e32 v6, v4
	v_min_u32_e32 v9, 32, v6
	v_subrev_u32_e32 v6, 28, v9
	v_lshlrev_b64 v[6:7], v6, v[2:3]
	v_lshrrev_b32_e32 v8, 3, v5
	v_sub_u32_e32 v7, 29, v9
	v_and_b32_e32 v6, 7, v6
	v_cmp_gt_u32_e32 vcc, 8, v5
	v_cndmask_b32_e32 v5, v8, v7, vcc
	v_cndmask_b32_e32 v4, v4, v6, vcc
	v_lshlrev_b32_e32 v2, 24, v2
	v_lshlrev_b32_e32 v4, 20, v4
	v_and_b32_e32 v2, 0x80000000, v2
	v_lshl_add_u32 v5, v5, 23, v29
	v_or3_b32 v4, v2, v5, v4
.LBB6_2291:                             ;   in Loop: Header=BB6_1927 Depth=2
	s_or_b64 exec, exec, s[54:55]
.LBB6_2292:                             ;   in Loop: Header=BB6_1927 Depth=2
	s_or_b64 exec, exec, s[52:53]
.LBB6_2293:                             ;   in Loop: Header=BB6_1927 Depth=2
	s_or_b64 exec, exec, s[18:19]
	v_cmp_lt_u64_e32 vcc, s[42:43], v[20:21]
	s_and_saveexec_b64 s[18:19], vcc
	s_cbranch_execz .LBB6_2299
; %bb.2294:                             ;   in Loop: Header=BB6_1927 Depth=2
	v_lshrrev_b32_e32 v2, 24, v21
	v_cmp_ne_u32_e32 vcc, s69, v2
	v_bfrev_b32_e32 v3, 1
	s_and_saveexec_b64 s[52:53], vcc
	s_cbranch_execz .LBB6_2298
; %bb.2295:                             ;   in Loop: Header=BB6_1927 Depth=2
	v_bfe_u32 v5, v21, 24, 7
	v_cmp_ne_u32_e32 vcc, s71, v5
	v_mov_b32_e32 v3, 0x7f800001
	s_and_saveexec_b64 s[54:55], vcc
	s_cbranch_execz .LBB6_2297
; %bb.2296:                             ;   in Loop: Header=BB6_1927 Depth=2
	v_and_b32_e32 v3, 7, v2
	v_ffbh_u32_e32 v6, v3
	v_min_u32_e32 v9, 32, v6
	v_subrev_u32_e32 v6, 28, v9
	v_lshlrev_b64 v[6:7], v6, v[2:3]
	v_lshrrev_b32_e32 v8, 3, v5
	v_sub_u32_e32 v7, 29, v9
	v_and_b32_e32 v6, 7, v6
	v_cmp_gt_u32_e32 vcc, 8, v5
	v_cndmask_b32_e32 v5, v8, v7, vcc
	v_cndmask_b32_e32 v3, v3, v6, vcc
	v_lshlrev_b32_e32 v2, 24, v2
	v_lshlrev_b32_e32 v3, 20, v3
	v_and_b32_e32 v2, 0x80000000, v2
	v_lshl_add_u32 v5, v5, 23, v29
	v_or3_b32 v3, v2, v5, v3
.LBB6_2297:                             ;   in Loop: Header=BB6_1927 Depth=2
	s_or_b64 exec, exec, s[54:55]
.LBB6_2298:                             ;   in Loop: Header=BB6_1927 Depth=2
	s_or_b64 exec, exec, s[52:53]
.LBB6_2299:                             ;   in Loop: Header=BB6_1927 Depth=2
	s_or_b64 exec, exec, s[18:19]
	v_add_f32_e32 v2, v4, v3
	v_and_b32_sdwa v4, v2, s69 dst_sel:DWORD dst_unused:UNUSED_PAD src0_sel:BYTE_3 src1_sel:DWORD
	v_and_b32_e32 v6, 0x7f800000, v2
	v_mov_b32_e32 v7, v53
	v_and_b32_e32 v52, 0x7fffff, v2
	v_or_b32_e32 v20, 0x7e, v4
	v_cmp_ne_u64_e32 vcc, s[38:39], v[6:7]
	s_and_saveexec_b64 s[18:19], vcc
	s_xor_b64 s[52:53], exec, s[18:19]
	s_cbranch_execz .LBB6_2309
; %bb.2300:                             ;   in Loop: Header=BB6_1927 Depth=2
	v_and_b32_e32 v6, 0x7fffffff, v2
	v_mov_b32_e32 v7, v53
	v_cmp_gt_u64_e32 vcc, s[40:41], v[6:7]
	s_and_saveexec_b64 s[54:55], vcc
	s_cbranch_execz .LBB6_2308
; %bb.2301:                             ;   in Loop: Header=BB6_1927 Depth=2
	v_cmp_ne_u32_e32 vcc, 0, v2
	v_mov_b32_e32 v20, 0
	s_and_saveexec_b64 s[56:57], vcc
	s_cbranch_execz .LBB6_2307
; %bb.2302:                             ;   in Loop: Header=BB6_1927 Depth=2
	v_bfe_u32 v2, v2, 23, 8
	v_sub_u32_e32 v5, 0x79, v2
	v_cmp_gt_u32_e32 vcc, s72, v2
	v_cndmask_b32_e32 v5, 0, v5, vcc
	v_cmp_eq_u32_e32 vcc, 0, v2
	v_or_b32_e32 v6, 0x800000, v52
	v_cndmask_b32_e32 v5, v5, v38, vcc
	v_add_u32_e32 v3, 0xffffff81, v2
	v_cndmask_b32_e32 v52, v6, v52, vcc
	v_add_u32_e32 v2, 20, v5
	v_cndmask_b32_e32 v18, v3, v33, vcc
	v_lshlrev_b64 v[2:3], v2, -1
	v_lshrrev_b64 v[8:9], v5, v[52:53]
	v_not_b32_e32 v3, v3
	v_not_b32_e32 v2, v2
	v_add_u32_e32 v6, 19, v5
	v_lshrrev_b32_e32 v20, 23, v8
	v_and_b32_e32 v3, 0, v3
	v_and_b32_e32 v2, v52, v2
	v_lshlrev_b64 v[6:7], v6, 1
	v_add3_u32 v20, v5, v18, v20
	v_bfe_u32 v5, v8, 20, 1
	v_add_u32_e32 v5, -1, v5
	v_cmp_eq_u64_e32 vcc, v[2:3], v[6:7]
	v_cndmask_b32_e32 v2, 0, v5, vcc
	v_add_u32_e32 v2, v2, v8
	v_and_b32_e32 v2, 0xfffff, v2
	v_add_co_u32_e32 v2, vcc, v2, v8
	v_add_u32_e32 v18, 6, v20
	v_addc_co_u32_e32 v3, vcc, 0, v9, vcc
	v_cmp_ne_u32_e32 vcc, 0, v18
                                        ; implicit-def: $vgpr5
	s_and_saveexec_b64 s[18:19], vcc
	s_xor_b64 s[18:19], exec, s[18:19]
; %bb.2303:                             ;   in Loop: Header=BB6_1927 Depth=2
	v_cmp_lt_u64_e32 vcc, s[44:45], v[2:3]
	v_add_u32_e32 v5, 7, v20
	v_cndmask_b32_e64 v6, 0, 1, vcc
	v_cndmask_b32_e32 v5, v18, v5, vcc
	v_lshrrev_b64 v[2:3], v6, v[2:3]
; %bb.2304:                             ;   in Loop: Header=BB6_1927 Depth=2
	s_andn2_saveexec_b64 s[18:19], s[18:19]
; %bb.2305:                             ;   in Loop: Header=BB6_1927 Depth=2
	v_bfe_u32 v5, v2, 23, 1
; %bb.2306:                             ;   in Loop: Header=BB6_1927 Depth=2
	s_or_b64 exec, exec, s[18:19]
	v_lshrrev_b64 v[2:3], 20, v[2:3]
	v_cmp_gt_i32_e32 vcc, 16, v5
	v_cndmask_b32_e32 v3, 0, v3, vcc
	v_cndmask_b32_e32 v2, 7, v2, vcc
	v_cmp_eq_u64_e64 s[18:19], 0, v[2:3]
	v_min_i32_e32 v3, 15, v5
	v_lshlrev_b32_e32 v3, 3, v3
	v_cmp_eq_u32_e32 vcc, 0, v5
	v_and_b32_e32 v3, 0xf8, v3
	v_and_or_b32 v2, v2, 7, v3
	s_and_b64 s[18:19], vcc, s[18:19]
	v_cndmask_b32_e64 v2, v2, 0, s[18:19]
	v_or_b32_e32 v20, v2, v4
.LBB6_2307:                             ;   in Loop: Header=BB6_1927 Depth=2
	s_or_b64 exec, exec, s[56:57]
.LBB6_2308:                             ;   in Loop: Header=BB6_1927 Depth=2
	s_or_b64 exec, exec, s[54:55]
                                        ; implicit-def: $vgpr2
.LBB6_2309:                             ;   in Loop: Header=BB6_1927 Depth=2
	s_andn2_saveexec_b64 s[18:19], s[52:53]
; %bb.2310:                             ;   in Loop: Header=BB6_1927 Depth=2
	v_or_b32_sdwa v2, v2, s71 dst_sel:DWORD dst_unused:UNUSED_PAD src0_sel:BYTE_3 src1_sel:DWORD
	v_cmp_eq_u64_e32 vcc, 0, v[52:53]
	v_cndmask_b32_e32 v20, v2, v20, vcc
; %bb.2311:                             ;   in Loop: Header=BB6_1927 Depth=2
	s_or_b64 exec, exec, s[18:19]
	v_cmp_ne_u16_sdwa vcc, v14, v53 src0_sel:BYTE_0 src1_sel:DWORD
	v_mov_b32_e32 v2, 0
	v_mov_b32_e32 v3, 0
	s_and_saveexec_b64 s[18:19], vcc
	s_cbranch_execz .LBB6_2317
; %bb.2312:                             ;   in Loop: Header=BB6_1927 Depth=2
	v_cmp_ne_u16_sdwa vcc, v14, s69 src0_sel:BYTE_0 src1_sel:DWORD
	v_bfrev_b32_e32 v3, 1
	s_and_saveexec_b64 s[52:53], vcc
	s_cbranch_execz .LBB6_2316
; %bb.2313:                             ;   in Loop: Header=BB6_1927 Depth=2
	v_and_b32_e32 v4, 0x7f, v14
	v_cmp_ne_u32_e32 vcc, s71, v4
	v_mov_b32_e32 v3, 0x7f800001
	s_and_saveexec_b64 s[54:55], vcc
	s_cbranch_execz .LBB6_2315
; %bb.2314:                             ;   in Loop: Header=BB6_1927 Depth=2
	v_and_b32_e32 v3, 7, v14
	v_ffbh_u32_e32 v3, v3
	v_min_u32_e32 v3, 32, v3
	v_subrev_u32_e32 v6, 28, v3
	v_cmp_gt_u32_e32 vcc, 8, v4
	v_lshrrev_b32_e32 v5, 3, v4
	v_sub_u32_e32 v3, 29, v3
	v_cndmask_b32_e32 v4, 0, v6, vcc
	v_cndmask_b32_e32 v3, v5, v3, vcc
	v_lshlrev_b64 v[4:5], v4, v[14:15]
	v_lshlrev_b32_e32 v4, 20, v4
	v_lshlrev_b32_e32 v5, 24, v14
	v_and_b32_e32 v4, 0x700000, v4
	v_and_b32_e32 v5, 0x80000000, v5
	v_lshl_add_u32 v3, v3, 23, v29
	v_or3_b32 v3, v5, v3, v4
.LBB6_2315:                             ;   in Loop: Header=BB6_1927 Depth=2
	s_or_b64 exec, exec, s[54:55]
.LBB6_2316:                             ;   in Loop: Header=BB6_1927 Depth=2
	s_or_b64 exec, exec, s[52:53]
.LBB6_2317:                             ;   in Loop: Header=BB6_1927 Depth=2
	s_or_b64 exec, exec, s[18:19]
	s_waitcnt vmcnt(0)
	v_cmp_ne_u16_sdwa vcc, v10, v53 src0_sel:BYTE_0 src1_sel:DWORD
	s_and_saveexec_b64 s[18:19], vcc
	s_cbranch_execz .LBB6_2323
; %bb.2318:                             ;   in Loop: Header=BB6_1927 Depth=2
	v_cmp_ne_u16_sdwa vcc, v10, s69 src0_sel:BYTE_0 src1_sel:DWORD
	v_bfrev_b32_e32 v2, 1
	s_and_saveexec_b64 s[52:53], vcc
	s_cbranch_execz .LBB6_2322
; %bb.2319:                             ;   in Loop: Header=BB6_1927 Depth=2
	v_and_b32_e32 v4, 0x7f, v10
	v_cmp_ne_u32_e32 vcc, s71, v4
	v_mov_b32_e32 v2, 0x7f800001
	s_and_saveexec_b64 s[54:55], vcc
	s_cbranch_execz .LBB6_2321
; %bb.2320:                             ;   in Loop: Header=BB6_1927 Depth=2
	v_and_b32_e32 v2, 7, v10
	v_ffbh_u32_e32 v2, v2
	v_min_u32_e32 v2, 32, v2
	v_subrev_u32_e32 v6, 28, v2
	v_cmp_gt_u32_e32 vcc, 8, v4
	v_lshrrev_b32_e32 v5, 3, v4
	v_sub_u32_e32 v2, 29, v2
	v_cndmask_b32_e32 v4, 0, v6, vcc
	v_cndmask_b32_e32 v2, v5, v2, vcc
	v_lshlrev_b64 v[4:5], v4, v[10:11]
	v_lshlrev_b32_e32 v4, 20, v4
	v_lshlrev_b32_e32 v5, 24, v10
	v_and_b32_e32 v4, 0x700000, v4
	v_and_b32_e32 v5, 0x80000000, v5
	v_lshl_add_u32 v2, v2, 23, v29
	v_or3_b32 v2, v5, v2, v4
.LBB6_2321:                             ;   in Loop: Header=BB6_1927 Depth=2
	s_or_b64 exec, exec, s[54:55]
.LBB6_2322:                             ;   in Loop: Header=BB6_1927 Depth=2
	s_or_b64 exec, exec, s[52:53]
.LBB6_2323:                             ;   in Loop: Header=BB6_1927 Depth=2
	s_or_b64 exec, exec, s[18:19]
	v_add_f32_e32 v2, v3, v2
	v_and_b32_sdwa v4, v2, s69 dst_sel:DWORD dst_unused:UNUSED_PAD src0_sel:BYTE_3 src1_sel:DWORD
	v_and_b32_e32 v6, 0x7f800000, v2
	v_mov_b32_e32 v7, v53
	v_and_b32_e32 v52, 0x7fffff, v2
	v_or_b32_e32 v21, 0x7e, v4
	v_cmp_ne_u64_e32 vcc, s[38:39], v[6:7]
	s_and_saveexec_b64 s[18:19], vcc
	s_xor_b64 s[52:53], exec, s[18:19]
	s_cbranch_execz .LBB6_2333
; %bb.2324:                             ;   in Loop: Header=BB6_1927 Depth=2
	v_and_b32_e32 v6, 0x7fffffff, v2
	v_mov_b32_e32 v7, v53
	v_cmp_gt_u64_e32 vcc, s[40:41], v[6:7]
	s_and_saveexec_b64 s[54:55], vcc
	s_cbranch_execz .LBB6_2332
; %bb.2325:                             ;   in Loop: Header=BB6_1927 Depth=2
	v_cmp_ne_u32_e32 vcc, 0, v2
	v_mov_b32_e32 v21, 0
	s_and_saveexec_b64 s[56:57], vcc
	s_cbranch_execz .LBB6_2331
; %bb.2326:                             ;   in Loop: Header=BB6_1927 Depth=2
	v_bfe_u32 v2, v2, 23, 8
	v_sub_u32_e32 v5, 0x79, v2
	v_cmp_gt_u32_e32 vcc, s72, v2
	v_cndmask_b32_e32 v5, 0, v5, vcc
	v_cmp_eq_u32_e32 vcc, 0, v2
	v_or_b32_e32 v6, 0x800000, v52
	v_cndmask_b32_e32 v5, v5, v38, vcc
	v_add_u32_e32 v3, 0xffffff81, v2
	v_cndmask_b32_e32 v52, v6, v52, vcc
	v_add_u32_e32 v2, 20, v5
	v_cndmask_b32_e32 v18, v3, v33, vcc
	v_lshlrev_b64 v[2:3], v2, -1
	v_lshrrev_b64 v[8:9], v5, v[52:53]
	v_not_b32_e32 v3, v3
	v_not_b32_e32 v2, v2
	v_add_u32_e32 v6, 19, v5
	v_lshrrev_b32_e32 v21, 23, v8
	v_and_b32_e32 v3, 0, v3
	v_and_b32_e32 v2, v52, v2
	v_lshlrev_b64 v[6:7], v6, 1
	v_add3_u32 v21, v5, v18, v21
	v_bfe_u32 v5, v8, 20, 1
	v_add_u32_e32 v5, -1, v5
	v_cmp_eq_u64_e32 vcc, v[2:3], v[6:7]
	v_cndmask_b32_e32 v2, 0, v5, vcc
	v_add_u32_e32 v2, v2, v8
	v_and_b32_e32 v2, 0xfffff, v2
	v_add_co_u32_e32 v2, vcc, v2, v8
	v_add_u32_e32 v18, 6, v21
	v_addc_co_u32_e32 v3, vcc, 0, v9, vcc
	v_cmp_ne_u32_e32 vcc, 0, v18
                                        ; implicit-def: $vgpr5
	s_and_saveexec_b64 s[18:19], vcc
	s_xor_b64 s[18:19], exec, s[18:19]
; %bb.2327:                             ;   in Loop: Header=BB6_1927 Depth=2
	v_cmp_lt_u64_e32 vcc, s[44:45], v[2:3]
	v_add_u32_e32 v5, 7, v21
	v_cndmask_b32_e64 v6, 0, 1, vcc
	v_cndmask_b32_e32 v5, v18, v5, vcc
	v_lshrrev_b64 v[2:3], v6, v[2:3]
; %bb.2328:                             ;   in Loop: Header=BB6_1927 Depth=2
	s_andn2_saveexec_b64 s[18:19], s[18:19]
; %bb.2329:                             ;   in Loop: Header=BB6_1927 Depth=2
	v_bfe_u32 v5, v2, 23, 1
; %bb.2330:                             ;   in Loop: Header=BB6_1927 Depth=2
	s_or_b64 exec, exec, s[18:19]
	v_lshrrev_b64 v[2:3], 20, v[2:3]
	v_cmp_gt_i32_e32 vcc, 16, v5
	v_cndmask_b32_e32 v3, 0, v3, vcc
	v_cndmask_b32_e32 v2, 7, v2, vcc
	v_cmp_eq_u64_e64 s[18:19], 0, v[2:3]
	v_min_i32_e32 v3, 15, v5
	v_cmp_eq_u32_e32 vcc, 0, v5
	v_lshlrev_b32_e32 v3, 3, v3
	v_and_or_b32 v2, v2, 7, v3
	s_and_b64 s[18:19], vcc, s[18:19]
	v_cndmask_b32_e64 v2, v2, 0, s[18:19]
	v_or_b32_e32 v21, v2, v4
.LBB6_2331:                             ;   in Loop: Header=BB6_1927 Depth=2
	s_or_b64 exec, exec, s[56:57]
.LBB6_2332:                             ;   in Loop: Header=BB6_1927 Depth=2
	s_or_b64 exec, exec, s[54:55]
                                        ; implicit-def: $vgpr2
.LBB6_2333:                             ;   in Loop: Header=BB6_1927 Depth=2
	s_andn2_saveexec_b64 s[18:19], s[52:53]
; %bb.2334:                             ;   in Loop: Header=BB6_1927 Depth=2
	v_or_b32_sdwa v2, v2, s71 dst_sel:DWORD dst_unused:UNUSED_PAD src0_sel:BYTE_3 src1_sel:DWORD
	v_cmp_eq_u64_e32 vcc, 0, v[52:53]
	v_cndmask_b32_e32 v21, v2, v21, vcc
; %bb.2335:                             ;   in Loop: Header=BB6_1927 Depth=2
	s_or_b64 exec, exec, s[18:19]
	v_lshrrev_b16_e32 v2, 8, v14
	v_cmp_ne_u16_e32 vcc, 0, v2
	v_mov_b32_e32 v3, 0
	v_mov_b32_e32 v4, 0
	s_and_saveexec_b64 s[18:19], vcc
	s_cbranch_execz .LBB6_2341
; %bb.2336:                             ;   in Loop: Header=BB6_1927 Depth=2
	v_cmp_ne_u16_e32 vcc, s69, v2
	v_bfrev_b32_e32 v4, 1
	s_and_saveexec_b64 s[52:53], vcc
	s_cbranch_execz .LBB6_2340
; %bb.2337:                             ;   in Loop: Header=BB6_1927 Depth=2
	v_and_b32_e32 v5, 0x7f, v2
	v_cmp_ne_u32_e32 vcc, s71, v5
	v_mov_b32_e32 v4, 0x7f800001
	s_and_saveexec_b64 s[54:55], vcc
	s_cbranch_execz .LBB6_2339
; %bb.2338:                             ;   in Loop: Header=BB6_1927 Depth=2
	v_and_b32_e32 v4, 7, v2
	v_ffbh_u32_e32 v6, v4
	v_min_u32_e32 v9, 32, v6
	v_subrev_u32_e32 v6, 28, v9
	v_lshlrev_b64 v[6:7], v6, v[2:3]
	v_lshrrev_b32_e32 v8, 3, v5
	v_sub_u32_e32 v2, 29, v9
	v_and_b32_e32 v6, 7, v6
	v_cmp_gt_u32_e32 vcc, 8, v5
	v_cndmask_b32_e32 v2, v8, v2, vcc
	v_cndmask_b32_e32 v4, v4, v6, vcc
	v_lshlrev_b32_e32 v5, 16, v14
	v_lshlrev_b32_e32 v4, 20, v4
	v_and_b32_e32 v5, 0x80000000, v5
	v_lshl_add_u32 v2, v2, 23, v29
	v_or3_b32 v4, v5, v2, v4
.LBB6_2339:                             ;   in Loop: Header=BB6_1927 Depth=2
	s_or_b64 exec, exec, s[54:55]
.LBB6_2340:                             ;   in Loop: Header=BB6_1927 Depth=2
	s_or_b64 exec, exec, s[52:53]
.LBB6_2341:                             ;   in Loop: Header=BB6_1927 Depth=2
	s_or_b64 exec, exec, s[18:19]
	v_lshrrev_b16_e32 v2, 8, v10
	v_cmp_ne_u16_e32 vcc, 0, v2
	s_and_saveexec_b64 s[18:19], vcc
	s_cbranch_execz .LBB6_2347
; %bb.2342:                             ;   in Loop: Header=BB6_1927 Depth=2
	v_cmp_ne_u16_e32 vcc, s69, v2
	v_bfrev_b32_e32 v3, 1
	s_and_saveexec_b64 s[52:53], vcc
	s_cbranch_execz .LBB6_2346
; %bb.2343:                             ;   in Loop: Header=BB6_1927 Depth=2
	v_and_b32_e32 v5, 0x7f, v2
	v_cmp_ne_u32_e32 vcc, s71, v5
	v_mov_b32_e32 v3, 0x7f800001
	s_and_saveexec_b64 s[54:55], vcc
	s_cbranch_execz .LBB6_2345
; %bb.2344:                             ;   in Loop: Header=BB6_1927 Depth=2
	v_and_b32_e32 v6, 7, v2
	v_ffbh_u32_e32 v3, v6
	v_min_u32_e32 v8, 32, v3
	v_subrev_u32_e32 v3, 28, v8
	v_lshlrev_b64 v[2:3], v3, v[2:3]
	v_lshrrev_b32_e32 v7, 3, v5
	v_sub_u32_e32 v3, 29, v8
	v_and_b32_e32 v2, 7, v2
	v_cmp_gt_u32_e32 vcc, 8, v5
	v_cndmask_b32_e32 v3, v7, v3, vcc
	v_cndmask_b32_e32 v2, v6, v2, vcc
	v_lshlrev_b32_e32 v5, 16, v10
	v_lshlrev_b32_e32 v2, 20, v2
	v_and_b32_e32 v5, 0x80000000, v5
	v_lshl_add_u32 v3, v3, 23, v29
	v_or3_b32 v3, v5, v3, v2
.LBB6_2345:                             ;   in Loop: Header=BB6_1927 Depth=2
	s_or_b64 exec, exec, s[54:55]
.LBB6_2346:                             ;   in Loop: Header=BB6_1927 Depth=2
	s_or_b64 exec, exec, s[52:53]
.LBB6_2347:                             ;   in Loop: Header=BB6_1927 Depth=2
	s_or_b64 exec, exec, s[18:19]
	v_add_f32_e32 v2, v4, v3
	v_and_b32_sdwa v4, v2, s69 dst_sel:DWORD dst_unused:UNUSED_PAD src0_sel:BYTE_3 src1_sel:DWORD
	v_and_b32_e32 v6, 0x7f800000, v2
	v_mov_b32_e32 v7, v53
	v_and_b32_e32 v52, 0x7fffff, v2
	v_or_b32_e32 v24, 0x7e, v4
	v_cmp_ne_u64_e32 vcc, s[38:39], v[6:7]
	s_and_saveexec_b64 s[18:19], vcc
	s_xor_b64 s[52:53], exec, s[18:19]
	s_cbranch_execz .LBB6_2357
; %bb.2348:                             ;   in Loop: Header=BB6_1927 Depth=2
	v_and_b32_e32 v6, 0x7fffffff, v2
	v_mov_b32_e32 v7, v53
	v_cmp_gt_u64_e32 vcc, s[40:41], v[6:7]
	s_and_saveexec_b64 s[54:55], vcc
	s_cbranch_execz .LBB6_2356
; %bb.2349:                             ;   in Loop: Header=BB6_1927 Depth=2
	v_cmp_ne_u32_e32 vcc, 0, v2
	v_mov_b32_e32 v24, 0
	s_and_saveexec_b64 s[56:57], vcc
	s_cbranch_execz .LBB6_2355
; %bb.2350:                             ;   in Loop: Header=BB6_1927 Depth=2
	v_bfe_u32 v2, v2, 23, 8
	v_sub_u32_e32 v5, 0x79, v2
	v_cmp_gt_u32_e32 vcc, s72, v2
	v_cndmask_b32_e32 v5, 0, v5, vcc
	v_cmp_eq_u32_e32 vcc, 0, v2
	v_or_b32_e32 v6, 0x800000, v52
	v_cndmask_b32_e32 v5, v5, v38, vcc
	v_add_u32_e32 v3, 0xffffff81, v2
	v_cndmask_b32_e32 v52, v6, v52, vcc
	v_add_u32_e32 v2, 20, v5
	v_cndmask_b32_e32 v18, v3, v33, vcc
	v_lshlrev_b64 v[2:3], v2, -1
	v_lshrrev_b64 v[8:9], v5, v[52:53]
	v_not_b32_e32 v3, v3
	v_not_b32_e32 v2, v2
	v_add_u32_e32 v6, 19, v5
	v_lshrrev_b32_e32 v24, 23, v8
	v_and_b32_e32 v3, 0, v3
	v_and_b32_e32 v2, v52, v2
	v_lshlrev_b64 v[6:7], v6, 1
	v_add3_u32 v24, v5, v18, v24
	v_bfe_u32 v5, v8, 20, 1
	v_add_u32_e32 v5, -1, v5
	v_cmp_eq_u64_e32 vcc, v[2:3], v[6:7]
	v_cndmask_b32_e32 v2, 0, v5, vcc
	v_add_u32_e32 v2, v2, v8
	v_and_b32_e32 v2, 0xfffff, v2
	v_add_co_u32_e32 v2, vcc, v2, v8
	v_add_u32_e32 v18, 6, v24
	v_addc_co_u32_e32 v3, vcc, 0, v9, vcc
	v_cmp_ne_u32_e32 vcc, 0, v18
                                        ; implicit-def: $vgpr5
	s_and_saveexec_b64 s[18:19], vcc
	s_xor_b64 s[18:19], exec, s[18:19]
; %bb.2351:                             ;   in Loop: Header=BB6_1927 Depth=2
	v_cmp_lt_u64_e32 vcc, s[44:45], v[2:3]
	v_add_u32_e32 v5, 7, v24
	v_cndmask_b32_e64 v6, 0, 1, vcc
	v_cndmask_b32_e32 v5, v18, v5, vcc
	v_lshrrev_b64 v[2:3], v6, v[2:3]
; %bb.2352:                             ;   in Loop: Header=BB6_1927 Depth=2
	s_andn2_saveexec_b64 s[18:19], s[18:19]
; %bb.2353:                             ;   in Loop: Header=BB6_1927 Depth=2
	v_bfe_u32 v5, v2, 23, 1
; %bb.2354:                             ;   in Loop: Header=BB6_1927 Depth=2
	s_or_b64 exec, exec, s[18:19]
	v_lshrrev_b64 v[2:3], 20, v[2:3]
	v_cmp_gt_i32_e32 vcc, 16, v5
	v_cndmask_b32_e32 v3, 0, v3, vcc
	v_cndmask_b32_e32 v2, 7, v2, vcc
	v_cmp_eq_u64_e64 s[18:19], 0, v[2:3]
	v_min_i32_e32 v3, 15, v5
	v_cmp_eq_u32_e32 vcc, 0, v5
	v_lshlrev_b32_e32 v3, 3, v3
	v_and_or_b32 v2, v2, 7, v3
	s_and_b64 s[18:19], vcc, s[18:19]
	v_cndmask_b32_e64 v2, v2, 0, s[18:19]
	v_or_b32_e32 v24, v2, v4
.LBB6_2355:                             ;   in Loop: Header=BB6_1927 Depth=2
	s_or_b64 exec, exec, s[56:57]
.LBB6_2356:                             ;   in Loop: Header=BB6_1927 Depth=2
	s_or_b64 exec, exec, s[54:55]
                                        ; implicit-def: $vgpr2
.LBB6_2357:                             ;   in Loop: Header=BB6_1927 Depth=2
	s_andn2_saveexec_b64 s[18:19], s[52:53]
; %bb.2358:                             ;   in Loop: Header=BB6_1927 Depth=2
	v_or_b32_sdwa v2, v2, s71 dst_sel:DWORD dst_unused:UNUSED_PAD src0_sel:BYTE_3 src1_sel:DWORD
	v_cmp_eq_u64_e32 vcc, 0, v[52:53]
	v_cndmask_b32_e32 v24, v2, v24, vcc
; %bb.2359:                             ;   in Loop: Header=BB6_1927 Depth=2
	s_or_b64 exec, exec, s[18:19]
	v_lshrrev_b32_e32 v2, 16, v14
	v_cmp_ne_u16_sdwa vcc, v2, v53 src0_sel:BYTE_0 src1_sel:DWORD
	v_mov_b32_e32 v3, 0
	v_mov_b32_e32 v4, 0
	s_and_saveexec_b64 s[18:19], vcc
	s_cbranch_execz .LBB6_2365
; %bb.2360:                             ;   in Loop: Header=BB6_1927 Depth=2
	v_cmp_ne_u16_sdwa vcc, v2, s69 src0_sel:BYTE_0 src1_sel:DWORD
	v_bfrev_b32_e32 v4, 1
	s_and_saveexec_b64 s[52:53], vcc
	s_cbranch_execz .LBB6_2364
; %bb.2361:                             ;   in Loop: Header=BB6_1927 Depth=2
	v_bfe_u32 v5, v14, 16, 7
	v_cmp_ne_u32_e32 vcc, s71, v5
	v_mov_b32_e32 v4, 0x7f800001
	s_and_saveexec_b64 s[54:55], vcc
	s_cbranch_execz .LBB6_2363
; %bb.2362:                             ;   in Loop: Header=BB6_1927 Depth=2
	v_and_b32_e32 v4, 7, v2
	v_ffbh_u32_e32 v6, v4
	v_min_u32_e32 v9, 32, v6
	v_subrev_u32_e32 v6, 28, v9
	v_lshlrev_b64 v[6:7], v6, v[2:3]
	v_lshrrev_b32_e32 v8, 3, v5
	v_sub_u32_e32 v7, 29, v9
	v_and_b32_e32 v6, 7, v6
	v_cmp_gt_u32_e32 vcc, 8, v5
	v_cndmask_b32_e32 v5, v8, v7, vcc
	v_cndmask_b32_e32 v4, v4, v6, vcc
	v_lshlrev_b32_e32 v2, 24, v2
	v_lshlrev_b32_e32 v4, 20, v4
	v_and_b32_e32 v2, 0x80000000, v2
	v_lshl_add_u32 v5, v5, 23, v29
	v_or3_b32 v4, v2, v5, v4
.LBB6_2363:                             ;   in Loop: Header=BB6_1927 Depth=2
	s_or_b64 exec, exec, s[54:55]
.LBB6_2364:                             ;   in Loop: Header=BB6_1927 Depth=2
	s_or_b64 exec, exec, s[52:53]
.LBB6_2365:                             ;   in Loop: Header=BB6_1927 Depth=2
	s_or_b64 exec, exec, s[18:19]
	v_lshrrev_b32_e32 v2, 16, v10
	v_cmp_ne_u16_sdwa vcc, v2, v53 src0_sel:BYTE_0 src1_sel:DWORD
	s_and_saveexec_b64 s[18:19], vcc
	s_cbranch_execz .LBB6_2371
; %bb.2366:                             ;   in Loop: Header=BB6_1927 Depth=2
	v_cmp_ne_u16_sdwa vcc, v2, s69 src0_sel:BYTE_0 src1_sel:DWORD
	v_bfrev_b32_e32 v3, 1
	s_and_saveexec_b64 s[52:53], vcc
	s_cbranch_execz .LBB6_2370
; %bb.2367:                             ;   in Loop: Header=BB6_1927 Depth=2
	v_bfe_u32 v5, v10, 16, 7
	v_cmp_ne_u32_e32 vcc, s71, v5
	v_mov_b32_e32 v3, 0x7f800001
	s_and_saveexec_b64 s[54:55], vcc
	s_cbranch_execz .LBB6_2369
; %bb.2368:                             ;   in Loop: Header=BB6_1927 Depth=2
	v_and_b32_e32 v6, 7, v2
	v_ffbh_u32_e32 v3, v6
	v_min_u32_e32 v8, 32, v3
	v_subrev_u32_e32 v3, 28, v8
	v_lshlrev_b64 v[2:3], v3, v[2:3]
	v_lshrrev_b32_e32 v7, 3, v5
	v_sub_u32_e32 v3, 29, v8
	v_and_b32_e32 v2, 7, v2
	v_cmp_gt_u32_e32 vcc, 8, v5
	v_cndmask_b32_e32 v3, v7, v3, vcc
	v_cndmask_b32_e32 v2, v6, v2, vcc
	v_lshlrev_b32_e32 v5, 8, v10
	v_lshlrev_b32_e32 v2, 20, v2
	v_and_b32_e32 v5, 0x80000000, v5
	v_lshl_add_u32 v3, v3, 23, v29
	v_or3_b32 v3, v5, v3, v2
.LBB6_2369:                             ;   in Loop: Header=BB6_1927 Depth=2
	s_or_b64 exec, exec, s[54:55]
.LBB6_2370:                             ;   in Loop: Header=BB6_1927 Depth=2
	s_or_b64 exec, exec, s[52:53]
.LBB6_2371:                             ;   in Loop: Header=BB6_1927 Depth=2
	s_or_b64 exec, exec, s[18:19]
	v_add_f32_e32 v2, v4, v3
	v_and_b32_sdwa v4, v2, s69 dst_sel:DWORD dst_unused:UNUSED_PAD src0_sel:BYTE_3 src1_sel:DWORD
	v_and_b32_e32 v6, 0x7f800000, v2
	v_mov_b32_e32 v7, v53
	v_and_b32_e32 v52, 0x7fffff, v2
	v_or_b32_e32 v25, 0x7e, v4
	v_cmp_ne_u64_e32 vcc, s[38:39], v[6:7]
	s_and_saveexec_b64 s[18:19], vcc
	s_xor_b64 s[52:53], exec, s[18:19]
	s_cbranch_execz .LBB6_2381
; %bb.2372:                             ;   in Loop: Header=BB6_1927 Depth=2
	v_and_b32_e32 v6, 0x7fffffff, v2
	v_mov_b32_e32 v7, v53
	v_cmp_gt_u64_e32 vcc, s[40:41], v[6:7]
	s_and_saveexec_b64 s[54:55], vcc
	s_cbranch_execz .LBB6_2380
; %bb.2373:                             ;   in Loop: Header=BB6_1927 Depth=2
	v_cmp_ne_u32_e32 vcc, 0, v2
	v_mov_b32_e32 v25, 0
	s_and_saveexec_b64 s[56:57], vcc
	s_cbranch_execz .LBB6_2379
; %bb.2374:                             ;   in Loop: Header=BB6_1927 Depth=2
	v_bfe_u32 v2, v2, 23, 8
	v_sub_u32_e32 v5, 0x79, v2
	v_cmp_gt_u32_e32 vcc, s72, v2
	v_cndmask_b32_e32 v5, 0, v5, vcc
	v_cmp_eq_u32_e32 vcc, 0, v2
	v_or_b32_e32 v6, 0x800000, v52
	v_cndmask_b32_e32 v5, v5, v38, vcc
	v_add_u32_e32 v3, 0xffffff81, v2
	v_cndmask_b32_e32 v52, v6, v52, vcc
	v_add_u32_e32 v2, 20, v5
	v_cndmask_b32_e32 v18, v3, v33, vcc
	v_lshlrev_b64 v[2:3], v2, -1
	v_lshrrev_b64 v[8:9], v5, v[52:53]
	v_not_b32_e32 v3, v3
	v_not_b32_e32 v2, v2
	v_add_u32_e32 v6, 19, v5
	v_lshrrev_b32_e32 v25, 23, v8
	v_and_b32_e32 v3, 0, v3
	v_and_b32_e32 v2, v52, v2
	v_lshlrev_b64 v[6:7], v6, 1
	v_add3_u32 v25, v5, v18, v25
	v_bfe_u32 v5, v8, 20, 1
	v_add_u32_e32 v5, -1, v5
	v_cmp_eq_u64_e32 vcc, v[2:3], v[6:7]
	v_cndmask_b32_e32 v2, 0, v5, vcc
	v_add_u32_e32 v2, v2, v8
	v_and_b32_e32 v2, 0xfffff, v2
	v_add_co_u32_e32 v2, vcc, v2, v8
	v_add_u32_e32 v18, 6, v25
	v_addc_co_u32_e32 v3, vcc, 0, v9, vcc
	v_cmp_ne_u32_e32 vcc, 0, v18
                                        ; implicit-def: $vgpr5
	s_and_saveexec_b64 s[18:19], vcc
	s_xor_b64 s[18:19], exec, s[18:19]
; %bb.2375:                             ;   in Loop: Header=BB6_1927 Depth=2
	v_cmp_lt_u64_e32 vcc, s[44:45], v[2:3]
	v_add_u32_e32 v5, 7, v25
	v_cndmask_b32_e64 v6, 0, 1, vcc
	v_cndmask_b32_e32 v5, v18, v5, vcc
	v_lshrrev_b64 v[2:3], v6, v[2:3]
; %bb.2376:                             ;   in Loop: Header=BB6_1927 Depth=2
	s_andn2_saveexec_b64 s[18:19], s[18:19]
; %bb.2377:                             ;   in Loop: Header=BB6_1927 Depth=2
	v_bfe_u32 v5, v2, 23, 1
; %bb.2378:                             ;   in Loop: Header=BB6_1927 Depth=2
	s_or_b64 exec, exec, s[18:19]
	v_lshrrev_b64 v[2:3], 20, v[2:3]
	v_cmp_gt_i32_e32 vcc, 16, v5
	v_cndmask_b32_e32 v3, 0, v3, vcc
	v_cndmask_b32_e32 v2, 7, v2, vcc
	v_cmp_eq_u64_e64 s[18:19], 0, v[2:3]
	v_min_i32_e32 v3, 15, v5
	v_cmp_eq_u32_e32 vcc, 0, v5
	v_lshlrev_b32_e32 v3, 3, v3
	v_and_or_b32 v2, v2, 7, v3
	s_and_b64 s[18:19], vcc, s[18:19]
	v_cndmask_b32_e64 v2, v2, 0, s[18:19]
	v_or_b32_e32 v25, v2, v4
.LBB6_2379:                             ;   in Loop: Header=BB6_1927 Depth=2
	s_or_b64 exec, exec, s[56:57]
.LBB6_2380:                             ;   in Loop: Header=BB6_1927 Depth=2
	s_or_b64 exec, exec, s[54:55]
                                        ; implicit-def: $vgpr2
.LBB6_2381:                             ;   in Loop: Header=BB6_1927 Depth=2
	s_andn2_saveexec_b64 s[18:19], s[52:53]
; %bb.2382:                             ;   in Loop: Header=BB6_1927 Depth=2
	v_or_b32_sdwa v2, v2, s71 dst_sel:DWORD dst_unused:UNUSED_PAD src0_sel:BYTE_3 src1_sel:DWORD
	v_cmp_eq_u64_e32 vcc, 0, v[52:53]
	v_cndmask_b32_e32 v25, v2, v25, vcc
; %bb.2383:                             ;   in Loop: Header=BB6_1927 Depth=2
	s_or_b64 exec, exec, s[18:19]
	v_cmp_lt_u32_e32 vcc, s43, v14
	v_mov_b32_e32 v3, 0
	v_mov_b32_e32 v4, 0
	s_and_saveexec_b64 s[18:19], vcc
	s_cbranch_execz .LBB6_2389
; %bb.2384:                             ;   in Loop: Header=BB6_1927 Depth=2
	v_lshrrev_b32_e32 v2, 24, v14
	v_cmp_ne_u32_e32 vcc, s69, v2
	v_bfrev_b32_e32 v4, 1
	s_and_saveexec_b64 s[52:53], vcc
	s_cbranch_execz .LBB6_2388
; %bb.2385:                             ;   in Loop: Header=BB6_1927 Depth=2
	v_bfe_u32 v5, v14, 24, 7
	v_cmp_ne_u32_e32 vcc, s71, v5
	v_mov_b32_e32 v4, 0x7f800001
	s_and_saveexec_b64 s[54:55], vcc
	s_cbranch_execz .LBB6_2387
; %bb.2386:                             ;   in Loop: Header=BB6_1927 Depth=2
	v_and_b32_e32 v4, 7, v2
	v_ffbh_u32_e32 v6, v4
	v_min_u32_e32 v9, 32, v6
	v_subrev_u32_e32 v6, 28, v9
	v_lshlrev_b64 v[6:7], v6, v[2:3]
	v_lshrrev_b32_e32 v8, 3, v5
	v_sub_u32_e32 v7, 29, v9
	v_and_b32_e32 v6, 7, v6
	v_cmp_gt_u32_e32 vcc, 8, v5
	v_cndmask_b32_e32 v5, v8, v7, vcc
	v_cndmask_b32_e32 v4, v4, v6, vcc
	v_lshlrev_b32_e32 v2, 24, v2
	v_lshlrev_b32_e32 v4, 20, v4
	v_and_b32_e32 v2, 0x80000000, v2
	v_lshl_add_u32 v5, v5, 23, v29
	v_or3_b32 v4, v2, v5, v4
.LBB6_2387:                             ;   in Loop: Header=BB6_1927 Depth=2
	s_or_b64 exec, exec, s[54:55]
.LBB6_2388:                             ;   in Loop: Header=BB6_1927 Depth=2
	s_or_b64 exec, exec, s[52:53]
.LBB6_2389:                             ;   in Loop: Header=BB6_1927 Depth=2
	s_or_b64 exec, exec, s[18:19]
	v_cmp_lt_u32_e32 vcc, s43, v10
	s_and_saveexec_b64 s[18:19], vcc
	s_cbranch_execz .LBB6_2395
; %bb.2390:                             ;   in Loop: Header=BB6_1927 Depth=2
	v_lshrrev_b32_e32 v2, 24, v10
	v_cmp_ne_u32_e32 vcc, s69, v2
	v_bfrev_b32_e32 v3, 1
	s_and_saveexec_b64 s[52:53], vcc
	s_cbranch_execz .LBB6_2394
; %bb.2391:                             ;   in Loop: Header=BB6_1927 Depth=2
	v_bfe_u32 v5, v10, 24, 7
	v_cmp_ne_u32_e32 vcc, s71, v5
	v_mov_b32_e32 v3, 0x7f800001
	s_and_saveexec_b64 s[54:55], vcc
	s_cbranch_execz .LBB6_2393
; %bb.2392:                             ;   in Loop: Header=BB6_1927 Depth=2
	v_and_b32_e32 v3, 7, v2
	v_ffbh_u32_e32 v6, v3
	v_min_u32_e32 v9, 32, v6
	v_subrev_u32_e32 v6, 28, v9
	v_lshlrev_b64 v[6:7], v6, v[2:3]
	v_lshrrev_b32_e32 v8, 3, v5
	v_sub_u32_e32 v7, 29, v9
	v_and_b32_e32 v6, 7, v6
	v_cmp_gt_u32_e32 vcc, 8, v5
	v_cndmask_b32_e32 v5, v8, v7, vcc
	v_cndmask_b32_e32 v3, v3, v6, vcc
	v_lshlrev_b32_e32 v2, 24, v2
	v_lshlrev_b32_e32 v3, 20, v3
	v_and_b32_e32 v2, 0x80000000, v2
	v_lshl_add_u32 v5, v5, 23, v29
	v_or3_b32 v3, v2, v5, v3
.LBB6_2393:                             ;   in Loop: Header=BB6_1927 Depth=2
	s_or_b64 exec, exec, s[54:55]
.LBB6_2394:                             ;   in Loop: Header=BB6_1927 Depth=2
	s_or_b64 exec, exec, s[52:53]
.LBB6_2395:                             ;   in Loop: Header=BB6_1927 Depth=2
	s_or_b64 exec, exec, s[18:19]
	v_add_f32_e32 v2, v4, v3
	v_and_b32_sdwa v4, v2, s69 dst_sel:DWORD dst_unused:UNUSED_PAD src0_sel:BYTE_3 src1_sel:DWORD
	v_and_b32_e32 v6, 0x7f800000, v2
	v_mov_b32_e32 v7, v53
	v_and_b32_e32 v52, 0x7fffff, v2
	v_or_b32_e32 v30, 0x7e, v4
	v_cmp_ne_u64_e32 vcc, s[38:39], v[6:7]
	s_and_saveexec_b64 s[18:19], vcc
	s_xor_b64 s[52:53], exec, s[18:19]
	s_cbranch_execz .LBB6_2405
; %bb.2396:                             ;   in Loop: Header=BB6_1927 Depth=2
	v_and_b32_e32 v6, 0x7fffffff, v2
	v_mov_b32_e32 v7, v53
	v_cmp_gt_u64_e32 vcc, s[40:41], v[6:7]
	s_and_saveexec_b64 s[54:55], vcc
	s_cbranch_execz .LBB6_2404
; %bb.2397:                             ;   in Loop: Header=BB6_1927 Depth=2
	v_cmp_ne_u32_e32 vcc, 0, v2
	v_mov_b32_e32 v30, 0
	s_and_saveexec_b64 s[56:57], vcc
	s_cbranch_execz .LBB6_2403
; %bb.2398:                             ;   in Loop: Header=BB6_1927 Depth=2
	v_bfe_u32 v2, v2, 23, 8
	v_sub_u32_e32 v5, 0x79, v2
	v_cmp_gt_u32_e32 vcc, s72, v2
	v_cndmask_b32_e32 v5, 0, v5, vcc
	v_cmp_eq_u32_e32 vcc, 0, v2
	v_or_b32_e32 v6, 0x800000, v52
	v_cndmask_b32_e32 v5, v5, v38, vcc
	v_add_u32_e32 v3, 0xffffff81, v2
	v_cndmask_b32_e32 v52, v6, v52, vcc
	v_add_u32_e32 v2, 20, v5
	v_cndmask_b32_e32 v18, v3, v33, vcc
	v_lshlrev_b64 v[2:3], v2, -1
	v_lshrrev_b64 v[8:9], v5, v[52:53]
	v_not_b32_e32 v3, v3
	v_not_b32_e32 v2, v2
	v_add_u32_e32 v6, 19, v5
	v_lshrrev_b32_e32 v30, 23, v8
	v_and_b32_e32 v3, 0, v3
	v_and_b32_e32 v2, v52, v2
	v_lshlrev_b64 v[6:7], v6, 1
	v_add3_u32 v30, v5, v18, v30
	v_bfe_u32 v5, v8, 20, 1
	v_add_u32_e32 v5, -1, v5
	v_cmp_eq_u64_e32 vcc, v[2:3], v[6:7]
	v_cndmask_b32_e32 v2, 0, v5, vcc
	v_add_u32_e32 v2, v2, v8
	v_and_b32_e32 v2, 0xfffff, v2
	v_add_co_u32_e32 v2, vcc, v2, v8
	v_add_u32_e32 v18, 6, v30
	v_addc_co_u32_e32 v3, vcc, 0, v9, vcc
	v_cmp_ne_u32_e32 vcc, 0, v18
                                        ; implicit-def: $vgpr5
	s_and_saveexec_b64 s[18:19], vcc
	s_xor_b64 s[18:19], exec, s[18:19]
; %bb.2399:                             ;   in Loop: Header=BB6_1927 Depth=2
	v_cmp_lt_u64_e32 vcc, s[44:45], v[2:3]
	v_add_u32_e32 v5, 7, v30
	v_cndmask_b32_e64 v6, 0, 1, vcc
	v_cndmask_b32_e32 v5, v18, v5, vcc
	v_lshrrev_b64 v[2:3], v6, v[2:3]
; %bb.2400:                             ;   in Loop: Header=BB6_1927 Depth=2
	s_andn2_saveexec_b64 s[18:19], s[18:19]
; %bb.2401:                             ;   in Loop: Header=BB6_1927 Depth=2
	v_bfe_u32 v5, v2, 23, 1
; %bb.2402:                             ;   in Loop: Header=BB6_1927 Depth=2
	s_or_b64 exec, exec, s[18:19]
	v_lshrrev_b64 v[2:3], 20, v[2:3]
	v_cmp_gt_i32_e32 vcc, 16, v5
	v_cndmask_b32_e32 v3, 0, v3, vcc
	v_cndmask_b32_e32 v2, 7, v2, vcc
	v_cmp_eq_u64_e64 s[18:19], 0, v[2:3]
	v_min_i32_e32 v3, 15, v5
	v_cmp_eq_u32_e32 vcc, 0, v5
	v_lshlrev_b32_e32 v3, 3, v3
	v_and_or_b32 v2, v2, 7, v3
	s_and_b64 s[18:19], vcc, s[18:19]
	v_cndmask_b32_e64 v2, v2, 0, s[18:19]
	v_or_b32_e32 v30, v2, v4
.LBB6_2403:                             ;   in Loop: Header=BB6_1927 Depth=2
	s_or_b64 exec, exec, s[56:57]
.LBB6_2404:                             ;   in Loop: Header=BB6_1927 Depth=2
	s_or_b64 exec, exec, s[54:55]
                                        ; implicit-def: $vgpr2
.LBB6_2405:                             ;   in Loop: Header=BB6_1927 Depth=2
	s_andn2_saveexec_b64 s[18:19], s[52:53]
; %bb.2406:                             ;   in Loop: Header=BB6_1927 Depth=2
	v_or_b32_sdwa v2, v2, s71 dst_sel:DWORD dst_unused:UNUSED_PAD src0_sel:BYTE_3 src1_sel:DWORD
	v_cmp_eq_u64_e32 vcc, 0, v[52:53]
	v_cndmask_b32_e32 v30, v2, v30, vcc
; %bb.2407:                             ;   in Loop: Header=BB6_1927 Depth=2
	s_or_b64 exec, exec, s[18:19]
	v_mov_b32_e32 v52, v15
	v_cmp_ne_u16_sdwa vcc, v15, v53 src0_sel:BYTE_0 src1_sel:DWORD
	v_mov_b32_e32 v3, 0
	v_mov_b32_e32 v2, 0
	s_and_saveexec_b64 s[18:19], vcc
	s_cbranch_execz .LBB6_2413
; %bb.2408:                             ;   in Loop: Header=BB6_1927 Depth=2
	v_cmp_ne_u16_sdwa vcc, v15, s69 src0_sel:BYTE_0 src1_sel:DWORD
	v_bfrev_b32_e32 v2, 1
	s_and_saveexec_b64 s[52:53], vcc
	s_cbranch_execz .LBB6_2412
; %bb.2409:                             ;   in Loop: Header=BB6_1927 Depth=2
	v_and_b32_e32 v4, 0x7f, v15
	v_cmp_ne_u32_e32 vcc, s71, v4
	v_mov_b32_e32 v2, 0x7f800001
	s_and_saveexec_b64 s[54:55], vcc
	s_cbranch_execz .LBB6_2411
; %bb.2410:                             ;   in Loop: Header=BB6_1927 Depth=2
	v_and_b32_e32 v2, 7, v15
	v_ffbh_u32_e32 v2, v2
	v_min_u32_e32 v2, 32, v2
	v_subrev_u32_e32 v6, 28, v2
	v_cmp_gt_u32_e32 vcc, 8, v4
	v_lshrrev_b32_e32 v5, 3, v4
	v_sub_u32_e32 v2, 29, v2
	v_cndmask_b32_e32 v4, 0, v6, vcc
	v_cndmask_b32_e32 v2, v5, v2, vcc
	v_lshlrev_b64 v[4:5], v4, v[52:53]
	v_lshlrev_b32_e32 v4, 20, v4
	v_lshlrev_b32_e32 v5, 24, v52
	v_and_b32_e32 v4, 0x700000, v4
	v_and_b32_e32 v5, 0x80000000, v5
	v_lshl_add_u32 v2, v2, 23, v29
	v_or3_b32 v2, v5, v2, v4
.LBB6_2411:                             ;   in Loop: Header=BB6_1927 Depth=2
	s_or_b64 exec, exec, s[54:55]
.LBB6_2412:                             ;   in Loop: Header=BB6_1927 Depth=2
	s_or_b64 exec, exec, s[52:53]
.LBB6_2413:                             ;   in Loop: Header=BB6_1927 Depth=2
	s_or_b64 exec, exec, s[18:19]
	v_cmp_ne_u16_sdwa vcc, v11, v53 src0_sel:BYTE_0 src1_sel:DWORD
	s_and_saveexec_b64 s[18:19], vcc
	s_cbranch_execz .LBB6_2419
; %bb.2414:                             ;   in Loop: Header=BB6_1927 Depth=2
	v_cmp_ne_u16_sdwa vcc, v11, s69 src0_sel:BYTE_0 src1_sel:DWORD
	v_bfrev_b32_e32 v3, 1
	s_and_saveexec_b64 s[52:53], vcc
	s_cbranch_execz .LBB6_2418
; %bb.2415:                             ;   in Loop: Header=BB6_1927 Depth=2
	v_and_b32_e32 v4, 0x7f, v11
	v_cmp_ne_u32_e32 vcc, s71, v4
	v_mov_b32_e32 v3, 0x7f800001
	s_and_saveexec_b64 s[54:55], vcc
	s_cbranch_execz .LBB6_2417
; %bb.2416:                             ;   in Loop: Header=BB6_1927 Depth=2
	v_and_b32_e32 v3, 7, v11
	v_ffbh_u32_e32 v3, v3
	v_min_u32_e32 v3, 32, v3
	v_subrev_u32_e32 v8, 28, v3
	v_cmp_gt_u32_e32 vcc, 8, v4
	v_mov_b32_e32 v6, v11
	v_mov_b32_e32 v7, v53
	v_lshrrev_b32_e32 v5, 3, v4
	v_sub_u32_e32 v3, 29, v3
	v_cndmask_b32_e32 v4, 0, v8, vcc
	v_cndmask_b32_e32 v3, v5, v3, vcc
	v_lshlrev_b64 v[4:5], v4, v[6:7]
	v_lshlrev_b32_e32 v4, 20, v4
	v_lshlrev_b32_e32 v5, 24, v6
	v_and_b32_e32 v4, 0x700000, v4
	v_and_b32_e32 v5, 0x80000000, v5
	v_lshl_add_u32 v3, v3, 23, v29
	v_or3_b32 v3, v5, v3, v4
.LBB6_2417:                             ;   in Loop: Header=BB6_1927 Depth=2
	s_or_b64 exec, exec, s[54:55]
.LBB6_2418:                             ;   in Loop: Header=BB6_1927 Depth=2
	s_or_b64 exec, exec, s[52:53]
.LBB6_2419:                             ;   in Loop: Header=BB6_1927 Depth=2
	s_or_b64 exec, exec, s[18:19]
	v_add_f32_e32 v5, v2, v3
	v_and_b32_sdwa v4, v5, s69 dst_sel:DWORD dst_unused:UNUSED_PAD src0_sel:BYTE_3 src1_sel:DWORD
	v_and_b32_e32 v6, 0x7f800000, v5
	v_mov_b32_e32 v7, v53
	v_and_b32_e32 v2, 0x7fffff, v5
	v_mov_b32_e32 v3, v53
	v_or_b32_e32 v31, 0x7e, v4
	v_cmp_ne_u64_e32 vcc, s[38:39], v[6:7]
	s_and_saveexec_b64 s[18:19], vcc
	s_xor_b64 s[52:53], exec, s[18:19]
	s_cbranch_execz .LBB6_2429
; %bb.2420:                             ;   in Loop: Header=BB6_1927 Depth=2
	v_and_b32_e32 v6, 0x7fffffff, v5
	v_mov_b32_e32 v7, v53
	v_cmp_gt_u64_e32 vcc, s[40:41], v[6:7]
	s_and_saveexec_b64 s[54:55], vcc
	s_cbranch_execz .LBB6_2428
; %bb.2421:                             ;   in Loop: Header=BB6_1927 Depth=2
	v_cmp_ne_u32_e32 vcc, 0, v5
	v_mov_b32_e32 v31, 0
	s_and_saveexec_b64 s[56:57], vcc
	s_cbranch_execz .LBB6_2427
; %bb.2422:                             ;   in Loop: Header=BB6_1927 Depth=2
	v_bfe_u32 v5, v5, 23, 8
	v_sub_u32_e32 v7, 0x79, v5
	v_cmp_gt_u32_e32 vcc, s72, v5
	v_cndmask_b32_e32 v7, 0, v7, vcc
	v_cmp_eq_u32_e32 vcc, 0, v5
	v_add_u32_e32 v6, 0xffffff81, v5
	v_cndmask_b32_e32 v18, v7, v38, vcc
	v_cndmask_b32_e32 v5, v6, v33, vcc
	v_add_u32_e32 v6, 20, v18
	v_or_b32_e32 v8, 0x800000, v2
	v_lshlrev_b64 v[6:7], v6, -1
	v_cndmask_b32_e32 v2, v8, v2, vcc
	v_not_b32_e32 v6, v6
	v_and_b32_e32 v6, v2, v6
	v_lshrrev_b64 v[2:3], v18, v[2:3]
	v_not_b32_e32 v7, v7
	v_add_u32_e32 v8, 19, v18
	v_lshrrev_b32_e32 v31, 23, v2
	v_and_b32_e32 v7, 0, v7
	v_lshlrev_b64 v[8:9], v8, 1
	v_add3_u32 v31, v18, v5, v31
	v_bfe_u32 v5, v2, 20, 1
	v_add_u32_e32 v5, -1, v5
	v_cmp_eq_u64_e32 vcc, v[6:7], v[8:9]
	v_cndmask_b32_e32 v5, 0, v5, vcc
	v_add_u32_e32 v5, v5, v2
	v_and_b32_e32 v5, 0xfffff, v5
	v_add_co_u32_e32 v2, vcc, v5, v2
	v_add_u32_e32 v18, 6, v31
	v_addc_co_u32_e32 v3, vcc, 0, v3, vcc
	v_cmp_ne_u32_e32 vcc, 0, v18
                                        ; implicit-def: $vgpr5
	s_and_saveexec_b64 s[18:19], vcc
	s_xor_b64 s[18:19], exec, s[18:19]
; %bb.2423:                             ;   in Loop: Header=BB6_1927 Depth=2
	v_cmp_lt_u64_e32 vcc, s[44:45], v[2:3]
	v_add_u32_e32 v5, 7, v31
	v_cndmask_b32_e64 v6, 0, 1, vcc
	v_cndmask_b32_e32 v5, v18, v5, vcc
	v_lshrrev_b64 v[2:3], v6, v[2:3]
; %bb.2424:                             ;   in Loop: Header=BB6_1927 Depth=2
	s_andn2_saveexec_b64 s[18:19], s[18:19]
; %bb.2425:                             ;   in Loop: Header=BB6_1927 Depth=2
	v_bfe_u32 v5, v2, 23, 1
; %bb.2426:                             ;   in Loop: Header=BB6_1927 Depth=2
	s_or_b64 exec, exec, s[18:19]
	v_lshrrev_b64 v[2:3], 20, v[2:3]
	v_cmp_gt_i32_e32 vcc, 16, v5
	v_cndmask_b32_e32 v3, 0, v3, vcc
	v_cndmask_b32_e32 v2, 7, v2, vcc
	v_cmp_eq_u64_e64 s[18:19], 0, v[2:3]
	v_min_i32_e32 v3, 15, v5
	v_cmp_eq_u32_e32 vcc, 0, v5
	v_lshlrev_b32_e32 v3, 3, v3
	v_and_or_b32 v2, v2, 7, v3
	s_and_b64 s[18:19], vcc, s[18:19]
	v_cndmask_b32_e64 v2, v2, 0, s[18:19]
	v_or_b32_e32 v31, v2, v4
.LBB6_2427:                             ;   in Loop: Header=BB6_1927 Depth=2
	s_or_b64 exec, exec, s[56:57]
.LBB6_2428:                             ;   in Loop: Header=BB6_1927 Depth=2
	s_or_b64 exec, exec, s[54:55]
                                        ; implicit-def: $vgpr5
                                        ; implicit-def: $vgpr2_vgpr3
.LBB6_2429:                             ;   in Loop: Header=BB6_1927 Depth=2
	s_andn2_saveexec_b64 s[18:19], s[52:53]
; %bb.2430:                             ;   in Loop: Header=BB6_1927 Depth=2
	v_or_b32_sdwa v4, v5, s71 dst_sel:DWORD dst_unused:UNUSED_PAD src0_sel:BYTE_3 src1_sel:DWORD
	v_cmp_eq_u64_e32 vcc, 0, v[2:3]
	v_cndmask_b32_e32 v31, v4, v31, vcc
; %bb.2431:                             ;   in Loop: Header=BB6_1927 Depth=2
	s_or_b64 exec, exec, s[18:19]
	v_lshrrev_b16_e32 v2, 8, v52
	v_cmp_ne_u16_e32 vcc, 0, v2
	v_mov_b32_e32 v3, 0
	v_mov_b32_e32 v4, 0
	s_and_saveexec_b64 s[18:19], vcc
	s_cbranch_execz .LBB6_2437
; %bb.2432:                             ;   in Loop: Header=BB6_1927 Depth=2
	v_cmp_ne_u16_e32 vcc, s69, v2
	v_bfrev_b32_e32 v4, 1
	s_and_saveexec_b64 s[52:53], vcc
	s_cbranch_execz .LBB6_2436
; %bb.2433:                             ;   in Loop: Header=BB6_1927 Depth=2
	v_and_b32_e32 v5, 0x7f, v2
	v_cmp_ne_u32_e32 vcc, s71, v5
	v_mov_b32_e32 v4, 0x7f800001
	s_and_saveexec_b64 s[54:55], vcc
	s_cbranch_execz .LBB6_2435
; %bb.2434:                             ;   in Loop: Header=BB6_1927 Depth=2
	v_and_b32_e32 v4, 7, v2
	v_ffbh_u32_e32 v6, v4
	v_min_u32_e32 v9, 32, v6
	v_subrev_u32_e32 v6, 28, v9
	v_lshlrev_b64 v[6:7], v6, v[2:3]
	v_lshrrev_b32_e32 v8, 3, v5
	v_sub_u32_e32 v2, 29, v9
	v_and_b32_e32 v6, 7, v6
	v_cmp_gt_u32_e32 vcc, 8, v5
	v_cndmask_b32_e32 v2, v8, v2, vcc
	v_cndmask_b32_e32 v4, v4, v6, vcc
	v_lshlrev_b32_e32 v5, 16, v52
	v_lshlrev_b32_e32 v4, 20, v4
	v_and_b32_e32 v5, 0x80000000, v5
	v_lshl_add_u32 v2, v2, 23, v29
	v_or3_b32 v4, v5, v2, v4
.LBB6_2435:                             ;   in Loop: Header=BB6_1927 Depth=2
	s_or_b64 exec, exec, s[54:55]
.LBB6_2436:                             ;   in Loop: Header=BB6_1927 Depth=2
	s_or_b64 exec, exec, s[52:53]
.LBB6_2437:                             ;   in Loop: Header=BB6_1927 Depth=2
	s_or_b64 exec, exec, s[18:19]
	v_mov_b32_e32 v2, v11
	v_lshrrev_b16_e32 v18, 8, v2
	v_cmp_ne_u16_e32 vcc, 0, v18
	s_and_saveexec_b64 s[18:19], vcc
	s_cbranch_execz .LBB6_2443
; %bb.2438:                             ;   in Loop: Header=BB6_1927 Depth=2
	v_cmp_ne_u16_e32 vcc, s69, v18
	v_bfrev_b32_e32 v3, 1
	s_and_saveexec_b64 s[52:53], vcc
	s_cbranch_execz .LBB6_2442
; %bb.2439:                             ;   in Loop: Header=BB6_1927 Depth=2
	v_and_b32_e32 v5, 0x7f, v18
	v_cmp_ne_u32_e32 vcc, s71, v5
	v_mov_b32_e32 v3, 0x7f800001
	s_and_saveexec_b64 s[54:55], vcc
	s_cbranch_execz .LBB6_2441
; %bb.2440:                             ;   in Loop: Header=BB6_1927 Depth=2
	v_and_b32_e32 v3, 7, v18
	v_ffbh_u32_e32 v6, v3
	v_min_u32_e32 v9, 32, v6
	v_subrev_u32_e32 v6, 28, v9
	v_lshlrev_b64 v[6:7], v6, v[18:19]
	v_lshrrev_b32_e32 v8, 3, v5
	v_sub_u32_e32 v7, 29, v9
	v_and_b32_e32 v6, 7, v6
	v_cmp_gt_u32_e32 vcc, 8, v5
	v_cndmask_b32_e32 v5, v8, v7, vcc
	v_cndmask_b32_e32 v3, v3, v6, vcc
	v_lshlrev_b32_e32 v2, 16, v2
	v_lshlrev_b32_e32 v3, 20, v3
	v_and_b32_e32 v2, 0x80000000, v2
	v_lshl_add_u32 v5, v5, 23, v29
	v_or3_b32 v3, v2, v5, v3
.LBB6_2441:                             ;   in Loop: Header=BB6_1927 Depth=2
	s_or_b64 exec, exec, s[54:55]
.LBB6_2442:                             ;   in Loop: Header=BB6_1927 Depth=2
	s_or_b64 exec, exec, s[52:53]
.LBB6_2443:                             ;   in Loop: Header=BB6_1927 Depth=2
	s_or_b64 exec, exec, s[18:19]
	v_add_f32_e32 v2, v4, v3
	v_and_b32_sdwa v4, v2, s69 dst_sel:DWORD dst_unused:UNUSED_PAD src0_sel:BYTE_3 src1_sel:DWORD
	v_and_b32_e32 v6, 0x7f800000, v2
	v_mov_b32_e32 v7, v53
	v_and_b32_e32 v52, 0x7fffff, v2
	v_or_b32_e32 v18, 0x7e, v4
	v_cmp_ne_u64_e32 vcc, s[38:39], v[6:7]
	s_and_saveexec_b64 s[18:19], vcc
	s_xor_b64 s[52:53], exec, s[18:19]
	s_cbranch_execz .LBB6_2453
; %bb.2444:                             ;   in Loop: Header=BB6_1927 Depth=2
	v_and_b32_e32 v6, 0x7fffffff, v2
	v_mov_b32_e32 v7, v53
	v_cmp_gt_u64_e32 vcc, s[40:41], v[6:7]
	s_and_saveexec_b64 s[54:55], vcc
	s_cbranch_execz .LBB6_2452
; %bb.2445:                             ;   in Loop: Header=BB6_1927 Depth=2
	v_cmp_ne_u32_e32 vcc, 0, v2
	v_mov_b32_e32 v18, 0
	s_and_saveexec_b64 s[56:57], vcc
	s_cbranch_execz .LBB6_2451
; %bb.2446:                             ;   in Loop: Header=BB6_1927 Depth=2
	v_bfe_u32 v2, v2, 23, 8
	v_sub_u32_e32 v5, 0x79, v2
	v_cmp_gt_u32_e32 vcc, s72, v2
	v_cndmask_b32_e32 v5, 0, v5, vcc
	v_cmp_eq_u32_e32 vcc, 0, v2
	v_or_b32_e32 v6, 0x800000, v52
	v_cndmask_b32_e32 v5, v5, v38, vcc
	v_add_u32_e32 v3, 0xffffff81, v2
	v_cndmask_b32_e32 v52, v6, v52, vcc
	v_add_u32_e32 v2, 20, v5
	v_cndmask_b32_e32 v18, v3, v33, vcc
	v_lshlrev_b64 v[2:3], v2, -1
	v_lshrrev_b64 v[8:9], v5, v[52:53]
	v_not_b32_e32 v3, v3
	v_not_b32_e32 v2, v2
	v_add_u32_e32 v6, 19, v5
	v_lshrrev_b32_e32 v32, 23, v8
	v_and_b32_e32 v3, 0, v3
	v_and_b32_e32 v2, v52, v2
	v_lshlrev_b64 v[6:7], v6, 1
	v_add3_u32 v48, v5, v18, v32
	v_bfe_u32 v5, v8, 20, 1
	v_add_u32_e32 v5, -1, v5
	v_cmp_eq_u64_e32 vcc, v[2:3], v[6:7]
	v_cndmask_b32_e32 v2, 0, v5, vcc
	v_add_u32_e32 v2, v2, v8
	v_and_b32_e32 v2, 0xfffff, v2
	v_add_co_u32_e32 v2, vcc, v2, v8
	v_add_u32_e32 v18, 6, v48
	v_addc_co_u32_e32 v3, vcc, 0, v9, vcc
	v_cmp_ne_u32_e32 vcc, 0, v18
                                        ; implicit-def: $vgpr5
	s_and_saveexec_b64 s[18:19], vcc
	s_xor_b64 s[18:19], exec, s[18:19]
; %bb.2447:                             ;   in Loop: Header=BB6_1927 Depth=2
	v_cmp_lt_u64_e32 vcc, s[44:45], v[2:3]
	v_add_u32_e32 v5, 7, v48
	v_cndmask_b32_e64 v6, 0, 1, vcc
	v_cndmask_b32_e32 v5, v18, v5, vcc
	v_lshrrev_b64 v[2:3], v6, v[2:3]
; %bb.2448:                             ;   in Loop: Header=BB6_1927 Depth=2
	s_andn2_saveexec_b64 s[18:19], s[18:19]
; %bb.2449:                             ;   in Loop: Header=BB6_1927 Depth=2
	v_bfe_u32 v5, v2, 23, 1
; %bb.2450:                             ;   in Loop: Header=BB6_1927 Depth=2
	s_or_b64 exec, exec, s[18:19]
	v_lshrrev_b64 v[2:3], 20, v[2:3]
	v_cmp_gt_i32_e32 vcc, 16, v5
	v_cndmask_b32_e32 v3, 0, v3, vcc
	v_cndmask_b32_e32 v2, 7, v2, vcc
	v_cmp_eq_u64_e64 s[18:19], 0, v[2:3]
	v_min_i32_e32 v3, 15, v5
	v_cmp_eq_u32_e32 vcc, 0, v5
	v_lshlrev_b32_e32 v3, 3, v3
	v_and_or_b32 v2, v2, 7, v3
	s_and_b64 s[18:19], vcc, s[18:19]
	v_cndmask_b32_e64 v2, v2, 0, s[18:19]
	v_or_b32_e32 v18, v2, v4
.LBB6_2451:                             ;   in Loop: Header=BB6_1927 Depth=2
	s_or_b64 exec, exec, s[56:57]
.LBB6_2452:                             ;   in Loop: Header=BB6_1927 Depth=2
	s_or_b64 exec, exec, s[54:55]
                                        ; implicit-def: $vgpr2
.LBB6_2453:                             ;   in Loop: Header=BB6_1927 Depth=2
	s_andn2_saveexec_b64 s[18:19], s[52:53]
; %bb.2454:                             ;   in Loop: Header=BB6_1927 Depth=2
	v_or_b32_sdwa v2, v2, s71 dst_sel:DWORD dst_unused:UNUSED_PAD src0_sel:BYTE_3 src1_sel:DWORD
	v_cmp_eq_u64_e32 vcc, 0, v[52:53]
	v_cndmask_b32_e32 v18, v2, v18, vcc
; %bb.2455:                             ;   in Loop: Header=BB6_1927 Depth=2
	s_or_b64 exec, exec, s[18:19]
	v_lshrrev_b32_e32 v2, 16, v15
	v_cmp_ne_u16_sdwa vcc, v2, v53 src0_sel:BYTE_0 src1_sel:DWORD
	v_mov_b32_e32 v3, 0
	v_mov_b32_e32 v4, 0
	s_and_saveexec_b64 s[18:19], vcc
	s_cbranch_execz .LBB6_2461
; %bb.2456:                             ;   in Loop: Header=BB6_1927 Depth=2
	v_cmp_ne_u16_sdwa vcc, v2, s69 src0_sel:BYTE_0 src1_sel:DWORD
	v_bfrev_b32_e32 v4, 1
	s_and_saveexec_b64 s[52:53], vcc
	s_cbranch_execz .LBB6_2460
; %bb.2457:                             ;   in Loop: Header=BB6_1927 Depth=2
	v_bfe_u32 v5, v15, 16, 7
	v_cmp_ne_u32_e32 vcc, s71, v5
	v_mov_b32_e32 v4, 0x7f800001
	s_and_saveexec_b64 s[54:55], vcc
	s_cbranch_execz .LBB6_2459
; %bb.2458:                             ;   in Loop: Header=BB6_1927 Depth=2
	v_and_b32_e32 v4, 7, v2
	v_ffbh_u32_e32 v6, v4
	v_min_u32_e32 v9, 32, v6
	v_subrev_u32_e32 v6, 28, v9
	v_lshlrev_b64 v[6:7], v6, v[2:3]
	v_lshrrev_b32_e32 v8, 3, v5
	v_sub_u32_e32 v7, 29, v9
	v_and_b32_e32 v6, 7, v6
	v_cmp_gt_u32_e32 vcc, 8, v5
	v_cndmask_b32_e32 v5, v8, v7, vcc
	v_cndmask_b32_e32 v4, v4, v6, vcc
	v_lshlrev_b32_e32 v2, 24, v2
	v_lshlrev_b32_e32 v4, 20, v4
	v_and_b32_e32 v2, 0x80000000, v2
	v_lshl_add_u32 v5, v5, 23, v29
	v_or3_b32 v4, v2, v5, v4
.LBB6_2459:                             ;   in Loop: Header=BB6_1927 Depth=2
	s_or_b64 exec, exec, s[54:55]
.LBB6_2460:                             ;   in Loop: Header=BB6_1927 Depth=2
	s_or_b64 exec, exec, s[52:53]
.LBB6_2461:                             ;   in Loop: Header=BB6_1927 Depth=2
	s_or_b64 exec, exec, s[18:19]
	v_lshrrev_b32_e32 v2, 16, v11
	v_cmp_ne_u16_sdwa vcc, v2, v53 src0_sel:BYTE_0 src1_sel:DWORD
	s_and_saveexec_b64 s[18:19], vcc
	s_cbranch_execz .LBB6_2467
; %bb.2462:                             ;   in Loop: Header=BB6_1927 Depth=2
	v_cmp_ne_u16_sdwa vcc, v2, s69 src0_sel:BYTE_0 src1_sel:DWORD
	v_bfrev_b32_e32 v3, 1
	s_and_saveexec_b64 s[52:53], vcc
	s_cbranch_execz .LBB6_2466
; %bb.2463:                             ;   in Loop: Header=BB6_1927 Depth=2
	v_bfe_u32 v5, v11, 16, 7
	v_cmp_ne_u32_e32 vcc, s71, v5
	v_mov_b32_e32 v3, 0x7f800001
	s_and_saveexec_b64 s[54:55], vcc
	s_cbranch_execz .LBB6_2465
; %bb.2464:                             ;   in Loop: Header=BB6_1927 Depth=2
	v_and_b32_e32 v6, 7, v2
	v_ffbh_u32_e32 v3, v6
	v_min_u32_e32 v8, 32, v3
	v_subrev_u32_e32 v3, 28, v8
	v_lshlrev_b64 v[2:3], v3, v[2:3]
	v_lshrrev_b32_e32 v7, 3, v5
	v_sub_u32_e32 v3, 29, v8
	v_and_b32_e32 v2, 7, v2
	v_cmp_gt_u32_e32 vcc, 8, v5
	v_cndmask_b32_e32 v3, v7, v3, vcc
	v_cndmask_b32_e32 v2, v6, v2, vcc
	v_lshlrev_b32_e32 v5, 8, v11
	v_lshlrev_b32_e32 v2, 20, v2
	v_and_b32_e32 v5, 0x80000000, v5
	v_lshl_add_u32 v3, v3, 23, v29
	v_or3_b32 v3, v5, v3, v2
.LBB6_2465:                             ;   in Loop: Header=BB6_1927 Depth=2
	s_or_b64 exec, exec, s[54:55]
.LBB6_2466:                             ;   in Loop: Header=BB6_1927 Depth=2
	s_or_b64 exec, exec, s[52:53]
.LBB6_2467:                             ;   in Loop: Header=BB6_1927 Depth=2
	s_or_b64 exec, exec, s[18:19]
	v_add_f32_e32 v2, v4, v3
	v_and_b32_sdwa v4, v2, s69 dst_sel:DWORD dst_unused:UNUSED_PAD src0_sel:BYTE_3 src1_sel:DWORD
	v_and_b32_e32 v6, 0x7f800000, v2
	v_mov_b32_e32 v7, v53
	v_and_b32_e32 v52, 0x7fffff, v2
	v_or_b32_e32 v51, 0x7e, v4
	v_cmp_ne_u64_e32 vcc, s[38:39], v[6:7]
	s_and_saveexec_b64 s[18:19], vcc
	s_xor_b64 s[52:53], exec, s[18:19]
	s_cbranch_execz .LBB6_2477
; %bb.2468:                             ;   in Loop: Header=BB6_1927 Depth=2
	v_and_b32_e32 v6, 0x7fffffff, v2
	v_mov_b32_e32 v7, v53
	v_cmp_gt_u64_e32 vcc, s[40:41], v[6:7]
	s_and_saveexec_b64 s[54:55], vcc
	s_cbranch_execz .LBB6_2476
; %bb.2469:                             ;   in Loop: Header=BB6_1927 Depth=2
	v_cmp_ne_u32_e32 vcc, 0, v2
	v_mov_b32_e32 v51, 0
	s_and_saveexec_b64 s[56:57], vcc
	s_cbranch_execz .LBB6_2475
; %bb.2470:                             ;   in Loop: Header=BB6_1927 Depth=2
	v_bfe_u32 v2, v2, 23, 8
	v_sub_u32_e32 v5, 0x79, v2
	v_cmp_gt_u32_e32 vcc, s72, v2
	v_cndmask_b32_e32 v5, 0, v5, vcc
	v_cmp_eq_u32_e32 vcc, 0, v2
	v_or_b32_e32 v6, 0x800000, v52
	v_cndmask_b32_e32 v5, v5, v38, vcc
	v_add_u32_e32 v3, 0xffffff81, v2
	v_cndmask_b32_e32 v52, v6, v52, vcc
	v_add_u32_e32 v2, 20, v5
	v_cndmask_b32_e32 v32, v3, v33, vcc
	v_lshlrev_b64 v[2:3], v2, -1
	v_lshrrev_b64 v[8:9], v5, v[52:53]
	v_not_b32_e32 v3, v3
	v_not_b32_e32 v2, v2
	v_add_u32_e32 v6, 19, v5
	v_lshrrev_b32_e32 v33, 23, v8
	v_and_b32_e32 v3, 0, v3
	v_and_b32_e32 v2, v52, v2
	v_lshlrev_b64 v[6:7], v6, 1
	v_add3_u32 v49, v5, v32, v33
	v_bfe_u32 v5, v8, 20, 1
	v_add_u32_e32 v5, -1, v5
	v_cmp_eq_u64_e32 vcc, v[2:3], v[6:7]
	v_cndmask_b32_e32 v2, 0, v5, vcc
	v_add_u32_e32 v2, v2, v8
	v_and_b32_e32 v2, 0xfffff, v2
	v_add_co_u32_e32 v2, vcc, v2, v8
	v_add_u32_e32 v48, 6, v49
	v_addc_co_u32_e32 v3, vcc, 0, v9, vcc
	v_cmp_ne_u32_e32 vcc, 0, v48
                                        ; implicit-def: $vgpr5
	s_and_saveexec_b64 s[18:19], vcc
	s_xor_b64 s[18:19], exec, s[18:19]
; %bb.2471:                             ;   in Loop: Header=BB6_1927 Depth=2
	v_cmp_lt_u64_e32 vcc, s[44:45], v[2:3]
	v_add_u32_e32 v5, 7, v49
	v_cndmask_b32_e64 v6, 0, 1, vcc
	v_cndmask_b32_e32 v5, v48, v5, vcc
	v_lshrrev_b64 v[2:3], v6, v[2:3]
; %bb.2472:                             ;   in Loop: Header=BB6_1927 Depth=2
	s_andn2_saveexec_b64 s[18:19], s[18:19]
; %bb.2473:                             ;   in Loop: Header=BB6_1927 Depth=2
	v_bfe_u32 v5, v2, 23, 1
; %bb.2474:                             ;   in Loop: Header=BB6_1927 Depth=2
	s_or_b64 exec, exec, s[18:19]
	v_lshrrev_b64 v[2:3], 20, v[2:3]
	v_cmp_gt_i32_e32 vcc, 16, v5
	v_cndmask_b32_e32 v3, 0, v3, vcc
	v_cndmask_b32_e32 v2, 7, v2, vcc
	v_cmp_eq_u64_e64 s[18:19], 0, v[2:3]
	v_min_i32_e32 v3, 15, v5
	v_lshlrev_b32_e32 v3, 3, v3
	v_cmp_eq_u32_e32 vcc, 0, v5
	v_and_b32_e32 v3, 0xf8, v3
	v_and_or_b32 v2, v2, 7, v3
	s_and_b64 s[18:19], vcc, s[18:19]
	v_cndmask_b32_e64 v2, v2, 0, s[18:19]
	v_or_b32_e32 v51, v2, v4
	v_mov_b32_e32 v33, 0xffffff82
.LBB6_2475:                             ;   in Loop: Header=BB6_1927 Depth=2
	s_or_b64 exec, exec, s[56:57]
.LBB6_2476:                             ;   in Loop: Header=BB6_1927 Depth=2
	s_or_b64 exec, exec, s[54:55]
                                        ; implicit-def: $vgpr2
.LBB6_2477:                             ;   in Loop: Header=BB6_1927 Depth=2
	s_andn2_saveexec_b64 s[18:19], s[52:53]
; %bb.2478:                             ;   in Loop: Header=BB6_1927 Depth=2
	v_or_b32_sdwa v2, v2, s71 dst_sel:DWORD dst_unused:UNUSED_PAD src0_sel:BYTE_3 src1_sel:DWORD
	v_cmp_eq_u64_e32 vcc, 0, v[52:53]
	v_cndmask_b32_e32 v51, v2, v51, vcc
; %bb.2479:                             ;   in Loop: Header=BB6_1927 Depth=2
	s_or_b64 exec, exec, s[18:19]
	v_cmp_lt_u64_e32 vcc, s[42:43], v[14:15]
	v_mov_b32_e32 v3, 0
	v_mov_b32_e32 v4, 0
	s_and_saveexec_b64 s[18:19], vcc
	s_cbranch_execz .LBB6_2485
; %bb.2480:                             ;   in Loop: Header=BB6_1927 Depth=2
	v_lshrrev_b32_e32 v2, 24, v15
	v_cmp_ne_u32_e32 vcc, s69, v2
	v_bfrev_b32_e32 v4, 1
	s_and_saveexec_b64 s[52:53], vcc
	s_cbranch_execz .LBB6_2484
; %bb.2481:                             ;   in Loop: Header=BB6_1927 Depth=2
	v_bfe_u32 v5, v15, 24, 7
	v_cmp_ne_u32_e32 vcc, s71, v5
	v_mov_b32_e32 v4, 0x7f800001
	s_and_saveexec_b64 s[54:55], vcc
	s_cbranch_execz .LBB6_2483
; %bb.2482:                             ;   in Loop: Header=BB6_1927 Depth=2
	v_and_b32_e32 v4, 7, v2
	v_ffbh_u32_e32 v6, v4
	v_min_u32_e32 v9, 32, v6
	v_subrev_u32_e32 v6, 28, v9
	v_lshlrev_b64 v[6:7], v6, v[2:3]
	v_lshrrev_b32_e32 v8, 3, v5
	v_sub_u32_e32 v7, 29, v9
	v_and_b32_e32 v6, 7, v6
	v_cmp_gt_u32_e32 vcc, 8, v5
	v_cndmask_b32_e32 v5, v8, v7, vcc
	v_cndmask_b32_e32 v4, v4, v6, vcc
	v_lshlrev_b32_e32 v2, 24, v2
	v_lshlrev_b32_e32 v4, 20, v4
	v_and_b32_e32 v2, 0x80000000, v2
	v_lshl_add_u32 v5, v5, 23, v29
	v_or3_b32 v4, v2, v5, v4
.LBB6_2483:                             ;   in Loop: Header=BB6_1927 Depth=2
	s_or_b64 exec, exec, s[54:55]
.LBB6_2484:                             ;   in Loop: Header=BB6_1927 Depth=2
	s_or_b64 exec, exec, s[52:53]
.LBB6_2485:                             ;   in Loop: Header=BB6_1927 Depth=2
	s_or_b64 exec, exec, s[18:19]
	v_cmp_lt_u64_e32 vcc, s[42:43], v[10:11]
	s_and_saveexec_b64 s[18:19], vcc
	s_cbranch_execz .LBB6_2491
; %bb.2486:                             ;   in Loop: Header=BB6_1927 Depth=2
	v_lshrrev_b32_e32 v2, 24, v11
	v_cmp_ne_u32_e32 vcc, s69, v2
	v_bfrev_b32_e32 v3, 1
	s_and_saveexec_b64 s[52:53], vcc
	s_cbranch_execz .LBB6_2490
; %bb.2487:                             ;   in Loop: Header=BB6_1927 Depth=2
	v_bfe_u32 v5, v11, 24, 7
	v_cmp_ne_u32_e32 vcc, s71, v5
	v_mov_b32_e32 v3, 0x7f800001
	s_and_saveexec_b64 s[54:55], vcc
	s_cbranch_execz .LBB6_2489
; %bb.2488:                             ;   in Loop: Header=BB6_1927 Depth=2
	v_and_b32_e32 v3, 7, v2
	v_ffbh_u32_e32 v6, v3
	v_min_u32_e32 v9, 32, v6
	v_subrev_u32_e32 v6, 28, v9
	v_lshlrev_b64 v[6:7], v6, v[2:3]
	v_lshrrev_b32_e32 v8, 3, v5
	v_sub_u32_e32 v7, 29, v9
	v_and_b32_e32 v6, 7, v6
	v_cmp_gt_u32_e32 vcc, 8, v5
	v_cndmask_b32_e32 v5, v8, v7, vcc
	v_cndmask_b32_e32 v3, v3, v6, vcc
	v_lshlrev_b32_e32 v2, 24, v2
	v_lshlrev_b32_e32 v3, 20, v3
	v_and_b32_e32 v2, 0x80000000, v2
	v_lshl_add_u32 v5, v5, 23, v29
	v_or3_b32 v3, v2, v5, v3
.LBB6_2489:                             ;   in Loop: Header=BB6_1927 Depth=2
	s_or_b64 exec, exec, s[54:55]
.LBB6_2490:                             ;   in Loop: Header=BB6_1927 Depth=2
	s_or_b64 exec, exec, s[52:53]
.LBB6_2491:                             ;   in Loop: Header=BB6_1927 Depth=2
	s_or_b64 exec, exec, s[18:19]
	v_add_f32_e32 v2, v4, v3
	v_and_b32_sdwa v4, v2, s69 dst_sel:DWORD dst_unused:UNUSED_PAD src0_sel:BYTE_3 src1_sel:DWORD
	v_and_b32_e32 v6, 0x7f800000, v2
	v_mov_b32_e32 v7, v53
	v_and_b32_e32 v52, 0x7fffff, v2
	v_or_b32_e32 v11, 0x7e, v4
	v_cmp_ne_u64_e32 vcc, s[38:39], v[6:7]
	s_and_saveexec_b64 s[18:19], vcc
	s_xor_b64 s[52:53], exec, s[18:19]
	s_cbranch_execz .LBB6_2501
; %bb.2492:                             ;   in Loop: Header=BB6_1927 Depth=2
	v_and_b32_e32 v6, 0x7fffffff, v2
	v_mov_b32_e32 v7, v53
	v_cmp_gt_u64_e32 vcc, s[40:41], v[6:7]
	s_and_saveexec_b64 s[54:55], vcc
	s_cbranch_execz .LBB6_2500
; %bb.2493:                             ;   in Loop: Header=BB6_1927 Depth=2
	v_cmp_ne_u32_e32 vcc, 0, v2
	v_mov_b32_e32 v11, 0
	s_and_saveexec_b64 s[56:57], vcc
	s_cbranch_execz .LBB6_2499
; %bb.2494:                             ;   in Loop: Header=BB6_1927 Depth=2
	v_bfe_u32 v2, v2, 23, 8
	v_sub_u32_e32 v5, 0x79, v2
	v_cmp_gt_u32_e32 vcc, s72, v2
	v_cndmask_b32_e32 v5, 0, v5, vcc
	v_cmp_eq_u32_e32 vcc, 0, v2
	v_or_b32_e32 v6, 0x800000, v52
	v_cndmask_b32_e32 v5, v5, v38, vcc
	v_add_u32_e32 v3, 0xffffff81, v2
	v_cndmask_b32_e32 v52, v6, v52, vcc
	v_add_u32_e32 v2, 20, v5
	v_cndmask_b32_e32 v10, v3, v33, vcc
	v_lshlrev_b64 v[2:3], v2, -1
	v_lshrrev_b64 v[8:9], v5, v[52:53]
	v_not_b32_e32 v3, v3
	v_not_b32_e32 v2, v2
	v_add_u32_e32 v6, 19, v5
	v_lshrrev_b32_e32 v11, 23, v8
	v_and_b32_e32 v3, 0, v3
	v_and_b32_e32 v2, v52, v2
	v_lshlrev_b64 v[6:7], v6, 1
	v_add3_u32 v11, v5, v10, v11
	v_bfe_u32 v5, v8, 20, 1
	v_add_u32_e32 v5, -1, v5
	v_cmp_eq_u64_e32 vcc, v[2:3], v[6:7]
	v_cndmask_b32_e32 v2, 0, v5, vcc
	v_add_u32_e32 v2, v2, v8
	v_and_b32_e32 v2, 0xfffff, v2
	v_add_co_u32_e32 v2, vcc, v2, v8
	v_add_u32_e32 v10, 6, v11
	v_addc_co_u32_e32 v3, vcc, 0, v9, vcc
	v_cmp_ne_u32_e32 vcc, 0, v10
                                        ; implicit-def: $vgpr5
	s_and_saveexec_b64 s[18:19], vcc
	s_xor_b64 s[18:19], exec, s[18:19]
; %bb.2495:                             ;   in Loop: Header=BB6_1927 Depth=2
	v_cmp_lt_u64_e32 vcc, s[44:45], v[2:3]
	v_add_u32_e32 v5, 7, v11
	v_cndmask_b32_e64 v6, 0, 1, vcc
	v_cndmask_b32_e32 v5, v10, v5, vcc
	v_lshrrev_b64 v[2:3], v6, v[2:3]
; %bb.2496:                             ;   in Loop: Header=BB6_1927 Depth=2
	s_andn2_saveexec_b64 s[18:19], s[18:19]
; %bb.2497:                             ;   in Loop: Header=BB6_1927 Depth=2
	v_bfe_u32 v5, v2, 23, 1
; %bb.2498:                             ;   in Loop: Header=BB6_1927 Depth=2
	s_or_b64 exec, exec, s[18:19]
	v_lshrrev_b64 v[2:3], 20, v[2:3]
	v_cmp_gt_i32_e32 vcc, 16, v5
	v_cndmask_b32_e32 v3, 0, v3, vcc
	v_cndmask_b32_e32 v2, 7, v2, vcc
	v_cmp_eq_u64_e64 s[18:19], 0, v[2:3]
	v_min_i32_e32 v3, 15, v5
	v_lshlrev_b32_e32 v3, 3, v3
	v_cmp_eq_u32_e32 vcc, 0, v5
	v_and_b32_e32 v3, 0xf8, v3
	v_and_or_b32 v2, v2, 7, v3
	s_and_b64 s[18:19], vcc, s[18:19]
	v_cndmask_b32_e64 v2, v2, 0, s[18:19]
	v_or_b32_e32 v11, v2, v4
.LBB6_2499:                             ;   in Loop: Header=BB6_1927 Depth=2
	s_or_b64 exec, exec, s[56:57]
.LBB6_2500:                             ;   in Loop: Header=BB6_1927 Depth=2
	s_or_b64 exec, exec, s[54:55]
                                        ; implicit-def: $vgpr2
.LBB6_2501:                             ;   in Loop: Header=BB6_1927 Depth=2
	s_andn2_saveexec_b64 s[18:19], s[52:53]
; %bb.2502:                             ;   in Loop: Header=BB6_1927 Depth=2
	v_or_b32_sdwa v2, v2, s71 dst_sel:DWORD dst_unused:UNUSED_PAD src0_sel:BYTE_3 src1_sel:DWORD
	v_cmp_eq_u64_e32 vcc, 0, v[52:53]
	v_cndmask_b32_e32 v11, v2, v11, vcc
; %bb.2503:                             ;   in Loop: Header=BB6_1927 Depth=2
	s_or_b64 exec, exec, s[18:19]
	v_cmp_ne_u16_sdwa vcc, v16, v53 src0_sel:BYTE_0 src1_sel:DWORD
	v_mov_b32_e32 v2, 0
	v_mov_b32_e32 v3, 0
	s_and_saveexec_b64 s[18:19], vcc
	s_cbranch_execz .LBB6_2509
; %bb.2504:                             ;   in Loop: Header=BB6_1927 Depth=2
	v_cmp_ne_u16_sdwa vcc, v16, s69 src0_sel:BYTE_0 src1_sel:DWORD
	v_bfrev_b32_e32 v3, 1
	s_and_saveexec_b64 s[52:53], vcc
	s_cbranch_execz .LBB6_2508
; %bb.2505:                             ;   in Loop: Header=BB6_1927 Depth=2
	v_and_b32_e32 v4, 0x7f, v16
	v_cmp_ne_u32_e32 vcc, s71, v4
	v_mov_b32_e32 v3, 0x7f800001
	s_and_saveexec_b64 s[54:55], vcc
	s_cbranch_execz .LBB6_2507
; %bb.2506:                             ;   in Loop: Header=BB6_1927 Depth=2
	v_and_b32_e32 v3, 7, v16
	v_ffbh_u32_e32 v3, v3
	v_min_u32_e32 v3, 32, v3
	v_subrev_u32_e32 v6, 28, v3
	v_cmp_gt_u32_e32 vcc, 8, v4
	v_lshrrev_b32_e32 v5, 3, v4
	v_sub_u32_e32 v3, 29, v3
	v_cndmask_b32_e32 v4, 0, v6, vcc
	v_cndmask_b32_e32 v3, v5, v3, vcc
	v_lshlrev_b64 v[4:5], v4, v[16:17]
	v_lshlrev_b32_e32 v4, 20, v4
	v_lshlrev_b32_e32 v5, 24, v16
	v_and_b32_e32 v4, 0x700000, v4
	v_and_b32_e32 v5, 0x80000000, v5
	v_lshl_add_u32 v3, v3, 23, v29
	v_or3_b32 v3, v5, v3, v4
.LBB6_2507:                             ;   in Loop: Header=BB6_1927 Depth=2
	s_or_b64 exec, exec, s[54:55]
.LBB6_2508:                             ;   in Loop: Header=BB6_1927 Depth=2
	s_or_b64 exec, exec, s[52:53]
.LBB6_2509:                             ;   in Loop: Header=BB6_1927 Depth=2
	s_or_b64 exec, exec, s[18:19]
	v_cmp_ne_u16_sdwa vcc, v12, v53 src0_sel:BYTE_0 src1_sel:DWORD
	s_and_saveexec_b64 s[18:19], vcc
	s_cbranch_execz .LBB6_2515
; %bb.2510:                             ;   in Loop: Header=BB6_1927 Depth=2
	v_cmp_ne_u16_sdwa vcc, v12, s69 src0_sel:BYTE_0 src1_sel:DWORD
	v_bfrev_b32_e32 v2, 1
	s_and_saveexec_b64 s[52:53], vcc
	s_cbranch_execz .LBB6_2514
; %bb.2511:                             ;   in Loop: Header=BB6_1927 Depth=2
	v_and_b32_e32 v4, 0x7f, v12
	v_cmp_ne_u32_e32 vcc, s71, v4
	v_mov_b32_e32 v2, 0x7f800001
	s_and_saveexec_b64 s[54:55], vcc
	s_cbranch_execz .LBB6_2513
; %bb.2512:                             ;   in Loop: Header=BB6_1927 Depth=2
	v_and_b32_e32 v2, 7, v12
	v_ffbh_u32_e32 v2, v2
	v_min_u32_e32 v2, 32, v2
	v_subrev_u32_e32 v6, 28, v2
	v_cmp_gt_u32_e32 vcc, 8, v4
	v_lshrrev_b32_e32 v5, 3, v4
	v_sub_u32_e32 v2, 29, v2
	v_cndmask_b32_e32 v4, 0, v6, vcc
	v_cndmask_b32_e32 v2, v5, v2, vcc
	v_lshlrev_b64 v[4:5], v4, v[12:13]
	v_lshlrev_b32_e32 v4, 20, v4
	v_lshlrev_b32_e32 v5, 24, v12
	v_and_b32_e32 v4, 0x700000, v4
	v_and_b32_e32 v5, 0x80000000, v5
	v_lshl_add_u32 v2, v2, 23, v29
	v_or3_b32 v2, v5, v2, v4
.LBB6_2513:                             ;   in Loop: Header=BB6_1927 Depth=2
	s_or_b64 exec, exec, s[54:55]
.LBB6_2514:                             ;   in Loop: Header=BB6_1927 Depth=2
	s_or_b64 exec, exec, s[52:53]
.LBB6_2515:                             ;   in Loop: Header=BB6_1927 Depth=2
	s_or_b64 exec, exec, s[18:19]
	v_add_f32_e32 v2, v3, v2
	v_and_b32_sdwa v4, v2, s69 dst_sel:DWORD dst_unused:UNUSED_PAD src0_sel:BYTE_3 src1_sel:DWORD
	v_and_b32_e32 v6, 0x7f800000, v2
	v_mov_b32_e32 v7, v53
	v_and_b32_e32 v52, 0x7fffff, v2
	v_or_b32_e32 v14, 0x7e, v4
	v_cmp_ne_u64_e32 vcc, s[38:39], v[6:7]
	s_and_saveexec_b64 s[18:19], vcc
	s_xor_b64 s[52:53], exec, s[18:19]
	s_cbranch_execz .LBB6_2525
; %bb.2516:                             ;   in Loop: Header=BB6_1927 Depth=2
	v_and_b32_e32 v6, 0x7fffffff, v2
	v_mov_b32_e32 v7, v53
	v_cmp_gt_u64_e32 vcc, s[40:41], v[6:7]
	s_and_saveexec_b64 s[54:55], vcc
	s_cbranch_execz .LBB6_2524
; %bb.2517:                             ;   in Loop: Header=BB6_1927 Depth=2
	v_cmp_ne_u32_e32 vcc, 0, v2
	v_mov_b32_e32 v14, 0
	s_and_saveexec_b64 s[56:57], vcc
	s_cbranch_execz .LBB6_2523
; %bb.2518:                             ;   in Loop: Header=BB6_1927 Depth=2
	v_bfe_u32 v2, v2, 23, 8
	v_sub_u32_e32 v5, 0x79, v2
	v_cmp_gt_u32_e32 vcc, s72, v2
	v_cndmask_b32_e32 v5, 0, v5, vcc
	v_cmp_eq_u32_e32 vcc, 0, v2
	v_or_b32_e32 v6, 0x800000, v52
	v_cndmask_b32_e32 v5, v5, v38, vcc
	v_add_u32_e32 v3, 0xffffff81, v2
	v_cndmask_b32_e32 v52, v6, v52, vcc
	v_add_u32_e32 v2, 20, v5
	v_cndmask_b32_e32 v10, v3, v33, vcc
	v_lshlrev_b64 v[2:3], v2, -1
	v_lshrrev_b64 v[8:9], v5, v[52:53]
	v_not_b32_e32 v3, v3
	v_not_b32_e32 v2, v2
	v_add_u32_e32 v6, 19, v5
	v_lshrrev_b32_e32 v14, 23, v8
	v_and_b32_e32 v3, 0, v3
	v_and_b32_e32 v2, v52, v2
	v_lshlrev_b64 v[6:7], v6, 1
	v_add3_u32 v14, v5, v10, v14
	v_bfe_u32 v5, v8, 20, 1
	v_add_u32_e32 v5, -1, v5
	v_cmp_eq_u64_e32 vcc, v[2:3], v[6:7]
	v_cndmask_b32_e32 v2, 0, v5, vcc
	v_add_u32_e32 v2, v2, v8
	v_and_b32_e32 v2, 0xfffff, v2
	v_add_co_u32_e32 v2, vcc, v2, v8
	v_add_u32_e32 v10, 6, v14
	v_addc_co_u32_e32 v3, vcc, 0, v9, vcc
	v_cmp_ne_u32_e32 vcc, 0, v10
                                        ; implicit-def: $vgpr5
	s_and_saveexec_b64 s[18:19], vcc
	s_xor_b64 s[18:19], exec, s[18:19]
; %bb.2519:                             ;   in Loop: Header=BB6_1927 Depth=2
	v_cmp_lt_u64_e32 vcc, s[44:45], v[2:3]
	v_add_u32_e32 v5, 7, v14
	v_cndmask_b32_e64 v6, 0, 1, vcc
	v_cndmask_b32_e32 v5, v10, v5, vcc
	v_lshrrev_b64 v[2:3], v6, v[2:3]
; %bb.2520:                             ;   in Loop: Header=BB6_1927 Depth=2
	s_andn2_saveexec_b64 s[18:19], s[18:19]
; %bb.2521:                             ;   in Loop: Header=BB6_1927 Depth=2
	v_bfe_u32 v5, v2, 23, 1
; %bb.2522:                             ;   in Loop: Header=BB6_1927 Depth=2
	s_or_b64 exec, exec, s[18:19]
	v_lshrrev_b64 v[2:3], 20, v[2:3]
	v_cmp_gt_i32_e32 vcc, 16, v5
	v_cndmask_b32_e32 v3, 0, v3, vcc
	v_cndmask_b32_e32 v2, 7, v2, vcc
	v_cmp_eq_u64_e64 s[18:19], 0, v[2:3]
	v_min_i32_e32 v3, 15, v5
	v_cmp_eq_u32_e32 vcc, 0, v5
	v_lshlrev_b32_e32 v3, 3, v3
	v_and_or_b32 v2, v2, 7, v3
	s_and_b64 s[18:19], vcc, s[18:19]
	v_cndmask_b32_e64 v2, v2, 0, s[18:19]
	v_or_b32_e32 v14, v2, v4
.LBB6_2523:                             ;   in Loop: Header=BB6_1927 Depth=2
	s_or_b64 exec, exec, s[56:57]
.LBB6_2524:                             ;   in Loop: Header=BB6_1927 Depth=2
	s_or_b64 exec, exec, s[54:55]
                                        ; implicit-def: $vgpr2
.LBB6_2525:                             ;   in Loop: Header=BB6_1927 Depth=2
	s_andn2_saveexec_b64 s[18:19], s[52:53]
; %bb.2526:                             ;   in Loop: Header=BB6_1927 Depth=2
	v_or_b32_sdwa v2, v2, s71 dst_sel:DWORD dst_unused:UNUSED_PAD src0_sel:BYTE_3 src1_sel:DWORD
	v_cmp_eq_u64_e32 vcc, 0, v[52:53]
	v_cndmask_b32_e32 v14, v2, v14, vcc
; %bb.2527:                             ;   in Loop: Header=BB6_1927 Depth=2
	s_or_b64 exec, exec, s[18:19]
	v_lshrrev_b16_e32 v2, 8, v16
	v_cmp_ne_u16_e32 vcc, 0, v2
	v_mov_b32_e32 v3, 0
	v_mov_b32_e32 v4, 0
	s_and_saveexec_b64 s[18:19], vcc
	s_cbranch_execz .LBB6_2533
; %bb.2528:                             ;   in Loop: Header=BB6_1927 Depth=2
	v_cmp_ne_u16_e32 vcc, s69, v2
	v_bfrev_b32_e32 v4, 1
	s_and_saveexec_b64 s[52:53], vcc
	s_cbranch_execz .LBB6_2532
; %bb.2529:                             ;   in Loop: Header=BB6_1927 Depth=2
	v_and_b32_e32 v5, 0x7f, v2
	v_cmp_ne_u32_e32 vcc, s71, v5
	v_mov_b32_e32 v4, 0x7f800001
	s_and_saveexec_b64 s[54:55], vcc
	s_cbranch_execz .LBB6_2531
; %bb.2530:                             ;   in Loop: Header=BB6_1927 Depth=2
	v_and_b32_e32 v4, 7, v2
	v_ffbh_u32_e32 v6, v4
	v_min_u32_e32 v9, 32, v6
	v_subrev_u32_e32 v6, 28, v9
	v_lshlrev_b64 v[6:7], v6, v[2:3]
	v_lshrrev_b32_e32 v8, 3, v5
	v_sub_u32_e32 v2, 29, v9
	v_and_b32_e32 v6, 7, v6
	v_cmp_gt_u32_e32 vcc, 8, v5
	v_cndmask_b32_e32 v2, v8, v2, vcc
	v_cndmask_b32_e32 v4, v4, v6, vcc
	v_lshlrev_b32_e32 v5, 16, v16
	v_lshlrev_b32_e32 v4, 20, v4
	v_and_b32_e32 v5, 0x80000000, v5
	v_lshl_add_u32 v2, v2, 23, v29
	v_or3_b32 v4, v5, v2, v4
.LBB6_2531:                             ;   in Loop: Header=BB6_1927 Depth=2
	s_or_b64 exec, exec, s[54:55]
.LBB6_2532:                             ;   in Loop: Header=BB6_1927 Depth=2
	s_or_b64 exec, exec, s[52:53]
.LBB6_2533:                             ;   in Loop: Header=BB6_1927 Depth=2
	s_or_b64 exec, exec, s[18:19]
	v_lshrrev_b16_e32 v2, 8, v12
	v_cmp_ne_u16_e32 vcc, 0, v2
	s_and_saveexec_b64 s[18:19], vcc
	s_cbranch_execz .LBB6_2539
; %bb.2534:                             ;   in Loop: Header=BB6_1927 Depth=2
	v_cmp_ne_u16_e32 vcc, s69, v2
	v_bfrev_b32_e32 v3, 1
	s_and_saveexec_b64 s[52:53], vcc
	s_cbranch_execz .LBB6_2538
; %bb.2535:                             ;   in Loop: Header=BB6_1927 Depth=2
	v_and_b32_e32 v5, 0x7f, v2
	v_cmp_ne_u32_e32 vcc, s71, v5
	v_mov_b32_e32 v3, 0x7f800001
	s_and_saveexec_b64 s[54:55], vcc
	s_cbranch_execz .LBB6_2537
; %bb.2536:                             ;   in Loop: Header=BB6_1927 Depth=2
	v_and_b32_e32 v6, 7, v2
	v_ffbh_u32_e32 v3, v6
	v_min_u32_e32 v8, 32, v3
	v_subrev_u32_e32 v3, 28, v8
	v_lshlrev_b64 v[2:3], v3, v[2:3]
	v_lshrrev_b32_e32 v7, 3, v5
	v_sub_u32_e32 v3, 29, v8
	v_and_b32_e32 v2, 7, v2
	v_cmp_gt_u32_e32 vcc, 8, v5
	v_cndmask_b32_e32 v3, v7, v3, vcc
	v_cndmask_b32_e32 v2, v6, v2, vcc
	v_lshlrev_b32_e32 v5, 16, v12
	v_lshlrev_b32_e32 v2, 20, v2
	v_and_b32_e32 v5, 0x80000000, v5
	v_lshl_add_u32 v3, v3, 23, v29
	v_or3_b32 v3, v5, v3, v2
.LBB6_2537:                             ;   in Loop: Header=BB6_1927 Depth=2
	s_or_b64 exec, exec, s[54:55]
.LBB6_2538:                             ;   in Loop: Header=BB6_1927 Depth=2
	s_or_b64 exec, exec, s[52:53]
.LBB6_2539:                             ;   in Loop: Header=BB6_1927 Depth=2
	s_or_b64 exec, exec, s[18:19]
	v_add_f32_e32 v2, v4, v3
	v_and_b32_sdwa v4, v2, s69 dst_sel:DWORD dst_unused:UNUSED_PAD src0_sel:BYTE_3 src1_sel:DWORD
	v_and_b32_e32 v6, 0x7f800000, v2
	v_mov_b32_e32 v7, v53
	v_and_b32_e32 v52, 0x7fffff, v2
	v_or_b32_e32 v15, 0x7e, v4
	v_cmp_ne_u64_e32 vcc, s[38:39], v[6:7]
	s_and_saveexec_b64 s[18:19], vcc
	s_xor_b64 s[52:53], exec, s[18:19]
	s_cbranch_execz .LBB6_2549
; %bb.2540:                             ;   in Loop: Header=BB6_1927 Depth=2
	v_and_b32_e32 v6, 0x7fffffff, v2
	v_mov_b32_e32 v7, v53
	v_cmp_gt_u64_e32 vcc, s[40:41], v[6:7]
	s_and_saveexec_b64 s[54:55], vcc
	s_cbranch_execz .LBB6_2548
; %bb.2541:                             ;   in Loop: Header=BB6_1927 Depth=2
	v_cmp_ne_u32_e32 vcc, 0, v2
	v_mov_b32_e32 v15, 0
	s_and_saveexec_b64 s[56:57], vcc
	s_cbranch_execz .LBB6_2547
; %bb.2542:                             ;   in Loop: Header=BB6_1927 Depth=2
	v_bfe_u32 v2, v2, 23, 8
	v_sub_u32_e32 v5, 0x79, v2
	v_cmp_gt_u32_e32 vcc, s72, v2
	v_cndmask_b32_e32 v5, 0, v5, vcc
	v_cmp_eq_u32_e32 vcc, 0, v2
	v_or_b32_e32 v6, 0x800000, v52
	v_cndmask_b32_e32 v5, v5, v38, vcc
	v_add_u32_e32 v3, 0xffffff81, v2
	v_cndmask_b32_e32 v52, v6, v52, vcc
	v_add_u32_e32 v2, 20, v5
	v_cndmask_b32_e32 v10, v3, v33, vcc
	v_lshlrev_b64 v[2:3], v2, -1
	v_lshrrev_b64 v[8:9], v5, v[52:53]
	v_not_b32_e32 v3, v3
	v_not_b32_e32 v2, v2
	v_add_u32_e32 v6, 19, v5
	v_lshrrev_b32_e32 v15, 23, v8
	v_and_b32_e32 v3, 0, v3
	v_and_b32_e32 v2, v52, v2
	v_lshlrev_b64 v[6:7], v6, 1
	v_add3_u32 v15, v5, v10, v15
	v_bfe_u32 v5, v8, 20, 1
	v_add_u32_e32 v5, -1, v5
	v_cmp_eq_u64_e32 vcc, v[2:3], v[6:7]
	v_cndmask_b32_e32 v2, 0, v5, vcc
	v_add_u32_e32 v2, v2, v8
	v_and_b32_e32 v2, 0xfffff, v2
	v_add_co_u32_e32 v2, vcc, v2, v8
	v_add_u32_e32 v10, 6, v15
	v_addc_co_u32_e32 v3, vcc, 0, v9, vcc
	v_cmp_ne_u32_e32 vcc, 0, v10
                                        ; implicit-def: $vgpr5
	s_and_saveexec_b64 s[18:19], vcc
	s_xor_b64 s[18:19], exec, s[18:19]
; %bb.2543:                             ;   in Loop: Header=BB6_1927 Depth=2
	v_cmp_lt_u64_e32 vcc, s[44:45], v[2:3]
	v_add_u32_e32 v5, 7, v15
	v_cndmask_b32_e64 v6, 0, 1, vcc
	v_cndmask_b32_e32 v5, v10, v5, vcc
	v_lshrrev_b64 v[2:3], v6, v[2:3]
; %bb.2544:                             ;   in Loop: Header=BB6_1927 Depth=2
	s_andn2_saveexec_b64 s[18:19], s[18:19]
; %bb.2545:                             ;   in Loop: Header=BB6_1927 Depth=2
	v_bfe_u32 v5, v2, 23, 1
; %bb.2546:                             ;   in Loop: Header=BB6_1927 Depth=2
	s_or_b64 exec, exec, s[18:19]
	v_lshrrev_b64 v[2:3], 20, v[2:3]
	v_cmp_gt_i32_e32 vcc, 16, v5
	v_cndmask_b32_e32 v3, 0, v3, vcc
	v_cndmask_b32_e32 v2, 7, v2, vcc
	v_cmp_eq_u64_e64 s[18:19], 0, v[2:3]
	v_min_i32_e32 v3, 15, v5
	v_cmp_eq_u32_e32 vcc, 0, v5
	v_lshlrev_b32_e32 v3, 3, v3
	v_and_or_b32 v2, v2, 7, v3
	s_and_b64 s[18:19], vcc, s[18:19]
	v_cndmask_b32_e64 v2, v2, 0, s[18:19]
	v_or_b32_e32 v15, v2, v4
.LBB6_2547:                             ;   in Loop: Header=BB6_1927 Depth=2
	s_or_b64 exec, exec, s[56:57]
.LBB6_2548:                             ;   in Loop: Header=BB6_1927 Depth=2
	s_or_b64 exec, exec, s[54:55]
                                        ; implicit-def: $vgpr2
.LBB6_2549:                             ;   in Loop: Header=BB6_1927 Depth=2
	s_andn2_saveexec_b64 s[18:19], s[52:53]
; %bb.2550:                             ;   in Loop: Header=BB6_1927 Depth=2
	v_or_b32_sdwa v2, v2, s71 dst_sel:DWORD dst_unused:UNUSED_PAD src0_sel:BYTE_3 src1_sel:DWORD
	v_cmp_eq_u64_e32 vcc, 0, v[52:53]
	v_cndmask_b32_e32 v15, v2, v15, vcc
; %bb.2551:                             ;   in Loop: Header=BB6_1927 Depth=2
	s_or_b64 exec, exec, s[18:19]
	v_lshrrev_b32_e32 v2, 16, v16
	v_cmp_ne_u16_sdwa vcc, v2, v53 src0_sel:BYTE_0 src1_sel:DWORD
	v_mov_b32_e32 v3, 0
	v_mov_b32_e32 v4, 0
	s_and_saveexec_b64 s[18:19], vcc
	s_cbranch_execz .LBB6_2557
; %bb.2552:                             ;   in Loop: Header=BB6_1927 Depth=2
	v_cmp_ne_u16_sdwa vcc, v2, s69 src0_sel:BYTE_0 src1_sel:DWORD
	v_bfrev_b32_e32 v4, 1
	s_and_saveexec_b64 s[52:53], vcc
	s_cbranch_execz .LBB6_2556
; %bb.2553:                             ;   in Loop: Header=BB6_1927 Depth=2
	v_bfe_u32 v5, v16, 16, 7
	v_cmp_ne_u32_e32 vcc, s71, v5
	v_mov_b32_e32 v4, 0x7f800001
	s_and_saveexec_b64 s[54:55], vcc
	s_cbranch_execz .LBB6_2555
; %bb.2554:                             ;   in Loop: Header=BB6_1927 Depth=2
	v_and_b32_e32 v4, 7, v2
	v_ffbh_u32_e32 v6, v4
	v_min_u32_e32 v9, 32, v6
	v_subrev_u32_e32 v6, 28, v9
	v_lshlrev_b64 v[6:7], v6, v[2:3]
	v_lshrrev_b32_e32 v8, 3, v5
	v_sub_u32_e32 v7, 29, v9
	v_and_b32_e32 v6, 7, v6
	v_cmp_gt_u32_e32 vcc, 8, v5
	v_cndmask_b32_e32 v5, v8, v7, vcc
	v_cndmask_b32_e32 v4, v4, v6, vcc
	v_lshlrev_b32_e32 v2, 24, v2
	v_lshlrev_b32_e32 v4, 20, v4
	v_and_b32_e32 v2, 0x80000000, v2
	v_lshl_add_u32 v5, v5, 23, v29
	v_or3_b32 v4, v2, v5, v4
.LBB6_2555:                             ;   in Loop: Header=BB6_1927 Depth=2
	s_or_b64 exec, exec, s[54:55]
.LBB6_2556:                             ;   in Loop: Header=BB6_1927 Depth=2
	s_or_b64 exec, exec, s[52:53]
.LBB6_2557:                             ;   in Loop: Header=BB6_1927 Depth=2
	s_or_b64 exec, exec, s[18:19]
	v_lshrrev_b32_e32 v2, 16, v12
	v_cmp_ne_u16_sdwa vcc, v2, v53 src0_sel:BYTE_0 src1_sel:DWORD
	s_and_saveexec_b64 s[18:19], vcc
	s_cbranch_execz .LBB6_2563
; %bb.2558:                             ;   in Loop: Header=BB6_1927 Depth=2
	v_cmp_ne_u16_sdwa vcc, v2, s69 src0_sel:BYTE_0 src1_sel:DWORD
	v_bfrev_b32_e32 v3, 1
	s_and_saveexec_b64 s[52:53], vcc
	s_cbranch_execz .LBB6_2562
; %bb.2559:                             ;   in Loop: Header=BB6_1927 Depth=2
	v_bfe_u32 v5, v12, 16, 7
	v_cmp_ne_u32_e32 vcc, s71, v5
	v_mov_b32_e32 v3, 0x7f800001
	s_and_saveexec_b64 s[54:55], vcc
	s_cbranch_execz .LBB6_2561
; %bb.2560:                             ;   in Loop: Header=BB6_1927 Depth=2
	v_and_b32_e32 v6, 7, v2
	v_ffbh_u32_e32 v3, v6
	v_min_u32_e32 v8, 32, v3
	v_subrev_u32_e32 v3, 28, v8
	v_lshlrev_b64 v[2:3], v3, v[2:3]
	v_lshrrev_b32_e32 v7, 3, v5
	v_sub_u32_e32 v3, 29, v8
	v_and_b32_e32 v2, 7, v2
	v_cmp_gt_u32_e32 vcc, 8, v5
	v_cndmask_b32_e32 v3, v7, v3, vcc
	v_cndmask_b32_e32 v2, v6, v2, vcc
	v_lshlrev_b32_e32 v5, 8, v12
	v_lshlrev_b32_e32 v2, 20, v2
	v_and_b32_e32 v5, 0x80000000, v5
	v_lshl_add_u32 v3, v3, 23, v29
	v_or3_b32 v3, v5, v3, v2
.LBB6_2561:                             ;   in Loop: Header=BB6_1927 Depth=2
	s_or_b64 exec, exec, s[54:55]
.LBB6_2562:                             ;   in Loop: Header=BB6_1927 Depth=2
	s_or_b64 exec, exec, s[52:53]
.LBB6_2563:                             ;   in Loop: Header=BB6_1927 Depth=2
	s_or_b64 exec, exec, s[18:19]
	v_add_f32_e32 v2, v4, v3
	v_and_b32_sdwa v4, v2, s69 dst_sel:DWORD dst_unused:UNUSED_PAD src0_sel:BYTE_3 src1_sel:DWORD
	v_and_b32_e32 v6, 0x7f800000, v2
	v_mov_b32_e32 v7, v53
	v_and_b32_e32 v52, 0x7fffff, v2
	v_or_b32_e32 v54, 0x7e, v4
	v_cmp_ne_u64_e32 vcc, s[38:39], v[6:7]
	s_and_saveexec_b64 s[18:19], vcc
	s_xor_b64 s[52:53], exec, s[18:19]
	s_cbranch_execz .LBB6_2573
; %bb.2564:                             ;   in Loop: Header=BB6_1927 Depth=2
	v_and_b32_e32 v6, 0x7fffffff, v2
	v_mov_b32_e32 v7, v53
	v_cmp_gt_u64_e32 vcc, s[40:41], v[6:7]
	s_and_saveexec_b64 s[54:55], vcc
	s_cbranch_execz .LBB6_2572
; %bb.2565:                             ;   in Loop: Header=BB6_1927 Depth=2
	v_cmp_ne_u32_e32 vcc, 0, v2
	v_mov_b32_e32 v54, 0
	s_and_saveexec_b64 s[56:57], vcc
	s_cbranch_execz .LBB6_2571
; %bb.2566:                             ;   in Loop: Header=BB6_1927 Depth=2
	v_bfe_u32 v2, v2, 23, 8
	v_sub_u32_e32 v5, 0x79, v2
	v_cmp_gt_u32_e32 vcc, s72, v2
	v_cndmask_b32_e32 v5, 0, v5, vcc
	v_cmp_eq_u32_e32 vcc, 0, v2
	v_or_b32_e32 v6, 0x800000, v52
	v_cndmask_b32_e32 v5, v5, v38, vcc
	v_add_u32_e32 v3, 0xffffff81, v2
	v_cndmask_b32_e32 v52, v6, v52, vcc
	v_add_u32_e32 v2, 20, v5
	v_cndmask_b32_e32 v10, v3, v33, vcc
	v_lshlrev_b64 v[2:3], v2, -1
	v_lshrrev_b64 v[8:9], v5, v[52:53]
	v_not_b32_e32 v3, v3
	v_not_b32_e32 v2, v2
	v_add_u32_e32 v6, 19, v5
	v_lshrrev_b32_e32 v32, 23, v8
	v_and_b32_e32 v3, 0, v3
	v_and_b32_e32 v2, v52, v2
	v_lshlrev_b64 v[6:7], v6, 1
	v_add3_u32 v48, v5, v10, v32
	v_bfe_u32 v5, v8, 20, 1
	v_add_u32_e32 v5, -1, v5
	v_cmp_eq_u64_e32 vcc, v[2:3], v[6:7]
	v_cndmask_b32_e32 v2, 0, v5, vcc
	v_add_u32_e32 v2, v2, v8
	v_and_b32_e32 v2, 0xfffff, v2
	v_add_co_u32_e32 v2, vcc, v2, v8
	v_add_u32_e32 v10, 6, v48
	v_addc_co_u32_e32 v3, vcc, 0, v9, vcc
	v_cmp_ne_u32_e32 vcc, 0, v10
                                        ; implicit-def: $vgpr5
	s_and_saveexec_b64 s[18:19], vcc
	s_xor_b64 s[18:19], exec, s[18:19]
; %bb.2567:                             ;   in Loop: Header=BB6_1927 Depth=2
	v_cmp_lt_u64_e32 vcc, s[44:45], v[2:3]
	v_add_u32_e32 v5, 7, v48
	v_cndmask_b32_e64 v6, 0, 1, vcc
	v_cndmask_b32_e32 v5, v10, v5, vcc
	v_lshrrev_b64 v[2:3], v6, v[2:3]
; %bb.2568:                             ;   in Loop: Header=BB6_1927 Depth=2
	s_andn2_saveexec_b64 s[18:19], s[18:19]
; %bb.2569:                             ;   in Loop: Header=BB6_1927 Depth=2
	v_bfe_u32 v5, v2, 23, 1
; %bb.2570:                             ;   in Loop: Header=BB6_1927 Depth=2
	s_or_b64 exec, exec, s[18:19]
	v_lshrrev_b64 v[2:3], 20, v[2:3]
	v_cmp_gt_i32_e32 vcc, 16, v5
	v_cndmask_b32_e32 v3, 0, v3, vcc
	v_cndmask_b32_e32 v2, 7, v2, vcc
	v_cmp_eq_u64_e64 s[18:19], 0, v[2:3]
	v_min_i32_e32 v3, 15, v5
	v_cmp_eq_u32_e32 vcc, 0, v5
	v_lshlrev_b32_e32 v3, 3, v3
	v_and_or_b32 v2, v2, 7, v3
	s_and_b64 s[18:19], vcc, s[18:19]
	v_cndmask_b32_e64 v2, v2, 0, s[18:19]
	v_or_b32_e32 v54, v2, v4
.LBB6_2571:                             ;   in Loop: Header=BB6_1927 Depth=2
	s_or_b64 exec, exec, s[56:57]
.LBB6_2572:                             ;   in Loop: Header=BB6_1927 Depth=2
	s_or_b64 exec, exec, s[54:55]
                                        ; implicit-def: $vgpr2
.LBB6_2573:                             ;   in Loop: Header=BB6_1927 Depth=2
	s_andn2_saveexec_b64 s[18:19], s[52:53]
; %bb.2574:                             ;   in Loop: Header=BB6_1927 Depth=2
	v_or_b32_sdwa v2, v2, s71 dst_sel:DWORD dst_unused:UNUSED_PAD src0_sel:BYTE_3 src1_sel:DWORD
	v_cmp_eq_u64_e32 vcc, 0, v[52:53]
	v_cndmask_b32_e32 v54, v2, v54, vcc
; %bb.2575:                             ;   in Loop: Header=BB6_1927 Depth=2
	s_or_b64 exec, exec, s[18:19]
	v_cmp_lt_u32_e32 vcc, s43, v16
	v_mov_b32_e32 v3, 0
	v_mov_b32_e32 v4, 0
	s_and_saveexec_b64 s[18:19], vcc
	s_cbranch_execz .LBB6_2581
; %bb.2576:                             ;   in Loop: Header=BB6_1927 Depth=2
	v_lshrrev_b32_e32 v2, 24, v16
	v_cmp_ne_u32_e32 vcc, s69, v2
	v_bfrev_b32_e32 v4, 1
	s_and_saveexec_b64 s[52:53], vcc
	s_cbranch_execz .LBB6_2580
; %bb.2577:                             ;   in Loop: Header=BB6_1927 Depth=2
	v_bfe_u32 v5, v16, 24, 7
	v_cmp_ne_u32_e32 vcc, s71, v5
	v_mov_b32_e32 v4, 0x7f800001
	s_and_saveexec_b64 s[54:55], vcc
	s_cbranch_execz .LBB6_2579
; %bb.2578:                             ;   in Loop: Header=BB6_1927 Depth=2
	v_and_b32_e32 v4, 7, v2
	v_ffbh_u32_e32 v6, v4
	v_min_u32_e32 v9, 32, v6
	v_subrev_u32_e32 v6, 28, v9
	v_lshlrev_b64 v[6:7], v6, v[2:3]
	v_lshrrev_b32_e32 v8, 3, v5
	v_sub_u32_e32 v7, 29, v9
	v_and_b32_e32 v6, 7, v6
	v_cmp_gt_u32_e32 vcc, 8, v5
	v_cndmask_b32_e32 v5, v8, v7, vcc
	v_cndmask_b32_e32 v4, v4, v6, vcc
	v_lshlrev_b32_e32 v2, 24, v2
	v_lshlrev_b32_e32 v4, 20, v4
	v_and_b32_e32 v2, 0x80000000, v2
	v_lshl_add_u32 v5, v5, 23, v29
	v_or3_b32 v4, v2, v5, v4
.LBB6_2579:                             ;   in Loop: Header=BB6_1927 Depth=2
	s_or_b64 exec, exec, s[54:55]
.LBB6_2580:                             ;   in Loop: Header=BB6_1927 Depth=2
	s_or_b64 exec, exec, s[52:53]
.LBB6_2581:                             ;   in Loop: Header=BB6_1927 Depth=2
	s_or_b64 exec, exec, s[18:19]
	v_cmp_lt_u32_e32 vcc, s43, v12
	s_and_saveexec_b64 s[18:19], vcc
	s_cbranch_execz .LBB6_2587
; %bb.2582:                             ;   in Loop: Header=BB6_1927 Depth=2
	v_lshrrev_b32_e32 v2, 24, v12
	v_cmp_ne_u32_e32 vcc, s69, v2
	v_bfrev_b32_e32 v3, 1
	s_and_saveexec_b64 s[52:53], vcc
	s_cbranch_execz .LBB6_2586
; %bb.2583:                             ;   in Loop: Header=BB6_1927 Depth=2
	v_bfe_u32 v5, v12, 24, 7
	v_cmp_ne_u32_e32 vcc, s71, v5
	v_mov_b32_e32 v3, 0x7f800001
	s_and_saveexec_b64 s[54:55], vcc
	s_cbranch_execz .LBB6_2585
; %bb.2584:                             ;   in Loop: Header=BB6_1927 Depth=2
	v_and_b32_e32 v3, 7, v2
	v_ffbh_u32_e32 v6, v3
	v_min_u32_e32 v9, 32, v6
	v_subrev_u32_e32 v6, 28, v9
	v_lshlrev_b64 v[6:7], v6, v[2:3]
	v_lshrrev_b32_e32 v8, 3, v5
	v_sub_u32_e32 v7, 29, v9
	v_and_b32_e32 v6, 7, v6
	v_cmp_gt_u32_e32 vcc, 8, v5
	v_cndmask_b32_e32 v5, v8, v7, vcc
	v_cndmask_b32_e32 v3, v3, v6, vcc
	v_lshlrev_b32_e32 v2, 24, v2
	v_lshlrev_b32_e32 v3, 20, v3
	v_and_b32_e32 v2, 0x80000000, v2
	v_lshl_add_u32 v5, v5, 23, v29
	v_or3_b32 v3, v2, v5, v3
.LBB6_2585:                             ;   in Loop: Header=BB6_1927 Depth=2
	s_or_b64 exec, exec, s[54:55]
.LBB6_2586:                             ;   in Loop: Header=BB6_1927 Depth=2
	s_or_b64 exec, exec, s[52:53]
.LBB6_2587:                             ;   in Loop: Header=BB6_1927 Depth=2
	s_or_b64 exec, exec, s[18:19]
	v_add_f32_e32 v2, v4, v3
	v_and_b32_sdwa v5, v2, s69 dst_sel:DWORD dst_unused:UNUSED_PAD src0_sel:BYTE_3 src1_sel:DWORD
	v_and_b32_e32 v6, 0x7f800000, v2
	v_mov_b32_e32 v7, v53
	v_and_b32_e32 v52, 0x7fffff, v2
	v_or_b32_e32 v4, 0x7e, v5
	v_cmp_ne_u64_e32 vcc, s[38:39], v[6:7]
	s_and_saveexec_b64 s[18:19], vcc
	s_xor_b64 s[52:53], exec, s[18:19]
	s_cbranch_execz .LBB6_2597
; %bb.2588:                             ;   in Loop: Header=BB6_1927 Depth=2
	v_and_b32_e32 v6, 0x7fffffff, v2
	v_mov_b32_e32 v7, v53
	v_cmp_gt_u64_e32 vcc, s[40:41], v[6:7]
	s_and_saveexec_b64 s[54:55], vcc
	s_cbranch_execz .LBB6_2596
; %bb.2589:                             ;   in Loop: Header=BB6_1927 Depth=2
	v_cmp_ne_u32_e32 vcc, 0, v2
	v_mov_b32_e32 v4, 0
	s_and_saveexec_b64 s[56:57], vcc
	s_cbranch_execz .LBB6_2595
; %bb.2590:                             ;   in Loop: Header=BB6_1927 Depth=2
	v_bfe_u32 v2, v2, 23, 8
	v_sub_u32_e32 v4, 0x79, v2
	v_cmp_gt_u32_e32 vcc, s72, v2
	v_cndmask_b32_e32 v4, 0, v4, vcc
	v_cmp_eq_u32_e32 vcc, 0, v2
	v_or_b32_e32 v6, 0x800000, v52
	v_cndmask_b32_e32 v4, v4, v38, vcc
	v_add_u32_e32 v3, 0xffffff81, v2
	v_cndmask_b32_e32 v52, v6, v52, vcc
	v_add_u32_e32 v2, 20, v4
	v_cndmask_b32_e32 v10, v3, v33, vcc
	v_lshlrev_b64 v[2:3], v2, -1
	v_lshrrev_b64 v[8:9], v4, v[52:53]
	v_not_b32_e32 v3, v3
	v_not_b32_e32 v2, v2
	v_add_u32_e32 v6, 19, v4
	v_lshrrev_b32_e32 v32, 23, v8
	v_and_b32_e32 v3, 0, v3
	v_and_b32_e32 v2, v52, v2
	v_lshlrev_b64 v[6:7], v6, 1
	v_add3_u32 v48, v4, v10, v32
	v_bfe_u32 v4, v8, 20, 1
	v_add_u32_e32 v4, -1, v4
	v_cmp_eq_u64_e32 vcc, v[2:3], v[6:7]
	v_cndmask_b32_e32 v2, 0, v4, vcc
	v_add_u32_e32 v2, v2, v8
	v_and_b32_e32 v2, 0xfffff, v2
	v_add_co_u32_e32 v2, vcc, v2, v8
	v_add_u32_e32 v10, 6, v48
	v_addc_co_u32_e32 v3, vcc, 0, v9, vcc
	v_cmp_ne_u32_e32 vcc, 0, v10
                                        ; implicit-def: $vgpr4
	s_and_saveexec_b64 s[18:19], vcc
	s_xor_b64 s[18:19], exec, s[18:19]
; %bb.2591:                             ;   in Loop: Header=BB6_1927 Depth=2
	v_cmp_lt_u64_e32 vcc, s[44:45], v[2:3]
	v_add_u32_e32 v4, 7, v48
	v_cndmask_b32_e64 v6, 0, 1, vcc
	v_cndmask_b32_e32 v4, v10, v4, vcc
	v_lshrrev_b64 v[2:3], v6, v[2:3]
; %bb.2592:                             ;   in Loop: Header=BB6_1927 Depth=2
	s_andn2_saveexec_b64 s[18:19], s[18:19]
; %bb.2593:                             ;   in Loop: Header=BB6_1927 Depth=2
	v_bfe_u32 v4, v2, 23, 1
; %bb.2594:                             ;   in Loop: Header=BB6_1927 Depth=2
	s_or_b64 exec, exec, s[18:19]
	v_lshrrev_b64 v[2:3], 20, v[2:3]
	v_cmp_gt_i32_e32 vcc, 16, v4
	v_cndmask_b32_e32 v3, 0, v3, vcc
	v_cndmask_b32_e32 v2, 7, v2, vcc
	v_cmp_eq_u64_e64 s[18:19], 0, v[2:3]
	v_min_i32_e32 v3, 15, v4
	v_cmp_eq_u32_e32 vcc, 0, v4
	v_lshlrev_b32_e32 v3, 3, v3
	v_and_or_b32 v2, v2, 7, v3
	s_and_b64 s[18:19], vcc, s[18:19]
	v_cndmask_b32_e64 v2, v2, 0, s[18:19]
	v_or_b32_e32 v4, v2, v5
.LBB6_2595:                             ;   in Loop: Header=BB6_1927 Depth=2
	s_or_b64 exec, exec, s[56:57]
.LBB6_2596:                             ;   in Loop: Header=BB6_1927 Depth=2
	s_or_b64 exec, exec, s[54:55]
                                        ; implicit-def: $vgpr2
.LBB6_2597:                             ;   in Loop: Header=BB6_1927 Depth=2
	s_andn2_saveexec_b64 s[18:19], s[52:53]
; %bb.2598:                             ;   in Loop: Header=BB6_1927 Depth=2
	v_or_b32_sdwa v2, v2, s71 dst_sel:DWORD dst_unused:UNUSED_PAD src0_sel:BYTE_3 src1_sel:DWORD
	v_cmp_eq_u64_e32 vcc, 0, v[52:53]
	v_cndmask_b32_e32 v4, v2, v4, vcc
; %bb.2599:                             ;   in Loop: Header=BB6_1927 Depth=2
	s_or_b64 exec, exec, s[18:19]
	v_mov_b32_e32 v52, v17
	v_cmp_ne_u16_sdwa vcc, v17, v53 src0_sel:BYTE_0 src1_sel:DWORD
	v_mov_b32_e32 v3, 0
	v_mov_b32_e32 v2, 0
	s_and_saveexec_b64 s[18:19], vcc
	s_cbranch_execz .LBB6_2605
; %bb.2600:                             ;   in Loop: Header=BB6_1927 Depth=2
	v_cmp_ne_u16_sdwa vcc, v17, s69 src0_sel:BYTE_0 src1_sel:DWORD
	v_bfrev_b32_e32 v2, 1
	s_and_saveexec_b64 s[52:53], vcc
	s_cbranch_execz .LBB6_2604
; %bb.2601:                             ;   in Loop: Header=BB6_1927 Depth=2
	v_and_b32_e32 v5, 0x7f, v17
	v_cmp_ne_u32_e32 vcc, s71, v5
	v_mov_b32_e32 v2, 0x7f800001
	s_and_saveexec_b64 s[54:55], vcc
	s_cbranch_execz .LBB6_2603
; %bb.2602:                             ;   in Loop: Header=BB6_1927 Depth=2
	v_and_b32_e32 v2, 7, v17
	v_ffbh_u32_e32 v2, v2
	v_min_u32_e32 v2, 32, v2
	v_subrev_u32_e32 v7, 28, v2
	v_cmp_gt_u32_e32 vcc, 8, v5
	v_lshrrev_b32_e32 v6, 3, v5
	v_sub_u32_e32 v2, 29, v2
	v_cndmask_b32_e32 v5, 0, v7, vcc
	v_cndmask_b32_e32 v2, v6, v2, vcc
	v_lshlrev_b64 v[6:7], v5, v[52:53]
	v_lshlrev_b32_e32 v5, 20, v6
	v_lshlrev_b32_e32 v6, 24, v52
	v_and_b32_e32 v5, 0x700000, v5
	v_and_b32_e32 v6, 0x80000000, v6
	v_lshl_add_u32 v2, v2, 23, v29
	v_or3_b32 v2, v6, v2, v5
.LBB6_2603:                             ;   in Loop: Header=BB6_1927 Depth=2
	s_or_b64 exec, exec, s[54:55]
.LBB6_2604:                             ;   in Loop: Header=BB6_1927 Depth=2
	s_or_b64 exec, exec, s[52:53]
.LBB6_2605:                             ;   in Loop: Header=BB6_1927 Depth=2
	s_or_b64 exec, exec, s[18:19]
	v_cmp_ne_u16_sdwa vcc, v13, v53 src0_sel:BYTE_0 src1_sel:DWORD
	s_and_saveexec_b64 s[18:19], vcc
	s_cbranch_execz .LBB6_2611
; %bb.2606:                             ;   in Loop: Header=BB6_1927 Depth=2
	v_cmp_ne_u16_sdwa vcc, v13, s69 src0_sel:BYTE_0 src1_sel:DWORD
	v_bfrev_b32_e32 v3, 1
	s_and_saveexec_b64 s[52:53], vcc
	s_cbranch_execz .LBB6_2610
; %bb.2607:                             ;   in Loop: Header=BB6_1927 Depth=2
	v_and_b32_e32 v5, 0x7f, v13
	v_cmp_ne_u32_e32 vcc, s71, v5
	v_mov_b32_e32 v3, 0x7f800001
	s_and_saveexec_b64 s[54:55], vcc
	s_cbranch_execz .LBB6_2609
; %bb.2608:                             ;   in Loop: Header=BB6_1927 Depth=2
	v_and_b32_e32 v3, 7, v13
	v_ffbh_u32_e32 v3, v3
	v_min_u32_e32 v3, 32, v3
	v_subrev_u32_e32 v9, 28, v3
	v_cmp_gt_u32_e32 vcc, 8, v5
	v_mov_b32_e32 v6, v13
	v_mov_b32_e32 v7, v53
	v_lshrrev_b32_e32 v8, 3, v5
	v_sub_u32_e32 v3, 29, v3
	v_cndmask_b32_e32 v5, 0, v9, vcc
	v_cndmask_b32_e32 v3, v8, v3, vcc
	v_lshlrev_b64 v[8:9], v5, v[6:7]
	v_lshlrev_b32_e32 v5, 20, v8
	v_lshlrev_b32_e32 v6, 24, v6
	v_and_b32_e32 v5, 0x700000, v5
	v_and_b32_e32 v6, 0x80000000, v6
	v_lshl_add_u32 v3, v3, 23, v29
	v_or3_b32 v3, v6, v3, v5
.LBB6_2609:                             ;   in Loop: Header=BB6_1927 Depth=2
	s_or_b64 exec, exec, s[54:55]
.LBB6_2610:                             ;   in Loop: Header=BB6_1927 Depth=2
	s_or_b64 exec, exec, s[52:53]
.LBB6_2611:                             ;   in Loop: Header=BB6_1927 Depth=2
	s_or_b64 exec, exec, s[18:19]
	v_add_f32_e32 v48, v2, v3
	v_and_b32_sdwa v10, v48, s69 dst_sel:DWORD dst_unused:UNUSED_PAD src0_sel:BYTE_3 src1_sel:DWORD
	v_and_b32_e32 v6, 0x7f800000, v48
	v_mov_b32_e32 v7, v53
	v_and_b32_e32 v2, 0x7fffff, v48
	v_mov_b32_e32 v3, v53
	v_or_b32_e32 v5, 0x7e, v10
	v_cmp_ne_u64_e32 vcc, s[38:39], v[6:7]
	s_and_saveexec_b64 s[18:19], vcc
	s_xor_b64 s[52:53], exec, s[18:19]
	s_cbranch_execz .LBB6_2621
; %bb.2612:                             ;   in Loop: Header=BB6_1927 Depth=2
	v_and_b32_e32 v6, 0x7fffffff, v48
	v_mov_b32_e32 v7, v53
	v_cmp_gt_u64_e32 vcc, s[40:41], v[6:7]
	s_and_saveexec_b64 s[54:55], vcc
	s_cbranch_execz .LBB6_2620
; %bb.2613:                             ;   in Loop: Header=BB6_1927 Depth=2
	v_cmp_ne_u32_e32 vcc, 0, v48
	v_mov_b32_e32 v5, 0
	s_and_saveexec_b64 s[56:57], vcc
	s_cbranch_execz .LBB6_2619
; %bb.2614:                             ;   in Loop: Header=BB6_1927 Depth=2
	v_bfe_u32 v5, v48, 23, 8
	v_sub_u32_e32 v7, 0x79, v5
	v_cmp_gt_u32_e32 vcc, s72, v5
	v_cndmask_b32_e32 v7, 0, v7, vcc
	v_cmp_eq_u32_e32 vcc, 0, v5
	v_add_u32_e32 v6, 0xffffff81, v5
	v_cndmask_b32_e32 v32, v7, v38, vcc
	v_cndmask_b32_e32 v5, v6, v33, vcc
	v_add_u32_e32 v6, 20, v32
	v_or_b32_e32 v8, 0x800000, v2
	v_lshlrev_b64 v[6:7], v6, -1
	v_cndmask_b32_e32 v2, v8, v2, vcc
	v_not_b32_e32 v6, v6
	v_and_b32_e32 v6, v2, v6
	v_lshrrev_b64 v[2:3], v32, v[2:3]
	v_not_b32_e32 v7, v7
	v_add_u32_e32 v8, 19, v32
	v_lshrrev_b32_e32 v33, 23, v2
	v_and_b32_e32 v7, 0, v7
	v_lshlrev_b64 v[8:9], v8, 1
	v_add3_u32 v49, v32, v5, v33
	v_bfe_u32 v5, v2, 20, 1
	v_add_u32_e32 v5, -1, v5
	v_cmp_eq_u64_e32 vcc, v[6:7], v[8:9]
	v_cndmask_b32_e32 v5, 0, v5, vcc
	v_add_u32_e32 v5, v5, v2
	v_and_b32_e32 v5, 0xfffff, v5
	v_add_co_u32_e32 v2, vcc, v5, v2
	v_add_u32_e32 v48, 6, v49
	v_addc_co_u32_e32 v3, vcc, 0, v3, vcc
	v_cmp_ne_u32_e32 vcc, 0, v48
                                        ; implicit-def: $vgpr5
	s_and_saveexec_b64 s[18:19], vcc
	s_xor_b64 s[18:19], exec, s[18:19]
; %bb.2615:                             ;   in Loop: Header=BB6_1927 Depth=2
	v_cmp_lt_u64_e32 vcc, s[44:45], v[2:3]
	v_add_u32_e32 v5, 7, v49
	v_cndmask_b32_e64 v6, 0, 1, vcc
	v_cndmask_b32_e32 v5, v48, v5, vcc
	v_lshrrev_b64 v[2:3], v6, v[2:3]
; %bb.2616:                             ;   in Loop: Header=BB6_1927 Depth=2
	s_andn2_saveexec_b64 s[18:19], s[18:19]
; %bb.2617:                             ;   in Loop: Header=BB6_1927 Depth=2
	v_bfe_u32 v5, v2, 23, 1
; %bb.2618:                             ;   in Loop: Header=BB6_1927 Depth=2
	s_or_b64 exec, exec, s[18:19]
	v_lshrrev_b64 v[2:3], 20, v[2:3]
	v_cmp_gt_i32_e32 vcc, 16, v5
	v_cndmask_b32_e32 v3, 0, v3, vcc
	v_cndmask_b32_e32 v2, 7, v2, vcc
	v_cmp_eq_u64_e64 s[18:19], 0, v[2:3]
	v_min_i32_e32 v3, 15, v5
	v_cmp_eq_u32_e32 vcc, 0, v5
	v_lshlrev_b32_e32 v3, 3, v3
	v_and_or_b32 v2, v2, 7, v3
	s_and_b64 s[18:19], vcc, s[18:19]
	v_cndmask_b32_e64 v2, v2, 0, s[18:19]
	v_or_b32_e32 v5, v2, v10
	v_mov_b32_e32 v33, 0xffffff82
.LBB6_2619:                             ;   in Loop: Header=BB6_1927 Depth=2
	s_or_b64 exec, exec, s[56:57]
.LBB6_2620:                             ;   in Loop: Header=BB6_1927 Depth=2
	s_or_b64 exec, exec, s[54:55]
                                        ; implicit-def: $vgpr48
                                        ; implicit-def: $vgpr2_vgpr3
.LBB6_2621:                             ;   in Loop: Header=BB6_1927 Depth=2
	s_andn2_saveexec_b64 s[18:19], s[52:53]
; %bb.2622:                             ;   in Loop: Header=BB6_1927 Depth=2
	v_or_b32_sdwa v6, v48, s71 dst_sel:DWORD dst_unused:UNUSED_PAD src0_sel:BYTE_3 src1_sel:DWORD
	v_cmp_eq_u64_e32 vcc, 0, v[2:3]
	v_cndmask_b32_e32 v5, v6, v5, vcc
; %bb.2623:                             ;   in Loop: Header=BB6_1927 Depth=2
	s_or_b64 exec, exec, s[18:19]
	v_lshrrev_b16_e32 v2, 8, v52
	v_cmp_ne_u16_e32 vcc, 0, v2
	v_mov_b32_e32 v3, 0
	v_mov_b32_e32 v48, 0
	s_and_saveexec_b64 s[18:19], vcc
	s_cbranch_execz .LBB6_2629
; %bb.2624:                             ;   in Loop: Header=BB6_1927 Depth=2
	v_cmp_ne_u16_e32 vcc, s69, v2
	v_bfrev_b32_e32 v48, 1
	s_and_saveexec_b64 s[52:53], vcc
	s_cbranch_execz .LBB6_2628
; %bb.2625:                             ;   in Loop: Header=BB6_1927 Depth=2
	v_and_b32_e32 v10, 0x7f, v2
	v_cmp_ne_u32_e32 vcc, s71, v10
	v_mov_b32_e32 v48, 0x7f800001
	s_and_saveexec_b64 s[54:55], vcc
	s_cbranch_execz .LBB6_2627
; %bb.2626:                             ;   in Loop: Header=BB6_1927 Depth=2
	v_and_b32_e32 v8, 7, v2
	v_ffbh_u32_e32 v6, v8
	v_min_u32_e32 v32, 32, v6
	v_subrev_u32_e32 v6, 28, v32
	v_lshlrev_b64 v[6:7], v6, v[2:3]
	v_lshrrev_b32_e32 v9, 3, v10
	v_sub_u32_e32 v2, 29, v32
	v_and_b32_e32 v6, 7, v6
	v_cmp_gt_u32_e32 vcc, 8, v10
	v_cndmask_b32_e32 v2, v9, v2, vcc
	v_cndmask_b32_e32 v6, v8, v6, vcc
	v_lshlrev_b32_e32 v7, 16, v52
	v_lshlrev_b32_e32 v6, 20, v6
	v_and_b32_e32 v7, 0x80000000, v7
	v_lshl_add_u32 v2, v2, 23, v29
	v_or3_b32 v48, v7, v2, v6
.LBB6_2627:                             ;   in Loop: Header=BB6_1927 Depth=2
	s_or_b64 exec, exec, s[54:55]
.LBB6_2628:                             ;   in Loop: Header=BB6_1927 Depth=2
	s_or_b64 exec, exec, s[52:53]
.LBB6_2629:                             ;   in Loop: Header=BB6_1927 Depth=2
	s_or_b64 exec, exec, s[18:19]
	v_mov_b32_e32 v2, v13
	v_lshrrev_b16_e32 v10, 8, v2
	v_cmp_ne_u16_e32 vcc, 0, v10
	s_and_saveexec_b64 s[18:19], vcc
	s_cbranch_execz .LBB6_2635
; %bb.2630:                             ;   in Loop: Header=BB6_1927 Depth=2
	v_cmp_ne_u16_e32 vcc, s69, v10
	v_bfrev_b32_e32 v3, 1
	s_and_saveexec_b64 s[52:53], vcc
	s_cbranch_execz .LBB6_2634
; %bb.2631:                             ;   in Loop: Header=BB6_1927 Depth=2
	v_and_b32_e32 v38, 0x7f, v10
	v_cmp_ne_u32_e32 vcc, s71, v38
	v_mov_b32_e32 v3, 0x7f800001
	s_and_saveexec_b64 s[54:55], vcc
	s_cbranch_execz .LBB6_2633
; %bb.2632:                             ;   in Loop: Header=BB6_1927 Depth=2
	v_and_b32_e32 v3, 7, v10
	v_ffbh_u32_e32 v6, v3
	v_min_u32_e32 v9, 32, v6
	v_subrev_u32_e32 v6, 28, v9
	v_lshlrev_b64 v[6:7], v6, v[10:11]
	v_lshrrev_b32_e32 v8, 3, v38
	v_sub_u32_e32 v7, 29, v9
	v_and_b32_e32 v6, 7, v6
	v_cmp_gt_u32_e32 vcc, 8, v38
	v_cndmask_b32_e32 v7, v8, v7, vcc
	v_cndmask_b32_e32 v3, v3, v6, vcc
	v_lshlrev_b32_e32 v2, 16, v2
	v_lshlrev_b32_e32 v3, 20, v3
	v_and_b32_e32 v2, 0x80000000, v2
	v_lshl_add_u32 v6, v7, 23, v29
	v_or3_b32 v3, v2, v6, v3
.LBB6_2633:                             ;   in Loop: Header=BB6_1927 Depth=2
	s_or_b64 exec, exec, s[54:55]
	v_mov_b32_e32 v38, 0x78
.LBB6_2634:                             ;   in Loop: Header=BB6_1927 Depth=2
	s_or_b64 exec, exec, s[52:53]
.LBB6_2635:                             ;   in Loop: Header=BB6_1927 Depth=2
	s_or_b64 exec, exec, s[18:19]
	v_add_f32_e32 v2, v48, v3
	v_and_b32_sdwa v48, v2, s69 dst_sel:DWORD dst_unused:UNUSED_PAD src0_sel:BYTE_3 src1_sel:DWORD
	v_and_b32_e32 v6, 0x7f800000, v2
	v_mov_b32_e32 v7, v53
	v_and_b32_e32 v52, 0x7fffff, v2
	v_or_b32_e32 v10, 0x7e, v48
	v_cmp_ne_u64_e32 vcc, s[38:39], v[6:7]
	s_and_saveexec_b64 s[18:19], vcc
	s_xor_b64 s[52:53], exec, s[18:19]
	s_cbranch_execz .LBB6_2645
; %bb.2636:                             ;   in Loop: Header=BB6_1927 Depth=2
	v_and_b32_e32 v6, 0x7fffffff, v2
	v_mov_b32_e32 v7, v53
	v_cmp_gt_u64_e32 vcc, s[40:41], v[6:7]
	s_and_saveexec_b64 s[54:55], vcc
	s_cbranch_execz .LBB6_2644
; %bb.2637:                             ;   in Loop: Header=BB6_1927 Depth=2
	v_cmp_ne_u32_e32 vcc, 0, v2
	v_mov_b32_e32 v10, 0
	s_and_saveexec_b64 s[56:57], vcc
	s_cbranch_execz .LBB6_2643
; %bb.2638:                             ;   in Loop: Header=BB6_1927 Depth=2
	v_bfe_u32 v2, v2, 23, 8
	v_sub_u32_e32 v6, 0x79, v2
	v_cmp_gt_u32_e32 vcc, s72, v2
	v_cndmask_b32_e32 v6, 0, v6, vcc
	v_cmp_eq_u32_e32 vcc, 0, v2
	v_or_b32_e32 v7, 0x800000, v52
	v_cndmask_b32_e32 v32, v6, v38, vcc
	v_add_u32_e32 v3, 0xffffff81, v2
	v_cndmask_b32_e32 v52, v7, v52, vcc
	v_add_u32_e32 v2, 20, v32
	v_cndmask_b32_e32 v10, v3, v33, vcc
	v_lshlrev_b64 v[2:3], v2, -1
	v_lshrrev_b64 v[8:9], v32, v[52:53]
	v_not_b32_e32 v3, v3
	v_not_b32_e32 v2, v2
	v_add_u32_e32 v6, 19, v32
	v_lshrrev_b32_e32 v33, 23, v8
	v_and_b32_e32 v3, 0, v3
	v_and_b32_e32 v2, v52, v2
	v_lshlrev_b64 v[6:7], v6, 1
	v_add3_u32 v52, v32, v10, v33
	v_bfe_u32 v10, v8, 20, 1
	v_add_u32_e32 v10, -1, v10
	v_cmp_eq_u64_e32 vcc, v[2:3], v[6:7]
	v_cndmask_b32_e32 v2, 0, v10, vcc
	v_add_u32_e32 v2, v2, v8
	v_and_b32_e32 v2, 0xfffff, v2
	v_add_co_u32_e32 v2, vcc, v2, v8
	v_add_u32_e32 v49, 6, v52
	v_addc_co_u32_e32 v3, vcc, 0, v9, vcc
	v_cmp_ne_u32_e32 vcc, 0, v49
                                        ; implicit-def: $vgpr10
	s_and_saveexec_b64 s[18:19], vcc
	s_xor_b64 s[18:19], exec, s[18:19]
; %bb.2639:                             ;   in Loop: Header=BB6_1927 Depth=2
	v_add_u32_e32 v6, 7, v52
	v_cmp_lt_u64_e32 vcc, s[44:45], v[2:3]
	v_cndmask_b32_e32 v10, v49, v6, vcc
	v_cndmask_b32_e64 v6, 0, 1, vcc
	v_lshrrev_b64 v[2:3], v6, v[2:3]
; %bb.2640:                             ;   in Loop: Header=BB6_1927 Depth=2
	s_andn2_saveexec_b64 s[18:19], s[18:19]
; %bb.2641:                             ;   in Loop: Header=BB6_1927 Depth=2
	v_bfe_u32 v10, v2, 23, 1
; %bb.2642:                             ;   in Loop: Header=BB6_1927 Depth=2
	s_or_b64 exec, exec, s[18:19]
	v_lshrrev_b64 v[2:3], 20, v[2:3]
	v_cmp_gt_i32_e32 vcc, 16, v10
	v_cndmask_b32_e32 v3, 0, v3, vcc
	v_cndmask_b32_e32 v2, 7, v2, vcc
	v_cmp_eq_u64_e64 s[18:19], 0, v[2:3]
	v_min_i32_e32 v3, 15, v10
	v_cmp_eq_u32_e32 vcc, 0, v10
	v_lshlrev_b32_e32 v3, 3, v3
	v_and_or_b32 v2, v2, 7, v3
	s_and_b64 s[18:19], vcc, s[18:19]
	v_cndmask_b32_e64 v2, v2, 0, s[18:19]
	v_or_b32_e32 v10, v2, v48
	v_mov_b32_e32 v33, 0xffffff82
.LBB6_2643:                             ;   in Loop: Header=BB6_1927 Depth=2
	s_or_b64 exec, exec, s[56:57]
.LBB6_2644:                             ;   in Loop: Header=BB6_1927 Depth=2
	s_or_b64 exec, exec, s[54:55]
                                        ; implicit-def: $vgpr2
.LBB6_2645:                             ;   in Loop: Header=BB6_1927 Depth=2
	s_andn2_saveexec_b64 s[18:19], s[52:53]
; %bb.2646:                             ;   in Loop: Header=BB6_1927 Depth=2
	v_or_b32_sdwa v2, v2, s71 dst_sel:DWORD dst_unused:UNUSED_PAD src0_sel:BYTE_3 src1_sel:DWORD
	v_cmp_eq_u64_e32 vcc, 0, v[52:53]
	v_cndmask_b32_e32 v10, v2, v10, vcc
; %bb.2647:                             ;   in Loop: Header=BB6_1927 Depth=2
	s_or_b64 exec, exec, s[18:19]
	v_lshrrev_b32_e32 v2, 16, v17
	v_cmp_ne_u16_sdwa vcc, v2, v53 src0_sel:BYTE_0 src1_sel:DWORD
	v_mov_b32_e32 v3, 0
	v_mov_b32_e32 v48, 0
	s_and_saveexec_b64 s[18:19], vcc
	s_cbranch_execz .LBB6_2653
; %bb.2648:                             ;   in Loop: Header=BB6_1927 Depth=2
	v_cmp_ne_u16_sdwa vcc, v2, s69 src0_sel:BYTE_0 src1_sel:DWORD
	v_bfrev_b32_e32 v48, 1
	s_and_saveexec_b64 s[52:53], vcc
	s_cbranch_execz .LBB6_2652
; %bb.2649:                             ;   in Loop: Header=BB6_1927 Depth=2
	v_bfe_u32 v38, v17, 16, 7
	v_cmp_ne_u32_e32 vcc, s71, v38
	v_mov_b32_e32 v48, 0x7f800001
	s_and_saveexec_b64 s[54:55], vcc
	s_cbranch_execz .LBB6_2651
; %bb.2650:                             ;   in Loop: Header=BB6_1927 Depth=2
	v_and_b32_e32 v8, 7, v2
	v_ffbh_u32_e32 v6, v8
	v_min_u32_e32 v32, 32, v6
	v_subrev_u32_e32 v6, 28, v32
	v_lshlrev_b64 v[6:7], v6, v[2:3]
	v_lshrrev_b32_e32 v9, 3, v38
	v_sub_u32_e32 v7, 29, v32
	v_and_b32_e32 v6, 7, v6
	v_cmp_gt_u32_e32 vcc, 8, v38
	v_cndmask_b32_e32 v7, v9, v7, vcc
	v_cndmask_b32_e32 v6, v8, v6, vcc
	v_lshlrev_b32_e32 v2, 24, v2
	v_lshlrev_b32_e32 v6, 20, v6
	v_and_b32_e32 v2, 0x80000000, v2
	v_lshl_add_u32 v7, v7, 23, v29
	v_or3_b32 v48, v2, v7, v6
.LBB6_2651:                             ;   in Loop: Header=BB6_1927 Depth=2
	s_or_b64 exec, exec, s[54:55]
	v_mov_b32_e32 v38, 0x78
.LBB6_2652:                             ;   in Loop: Header=BB6_1927 Depth=2
	s_or_b64 exec, exec, s[52:53]
.LBB6_2653:                             ;   in Loop: Header=BB6_1927 Depth=2
	s_or_b64 exec, exec, s[18:19]
	v_lshrrev_b32_e32 v2, 16, v13
	v_cmp_ne_u16_sdwa vcc, v2, v53 src0_sel:BYTE_0 src1_sel:DWORD
	s_and_saveexec_b64 s[18:19], vcc
	s_cbranch_execz .LBB6_2659
; %bb.2654:                             ;   in Loop: Header=BB6_1927 Depth=2
	v_cmp_ne_u16_sdwa vcc, v2, s69 src0_sel:BYTE_0 src1_sel:DWORD
	v_bfrev_b32_e32 v3, 1
	s_and_saveexec_b64 s[52:53], vcc
	s_cbranch_execz .LBB6_2658
; %bb.2655:                             ;   in Loop: Header=BB6_1927 Depth=2
	v_bfe_u32 v38, v13, 16, 7
	v_cmp_ne_u32_e32 vcc, s71, v38
	v_mov_b32_e32 v3, 0x7f800001
	s_and_saveexec_b64 s[54:55], vcc
	s_cbranch_execz .LBB6_2657
; %bb.2656:                             ;   in Loop: Header=BB6_1927 Depth=2
	v_and_b32_e32 v6, 7, v2
	v_ffbh_u32_e32 v3, v6
	v_min_u32_e32 v8, 32, v3
	v_subrev_u32_e32 v3, 28, v8
	v_lshlrev_b64 v[2:3], v3, v[2:3]
	v_lshrrev_b32_e32 v7, 3, v38
	v_sub_u32_e32 v3, 29, v8
	v_and_b32_e32 v2, 7, v2
	v_cmp_gt_u32_e32 vcc, 8, v38
	v_cndmask_b32_e32 v3, v7, v3, vcc
	v_cndmask_b32_e32 v2, v6, v2, vcc
	v_lshlrev_b32_e32 v6, 8, v13
	v_lshlrev_b32_e32 v2, 20, v2
	v_and_b32_e32 v6, 0x80000000, v6
	v_lshl_add_u32 v3, v3, 23, v29
	v_or3_b32 v3, v6, v3, v2
.LBB6_2657:                             ;   in Loop: Header=BB6_1927 Depth=2
	s_or_b64 exec, exec, s[54:55]
	v_mov_b32_e32 v38, 0x78
.LBB6_2658:                             ;   in Loop: Header=BB6_1927 Depth=2
	s_or_b64 exec, exec, s[52:53]
.LBB6_2659:                             ;   in Loop: Header=BB6_1927 Depth=2
	s_or_b64 exec, exec, s[18:19]
	v_add_f32_e32 v2, v48, v3
	v_and_b32_sdwa v49, v2, s69 dst_sel:DWORD dst_unused:UNUSED_PAD src0_sel:BYTE_3 src1_sel:DWORD
	v_and_b32_e32 v6, 0x7f800000, v2
	v_mov_b32_e32 v7, v53
	v_and_b32_e32 v52, 0x7fffff, v2
	v_or_b32_e32 v48, 0x7e, v49
	v_cmp_ne_u64_e32 vcc, s[38:39], v[6:7]
	s_and_saveexec_b64 s[18:19], vcc
	s_xor_b64 s[52:53], exec, s[18:19]
	s_cbranch_execz .LBB6_2669
; %bb.2660:                             ;   in Loop: Header=BB6_1927 Depth=2
	v_and_b32_e32 v6, 0x7fffffff, v2
	v_mov_b32_e32 v7, v53
	v_cmp_gt_u64_e32 vcc, s[40:41], v[6:7]
	s_and_saveexec_b64 s[54:55], vcc
	s_cbranch_execz .LBB6_2668
; %bb.2661:                             ;   in Loop: Header=BB6_1927 Depth=2
	v_cmp_ne_u32_e32 vcc, 0, v2
	v_mov_b32_e32 v48, 0
	s_and_saveexec_b64 s[56:57], vcc
	s_cbranch_execz .LBB6_2667
; %bb.2662:                             ;   in Loop: Header=BB6_1927 Depth=2
	v_bfe_u32 v2, v2, 23, 8
	v_sub_u32_e32 v6, 0x79, v2
	v_cmp_gt_u32_e32 vcc, s72, v2
	v_add_u32_e32 v3, 0xffffff81, v2
	v_cndmask_b32_e32 v6, 0, v6, vcc
	v_cmp_eq_u32_e32 vcc, 0, v2
	v_or_b32_e32 v7, 0x800000, v52
	v_cndmask_b32_e32 v32, v3, v33, vcc
	v_cndmask_b32_e32 v33, v6, v38, vcc
	v_cndmask_b32_e32 v52, v7, v52, vcc
	v_add_u32_e32 v2, 20, v33
	v_lshlrev_b64 v[2:3], v2, -1
	v_lshrrev_b64 v[8:9], v33, v[52:53]
	v_not_b32_e32 v3, v3
	v_not_b32_e32 v2, v2
	v_add_u32_e32 v6, 19, v33
	v_lshrrev_b32_e32 v38, 23, v8
	v_and_b32_e32 v3, 0, v3
	v_and_b32_e32 v2, v52, v2
	v_lshlrev_b64 v[6:7], v6, 1
	v_add3_u32 v38, v33, v32, v38
	v_bfe_u32 v32, v8, 20, 1
	v_add_u32_e32 v32, -1, v32
	v_cmp_eq_u64_e32 vcc, v[2:3], v[6:7]
	v_cndmask_b32_e32 v2, 0, v32, vcc
	v_add_u32_e32 v2, v2, v8
	v_and_b32_e32 v2, 0xfffff, v2
	v_add_co_u32_e32 v2, vcc, v2, v8
	v_add_u32_e32 v52, 6, v38
	v_addc_co_u32_e32 v3, vcc, 0, v9, vcc
	v_cmp_ne_u32_e32 vcc, 0, v52
                                        ; implicit-def: $vgpr48
	s_and_saveexec_b64 s[18:19], vcc
	s_xor_b64 s[18:19], exec, s[18:19]
; %bb.2663:                             ;   in Loop: Header=BB6_1927 Depth=2
	v_add_u32_e32 v6, 7, v38
	v_cmp_lt_u64_e32 vcc, s[44:45], v[2:3]
	v_cndmask_b32_e32 v48, v52, v6, vcc
	v_cndmask_b32_e64 v6, 0, 1, vcc
	v_lshrrev_b64 v[2:3], v6, v[2:3]
; %bb.2664:                             ;   in Loop: Header=BB6_1927 Depth=2
	s_andn2_saveexec_b64 s[18:19], s[18:19]
; %bb.2665:                             ;   in Loop: Header=BB6_1927 Depth=2
	v_bfe_u32 v48, v2, 23, 1
; %bb.2666:                             ;   in Loop: Header=BB6_1927 Depth=2
	s_or_b64 exec, exec, s[18:19]
	v_lshrrev_b64 v[2:3], 20, v[2:3]
	v_cmp_gt_i32_e32 vcc, 16, v48
	v_cndmask_b32_e32 v3, 0, v3, vcc
	v_cndmask_b32_e32 v2, 7, v2, vcc
	v_cmp_eq_u64_e64 s[18:19], 0, v[2:3]
	v_min_i32_e32 v3, 15, v48
	v_lshlrev_b32_e32 v3, 3, v3
	v_cmp_eq_u32_e32 vcc, 0, v48
	v_and_b32_e32 v3, 0xf8, v3
	v_and_or_b32 v2, v2, 7, v3
	s_and_b64 s[18:19], vcc, s[18:19]
	v_cndmask_b32_e64 v2, v2, 0, s[18:19]
	v_or_b32_e32 v48, v2, v49
	v_mov_b32_e32 v33, 0xffffff82
	v_mov_b32_e32 v38, 0x78
.LBB6_2667:                             ;   in Loop: Header=BB6_1927 Depth=2
	s_or_b64 exec, exec, s[56:57]
.LBB6_2668:                             ;   in Loop: Header=BB6_1927 Depth=2
	s_or_b64 exec, exec, s[54:55]
                                        ; implicit-def: $vgpr2
.LBB6_2669:                             ;   in Loop: Header=BB6_1927 Depth=2
	s_andn2_saveexec_b64 s[18:19], s[52:53]
; %bb.2670:                             ;   in Loop: Header=BB6_1927 Depth=2
	v_or_b32_sdwa v2, v2, s71 dst_sel:DWORD dst_unused:UNUSED_PAD src0_sel:BYTE_3 src1_sel:DWORD
	v_cmp_eq_u64_e32 vcc, 0, v[52:53]
	v_cndmask_b32_e32 v48, v2, v48, vcc
; %bb.2671:                             ;   in Loop: Header=BB6_1927 Depth=2
	s_or_b64 exec, exec, s[18:19]
	v_cmp_lt_u64_e32 vcc, s[42:43], v[16:17]
	v_mov_b32_e32 v3, 0
	v_mov_b32_e32 v16, 0
	s_and_saveexec_b64 s[18:19], vcc
	s_cbranch_execz .LBB6_2677
; %bb.2672:                             ;   in Loop: Header=BB6_1927 Depth=2
	v_lshrrev_b32_e32 v2, 24, v17
	v_cmp_ne_u32_e32 vcc, s69, v2
	v_bfrev_b32_e32 v16, 1
	s_and_saveexec_b64 s[52:53], vcc
	s_cbranch_execz .LBB6_2676
; %bb.2673:                             ;   in Loop: Header=BB6_1927 Depth=2
	v_bfe_u32 v17, v17, 24, 7
	v_cmp_ne_u32_e32 vcc, s71, v17
	v_mov_b32_e32 v16, 0x7f800001
	s_and_saveexec_b64 s[54:55], vcc
	s_cbranch_execz .LBB6_2675
; %bb.2674:                             ;   in Loop: Header=BB6_1927 Depth=2
	v_and_b32_e32 v8, 7, v2
	v_ffbh_u32_e32 v6, v8
	v_min_u32_e32 v16, 32, v6
	v_subrev_u32_e32 v6, 28, v16
	v_lshlrev_b64 v[6:7], v6, v[2:3]
	v_lshrrev_b32_e32 v9, 3, v17
	v_sub_u32_e32 v7, 29, v16
	v_and_b32_e32 v6, 7, v6
	v_cmp_gt_u32_e32 vcc, 8, v17
	v_cndmask_b32_e32 v7, v9, v7, vcc
	v_cndmask_b32_e32 v6, v8, v6, vcc
	v_lshlrev_b32_e32 v2, 24, v2
	v_lshlrev_b32_e32 v6, 20, v6
	v_and_b32_e32 v2, 0x80000000, v2
	v_lshl_add_u32 v7, v7, 23, v29
	v_or3_b32 v16, v2, v7, v6
.LBB6_2675:                             ;   in Loop: Header=BB6_1927 Depth=2
	s_or_b64 exec, exec, s[54:55]
.LBB6_2676:                             ;   in Loop: Header=BB6_1927 Depth=2
	s_or_b64 exec, exec, s[52:53]
.LBB6_2677:                             ;   in Loop: Header=BB6_1927 Depth=2
	s_or_b64 exec, exec, s[18:19]
	v_cmp_lt_u64_e32 vcc, s[42:43], v[12:13]
	s_and_saveexec_b64 s[18:19], vcc
	s_cbranch_execz .LBB6_2683
; %bb.2678:                             ;   in Loop: Header=BB6_1927 Depth=2
	v_lshrrev_b32_e32 v2, 24, v13
	v_cmp_ne_u32_e32 vcc, s69, v2
	v_bfrev_b32_e32 v3, 1
	s_and_saveexec_b64 s[52:53], vcc
	s_cbranch_execz .LBB6_2682
; %bb.2679:                             ;   in Loop: Header=BB6_1927 Depth=2
	v_bfe_u32 v12, v13, 24, 7
	v_cmp_ne_u32_e32 vcc, s71, v12
	v_mov_b32_e32 v3, 0x7f800001
	s_and_saveexec_b64 s[54:55], vcc
	s_cbranch_execz .LBB6_2681
; %bb.2680:                             ;   in Loop: Header=BB6_1927 Depth=2
	v_and_b32_e32 v3, 7, v2
	v_ffbh_u32_e32 v6, v3
	v_min_u32_e32 v9, 32, v6
	v_subrev_u32_e32 v6, 28, v9
	v_lshlrev_b64 v[6:7], v6, v[2:3]
	v_lshrrev_b32_e32 v8, 3, v12
	v_sub_u32_e32 v7, 29, v9
	v_and_b32_e32 v6, 7, v6
	v_cmp_gt_u32_e32 vcc, 8, v12
	v_cndmask_b32_e32 v7, v8, v7, vcc
	v_cndmask_b32_e32 v3, v3, v6, vcc
	v_lshlrev_b32_e32 v2, 24, v2
	v_lshlrev_b32_e32 v3, 20, v3
	v_and_b32_e32 v2, 0x80000000, v2
	v_lshl_add_u32 v6, v7, 23, v29
	v_or3_b32 v3, v2, v6, v3
.LBB6_2681:                             ;   in Loop: Header=BB6_1927 Depth=2
	s_or_b64 exec, exec, s[54:55]
.LBB6_2682:                             ;   in Loop: Header=BB6_1927 Depth=2
	s_or_b64 exec, exec, s[52:53]
.LBB6_2683:                             ;   in Loop: Header=BB6_1927 Depth=2
	s_or_b64 exec, exec, s[18:19]
	v_add_f32_e32 v3, v16, v3
	v_and_b32_sdwa v12, v3, s69 dst_sel:DWORD dst_unused:UNUSED_PAD src0_sel:BYTE_3 src1_sel:DWORD
	v_and_b32_e32 v6, 0x7f800000, v3
	v_mov_b32_e32 v7, v53
	v_and_b32_e32 v52, 0x7fffff, v3
	v_or_b32_e32 v2, 0x7e, v12
	v_cmp_ne_u64_e32 vcc, s[38:39], v[6:7]
	s_and_saveexec_b64 s[18:19], vcc
	s_xor_b64 s[52:53], exec, s[18:19]
	s_cbranch_execz .LBB6_2693
; %bb.2684:                             ;   in Loop: Header=BB6_1927 Depth=2
	v_and_b32_e32 v6, 0x7fffffff, v3
	v_mov_b32_e32 v7, v53
	v_cmp_gt_u64_e32 vcc, s[40:41], v[6:7]
	s_and_saveexec_b64 s[54:55], vcc
	s_cbranch_execz .LBB6_2692
; %bb.2685:                             ;   in Loop: Header=BB6_1927 Depth=2
	v_cmp_ne_u32_e32 vcc, 0, v3
	v_mov_b32_e32 v2, 0
	s_and_saveexec_b64 s[56:57], vcc
	s_cbranch_execz .LBB6_2691
; %bb.2686:                             ;   in Loop: Header=BB6_1927 Depth=2
	v_bfe_u32 v2, v3, 23, 8
	v_sub_u32_e32 v6, 0x79, v2
	v_cmp_gt_u32_e32 vcc, s72, v2
	v_cndmask_b32_e32 v6, 0, v6, vcc
	v_cmp_eq_u32_e32 vcc, 0, v2
	v_or_b32_e32 v7, 0x800000, v52
	v_cndmask_b32_e32 v16, v6, v38, vcc
	v_add_u32_e32 v3, 0xffffff81, v2
	v_cndmask_b32_e32 v52, v7, v52, vcc
	v_add_u32_e32 v2, 20, v16
	v_cndmask_b32_e32 v13, v3, v33, vcc
	v_lshlrev_b64 v[2:3], v2, -1
	v_lshrrev_b64 v[8:9], v16, v[52:53]
	v_not_b32_e32 v3, v3
	v_not_b32_e32 v2, v2
	v_add_u32_e32 v6, 19, v16
	v_lshrrev_b32_e32 v17, 23, v8
	v_and_b32_e32 v3, 0, v3
	v_and_b32_e32 v2, v52, v2
	v_lshlrev_b64 v[6:7], v6, 1
	v_add3_u32 v17, v16, v13, v17
	v_bfe_u32 v13, v8, 20, 1
	v_add_u32_e32 v13, -1, v13
	v_cmp_eq_u64_e32 vcc, v[2:3], v[6:7]
	v_cndmask_b32_e32 v2, 0, v13, vcc
	v_add_u32_e32 v2, v2, v8
	v_and_b32_e32 v2, 0xfffff, v2
	v_add_co_u32_e32 v2, vcc, v2, v8
	v_add_u32_e32 v16, 6, v17
	v_addc_co_u32_e32 v3, vcc, 0, v9, vcc
	v_cmp_ne_u32_e32 vcc, 0, v16
                                        ; implicit-def: $vgpr13
	s_and_saveexec_b64 s[18:19], vcc
	s_xor_b64 s[18:19], exec, s[18:19]
; %bb.2687:                             ;   in Loop: Header=BB6_1927 Depth=2
	v_add_u32_e32 v6, 7, v17
	v_cmp_lt_u64_e32 vcc, s[44:45], v[2:3]
	v_cndmask_b32_e32 v13, v16, v6, vcc
	v_cndmask_b32_e64 v6, 0, 1, vcc
	v_lshrrev_b64 v[2:3], v6, v[2:3]
; %bb.2688:                             ;   in Loop: Header=BB6_1927 Depth=2
	s_andn2_saveexec_b64 s[18:19], s[18:19]
; %bb.2689:                             ;   in Loop: Header=BB6_1927 Depth=2
	v_bfe_u32 v13, v2, 23, 1
; %bb.2690:                             ;   in Loop: Header=BB6_1927 Depth=2
	s_or_b64 exec, exec, s[18:19]
	v_lshrrev_b64 v[2:3], 20, v[2:3]
	v_cmp_gt_i32_e32 vcc, 16, v13
	v_cndmask_b32_e32 v3, 0, v3, vcc
	v_cndmask_b32_e32 v2, 7, v2, vcc
	v_cmp_eq_u64_e64 s[18:19], 0, v[2:3]
	v_min_i32_e32 v3, 15, v13
	v_lshlrev_b32_e32 v3, 3, v3
	v_cmp_eq_u32_e32 vcc, 0, v13
	v_and_b32_e32 v3, 0xf8, v3
	v_and_or_b32 v2, v2, 7, v3
	s_and_b64 s[18:19], vcc, s[18:19]
	v_cndmask_b32_e64 v2, v2, 0, s[18:19]
	v_or_b32_e32 v2, v2, v12
.LBB6_2691:                             ;   in Loop: Header=BB6_1927 Depth=2
	s_or_b64 exec, exec, s[56:57]
.LBB6_2692:                             ;   in Loop: Header=BB6_1927 Depth=2
	s_or_b64 exec, exec, s[54:55]
                                        ; implicit-def: $vgpr3
.LBB6_2693:                             ;   in Loop: Header=BB6_1927 Depth=2
	s_andn2_saveexec_b64 s[18:19], s[52:53]
	s_cbranch_execz .LBB6_1926
; %bb.2694:                             ;   in Loop: Header=BB6_1927 Depth=2
	v_or_b32_sdwa v3, v3, s71 dst_sel:DWORD dst_unused:UNUSED_PAD src0_sel:BYTE_3 src1_sel:DWORD
	v_cmp_eq_u64_e32 vcc, 0, v[52:53]
	v_cndmask_b32_e32 v2, v3, v2, vcc
	s_branch .LBB6_1926
.LBB6_2695:                             ;   in Loop: Header=BB6_1854 Depth=1
	s_or_b64 exec, exec, s[50:51]
	v_accvgpr_read_b32 v46, a2
	v_accvgpr_read_b32 v54, a3
	;; [unrolled: 1-line block ×7, first 2 shown]
.LBB6_2696:                             ;   in Loop: Header=BB6_1854 Depth=1
	s_or_b64 exec, exec, s[20:21]
	v_and_b32_e32 v3, 0x3ffff800, v56
	v_cmp_ne_u32_e32 vcc, v3, v56
	s_mov_b64 s[18:19], 0
	v_mov_b32_e32 v0, 0
                                        ; implicit-def: $vgpr1
                                        ; implicit-def: $vgpr16
                                        ; implicit-def: $vgpr2
	s_and_saveexec_b64 s[50:51], vcc
	s_cbranch_execz .LBB6_3088
; %bb.2697:                             ;   in Loop: Header=BB6_1854 Depth=1
	v_lshlrev_b32_e32 v0, 6, v41
	v_accvgpr_read_b32 v1, a19
	v_sub_u32_e32 v0, v1, v0
	v_ashrrev_i32_e32 v1, 31, v0
	v_lshrrev_b32_e32 v1, 26, v1
	v_add_u32_e32 v1, v0, v1
	v_ashrrev_i32_e32 v4, 6, v1
	v_and_b32_e32 v1, 0xffffffc0, v1
	v_and_b32_e32 v2, 0x7ff, v56
	v_sub_u32_e32 v25, v0, v1
	v_and_b32_e32 v6, 0x400, v56
	v_lshlrev_b32_e32 v0, 4, v25
	v_sub_u32_e32 v27, v2, v6
	v_lshl_add_u32 v1, v4, 10, v0
	v_bfe_u32 v5, v56, 10, 1
	v_cmp_lt_i32_e32 vcc, 15, v27
	v_sub_u32_e32 v0, v2, v1
	v_addc_co_u32_e64 v2, s[18:19], 0, v5, vcc
	v_sub_u32_e32 v26, v2, v4
	v_cmp_lt_i32_e64 s[18:19], 15, v0
	s_mov_b64 s[52:53], exec
	s_and_b64 s[18:19], s[52:53], s[18:19]
	v_accvgpr_read_b32 v55, a31
	s_mov_b64 exec, s[18:19]
	s_cbranch_execz .LBB6_3085
; %bb.2698:                             ;   in Loop: Header=BB6_1854 Depth=1
	s_trap 2
	ds_read_b128 v[4:7], v0
	v_add_u32_e32 v1, v1, v3
	ds_read_b64 v[2:3], v0
	v_ashrrev_i32_e32 v8, 31, v1
	s_mov_b64 s[54:55], 0
	s_waitcnt lgkmcnt(0)
	v_add_co_u32_e64 v18, s[18:19], v4, v1
	v_addc_co_u32_e64 v19, s[18:19], v5, v8, s[18:19]
	v_add_co_u32_e64 v20, s[18:19], v6, v1
	v_addc_co_u32_e64 v21, s[18:19], v7, v8, s[18:19]
	s_waitcnt lgkmcnt(0)
	v_add_co_u32_e64 v22, s[18:19], v2, v1
	v_addc_co_u32_e64 v23, s[18:19], v3, v8, s[18:19]
	s_branch .LBB6_2700
.LBB6_2699:                             ;   in Loop: Header=BB6_2700 Depth=2
	s_or_b64 exec, exec, s[20:21]
	v_lshlrev_b32_e32 v3, 8, v24
	v_perm_b32 v3, v3, v31, s73
	v_lshl_or_b32 v3, v35, 16, v3
	v_lshl_or_b32 v7, v11, 24, v3
	v_and_b32_e32 v3, 0xff, v34
	v_lshlrev_b32_e32 v8, 8, v28
	v_lshlrev_b32_e32 v6, 24, v30
	;; [unrolled: 1-line block ×3, first 2 shown]
	v_perm_b32 v1, v8, v1, s73
	v_or3_b32 v6, v6, v3, v1
	v_and_b32_e32 v1, 0xff, v50
	v_lshlrev_b32_e32 v3, 24, v4
	v_lshlrev_b32_e32 v4, 8, v15
	;; [unrolled: 1-line block ×3, first 2 shown]
	v_perm_b32 v4, v4, v14, s73
	v_or3_b32 v8, v3, v1, v4
	v_lshlrev_b32_e32 v1, 8, v10
	v_add_co_u32_e64 v18, s[18:19], v18, v60
	v_perm_b32 v1, v1, v5, s73
	v_addc_co_u32_e64 v19, s[18:19], v19, v61, s[18:19]
	v_lshl_or_b32 v1, v48, 16, v1
	v_add_co_u32_e64 v20, s[18:19], v20, v60
	v_lshl_or_b32 v9, v2, 24, v1
	v_addc_co_u32_e64 v21, s[18:19], v21, v61, s[18:19]
	global_store_dwordx4 v[22:23], v[6:9], off glc slc
	v_add_co_u32_e64 v22, s[18:19], v22, v60
	v_addc_co_u32_e64 v23, s[18:19], v23, v61, s[18:19]
	v_sub_u32_e32 v0, v0, v55
	v_cmp_gt_i32_e64 s[18:19], 16, v0
	v_accvgpr_read_b32 v2, a26
	s_or_b64 s[54:55], s[18:19], s[54:55]
	v_sub_u32_e32 v26, v26, v2
	s_andn2_b64 exec, exec, s[54:55]
	s_cbranch_execz .LBB6_3084
.LBB6_2700:                             ;   Parent Loop BB6_1854 Depth=1
                                        ; =>  This Inner Loop Header: Depth=2
	global_load_dwordx4 v[14:17], v[18:19], off glc slc
	global_load_dwordx4 v[10:13], v[20:21], off glc slc
	v_mov_b32_e32 v1, 0
	v_mov_b32_e32 v2, 0
	s_waitcnt vmcnt(0)
	v_cmp_ne_u16_sdwa s[18:19], v14, v53 src0_sel:BYTE_0 src1_sel:DWORD
	s_and_saveexec_b64 s[20:21], s[18:19]
	s_cbranch_execz .LBB6_2706
; %bb.2701:                             ;   in Loop: Header=BB6_2700 Depth=2
	v_cmp_ne_u16_sdwa s[18:19], v14, s69 src0_sel:BYTE_0 src1_sel:DWORD
	v_bfrev_b32_e32 v2, 1
	s_and_saveexec_b64 s[56:57], s[18:19]
	s_cbranch_execz .LBB6_2705
; %bb.2702:                             ;   in Loop: Header=BB6_2700 Depth=2
	v_and_b32_e32 v3, 0x7f, v14
	v_cmp_ne_u32_e64 s[18:19], s71, v3
	v_mov_b32_e32 v2, 0x7f800001
	s_and_saveexec_b64 s[58:59], s[18:19]
	s_cbranch_execz .LBB6_2704
; %bb.2703:                             ;   in Loop: Header=BB6_2700 Depth=2
	v_and_b32_e32 v2, 7, v14
	v_ffbh_u32_e32 v2, v2
	v_min_u32_e32 v2, 32, v2
	v_lshrrev_b32_e32 v4, 3, v3
	v_subrev_u32_e32 v5, 28, v2
	v_sub_u32_e32 v2, 29, v2
	v_cmp_gt_u32_e64 s[18:19], 8, v3
	v_cndmask_b32_e64 v4, v4, v2, s[18:19]
	v_cndmask_b32_e64 v2, 0, v5, s[18:19]
	v_lshlrev_b64 v[2:3], v2, v[14:15]
	v_lshlrev_b32_e32 v2, 20, v2
	v_lshlrev_b32_e32 v3, 24, v14
	v_and_b32_e32 v2, 0x700000, v2
	v_and_b32_e32 v3, 0x80000000, v3
	v_lshl_add_u32 v4, v4, 23, v29
	v_or3_b32 v2, v3, v4, v2
.LBB6_2704:                             ;   in Loop: Header=BB6_2700 Depth=2
	s_or_b64 exec, exec, s[58:59]
.LBB6_2705:                             ;   in Loop: Header=BB6_2700 Depth=2
	s_or_b64 exec, exec, s[56:57]
.LBB6_2706:                             ;   in Loop: Header=BB6_2700 Depth=2
	s_or_b64 exec, exec, s[20:21]
	s_waitcnt vmcnt(0)
	v_cmp_ne_u16_sdwa s[18:19], v10, v53 src0_sel:BYTE_0 src1_sel:DWORD
	s_and_saveexec_b64 s[20:21], s[18:19]
	s_cbranch_execz .LBB6_2712
; %bb.2707:                             ;   in Loop: Header=BB6_2700 Depth=2
	v_cmp_ne_u16_sdwa s[18:19], v10, s69 src0_sel:BYTE_0 src1_sel:DWORD
	v_bfrev_b32_e32 v1, 1
	s_and_saveexec_b64 s[56:57], s[18:19]
	s_cbranch_execz .LBB6_2711
; %bb.2708:                             ;   in Loop: Header=BB6_2700 Depth=2
	v_and_b32_e32 v3, 0x7f, v10
	v_cmp_ne_u32_e64 s[18:19], s71, v3
	v_mov_b32_e32 v1, 0x7f800001
	s_and_saveexec_b64 s[58:59], s[18:19]
	s_cbranch_execz .LBB6_2710
; %bb.2709:                             ;   in Loop: Header=BB6_2700 Depth=2
	v_and_b32_e32 v1, 7, v10
	v_ffbh_u32_e32 v1, v1
	v_min_u32_e32 v1, 32, v1
	v_subrev_u32_e32 v5, 28, v1
	v_cmp_gt_u32_e64 s[18:19], 8, v3
	v_lshrrev_b32_e32 v4, 3, v3
	v_sub_u32_e32 v1, 29, v1
	v_cndmask_b32_e64 v3, 0, v5, s[18:19]
	v_cndmask_b32_e64 v1, v4, v1, s[18:19]
	v_lshlrev_b64 v[4:5], v3, v[10:11]
	v_lshlrev_b32_e32 v3, 20, v4
	v_lshlrev_b32_e32 v4, 24, v10
	v_and_b32_e32 v3, 0x700000, v3
	v_and_b32_e32 v4, 0x80000000, v4
	v_lshl_add_u32 v1, v1, 23, v29
	v_or3_b32 v1, v4, v1, v3
.LBB6_2710:                             ;   in Loop: Header=BB6_2700 Depth=2
	s_or_b64 exec, exec, s[58:59]
.LBB6_2711:                             ;   in Loop: Header=BB6_2700 Depth=2
	s_or_b64 exec, exec, s[56:57]
.LBB6_2712:                             ;   in Loop: Header=BB6_2700 Depth=2
	s_or_b64 exec, exec, s[20:21]
	v_add_f32_e32 v2, v2, v1
	v_and_b32_sdwa v4, v2, s69 dst_sel:DWORD dst_unused:UNUSED_PAD src0_sel:BYTE_3 src1_sel:DWORD
	v_and_b32_e32 v6, 0x7f800000, v2
	v_mov_b32_e32 v7, v53
	v_and_b32_e32 v52, 0x7fffff, v2
	v_or_b32_e32 v1, 0x7e, v4
	v_cmp_ne_u64_e64 s[18:19], s[38:39], v[6:7]
	s_and_saveexec_b64 s[20:21], s[18:19]
	s_xor_b64 s[56:57], exec, s[20:21]
	s_cbranch_execz .LBB6_2722
; %bb.2713:                             ;   in Loop: Header=BB6_2700 Depth=2
	v_and_b32_e32 v6, 0x7fffffff, v2
	v_mov_b32_e32 v7, v53
	v_cmp_gt_u64_e64 s[18:19], s[40:41], v[6:7]
	s_and_saveexec_b64 s[58:59], s[18:19]
	s_cbranch_execz .LBB6_2721
; %bb.2714:                             ;   in Loop: Header=BB6_2700 Depth=2
	v_cmp_ne_u32_e64 s[18:19], 0, v2
	v_mov_b32_e32 v1, 0
	s_and_saveexec_b64 s[60:61], s[18:19]
	s_cbranch_execz .LBB6_2720
; %bb.2715:                             ;   in Loop: Header=BB6_2700 Depth=2
	v_bfe_u32 v1, v2, 23, 8
	v_sub_u32_e32 v3, 0x79, v1
	v_cmp_gt_u32_e64 s[18:19], s72, v1
	v_cndmask_b32_e64 v3, 0, v3, s[18:19]
	v_cmp_eq_u32_e64 s[18:19], 0, v1
	v_add_u32_e32 v2, 0xffffff81, v1
	v_or_b32_e32 v5, 0x800000, v52
	v_cndmask_b32_e64 v24, v3, v38, s[18:19]
	v_cndmask_b32_e64 v1, v2, v33, s[18:19]
	;; [unrolled: 1-line block ×3, first 2 shown]
	v_add_u32_e32 v2, 20, v24
	v_lshlrev_b64 v[2:3], v2, -1
	v_add_u32_e32 v5, 19, v24
	v_lshrrev_b64 v[8:9], v24, v[52:53]
	v_not_b32_e32 v3, v3
	v_not_b32_e32 v2, v2
	v_lshlrev_b64 v[6:7], v5, 1
	v_lshrrev_b32_e32 v5, 23, v8
	v_and_b32_e32 v3, 0, v3
	v_and_b32_e32 v2, v52, v2
	v_add3_u32 v24, v24, v1, v5
	v_bfe_u32 v1, v8, 20, 1
	v_add_u32_e32 v1, -1, v1
	v_cmp_eq_u64_e64 s[18:19], v[2:3], v[6:7]
	v_cndmask_b32_e64 v1, 0, v1, s[18:19]
	v_add_u32_e32 v1, v1, v8
	v_and_b32_e32 v1, 0xfffff, v1
	v_add_co_u32_e64 v2, s[18:19], v1, v8
	v_add_u32_e32 v5, 6, v24
	v_addc_co_u32_e64 v3, s[18:19], 0, v9, s[18:19]
	v_cmp_ne_u32_e64 s[18:19], 0, v5
                                        ; implicit-def: $vgpr1
	s_and_saveexec_b64 s[20:21], s[18:19]
	s_xor_b64 s[20:21], exec, s[20:21]
; %bb.2716:                             ;   in Loop: Header=BB6_2700 Depth=2
	v_add_u32_e32 v1, 7, v24
	v_cmp_lt_u64_e64 s[18:19], s[44:45], v[2:3]
	v_cndmask_b32_e64 v1, v5, v1, s[18:19]
	v_cndmask_b32_e64 v5, 0, 1, s[18:19]
	v_lshrrev_b64 v[2:3], v5, v[2:3]
; %bb.2717:                             ;   in Loop: Header=BB6_2700 Depth=2
	s_andn2_saveexec_b64 s[18:19], s[20:21]
; %bb.2718:                             ;   in Loop: Header=BB6_2700 Depth=2
	v_bfe_u32 v1, v2, 23, 1
; %bb.2719:                             ;   in Loop: Header=BB6_2700 Depth=2
	s_or_b64 exec, exec, s[18:19]
	v_lshrrev_b64 v[2:3], 20, v[2:3]
	v_cmp_gt_i32_e64 s[18:19], 16, v1
	v_cndmask_b32_e64 v3, 0, v3, s[18:19]
	v_cndmask_b32_e64 v2, 7, v2, s[18:19]
	v_cmp_eq_u32_e64 s[18:19], 0, v1
	v_min_i32_e32 v1, 15, v1
	v_cmp_eq_u64_e64 s[20:21], 0, v[2:3]
	v_lshlrev_b32_e32 v1, 3, v1
	v_and_or_b32 v1, v2, 7, v1
	s_and_b64 s[18:19], s[18:19], s[20:21]
	v_cndmask_b32_e64 v1, v1, 0, s[18:19]
	v_or_b32_e32 v1, v1, v4
.LBB6_2720:                             ;   in Loop: Header=BB6_2700 Depth=2
	s_or_b64 exec, exec, s[60:61]
.LBB6_2721:                             ;   in Loop: Header=BB6_2700 Depth=2
	s_or_b64 exec, exec, s[58:59]
                                        ; implicit-def: $vgpr2
.LBB6_2722:                             ;   in Loop: Header=BB6_2700 Depth=2
	s_andn2_saveexec_b64 s[20:21], s[56:57]
; %bb.2723:                             ;   in Loop: Header=BB6_2700 Depth=2
	v_or_b32_sdwa v2, v2, s71 dst_sel:DWORD dst_unused:UNUSED_PAD src0_sel:BYTE_3 src1_sel:DWORD
	v_cmp_eq_u64_e64 s[18:19], 0, v[52:53]
	v_cndmask_b32_e64 v1, v2, v1, s[18:19]
; %bb.2724:                             ;   in Loop: Header=BB6_2700 Depth=2
	s_or_b64 exec, exec, s[20:21]
	v_lshrrev_b16_e32 v2, 8, v14
	v_cmp_ne_u16_e64 s[18:19], 0, v2
	v_mov_b32_e32 v3, 0
	v_mov_b32_e32 v4, 0
	s_and_saveexec_b64 s[20:21], s[18:19]
	s_cbranch_execz .LBB6_2730
; %bb.2725:                             ;   in Loop: Header=BB6_2700 Depth=2
	v_cmp_ne_u16_e64 s[18:19], s69, v2
	v_bfrev_b32_e32 v4, 1
	s_and_saveexec_b64 s[56:57], s[18:19]
	s_cbranch_execz .LBB6_2729
; %bb.2726:                             ;   in Loop: Header=BB6_2700 Depth=2
	v_and_b32_e32 v5, 0x7f, v2
	v_cmp_ne_u32_e64 s[18:19], s71, v5
	v_mov_b32_e32 v4, 0x7f800001
	s_and_saveexec_b64 s[58:59], s[18:19]
	s_cbranch_execz .LBB6_2728
; %bb.2727:                             ;   in Loop: Header=BB6_2700 Depth=2
	v_and_b32_e32 v4, 7, v2
	v_ffbh_u32_e32 v6, v4
	v_min_u32_e32 v9, 32, v6
	v_subrev_u32_e32 v6, 28, v9
	v_lshlrev_b64 v[6:7], v6, v[2:3]
	v_lshrrev_b32_e32 v8, 3, v5
	v_sub_u32_e32 v2, 29, v9
	v_and_b32_e32 v6, 7, v6
	v_cmp_gt_u32_e64 s[18:19], 8, v5
	v_cndmask_b32_e64 v2, v8, v2, s[18:19]
	v_cndmask_b32_e64 v4, v4, v6, s[18:19]
	v_lshlrev_b32_e32 v5, 16, v14
	v_lshlrev_b32_e32 v4, 20, v4
	v_and_b32_e32 v5, 0x80000000, v5
	v_lshl_add_u32 v2, v2, 23, v29
	v_or3_b32 v4, v5, v2, v4
.LBB6_2728:                             ;   in Loop: Header=BB6_2700 Depth=2
	s_or_b64 exec, exec, s[58:59]
.LBB6_2729:                             ;   in Loop: Header=BB6_2700 Depth=2
	s_or_b64 exec, exec, s[56:57]
.LBB6_2730:                             ;   in Loop: Header=BB6_2700 Depth=2
	s_or_b64 exec, exec, s[20:21]
	v_lshrrev_b16_e32 v2, 8, v10
	v_cmp_ne_u16_e64 s[18:19], 0, v2
	s_and_saveexec_b64 s[20:21], s[18:19]
	s_cbranch_execz .LBB6_2736
; %bb.2731:                             ;   in Loop: Header=BB6_2700 Depth=2
	v_cmp_ne_u16_e64 s[18:19], s69, v2
	v_bfrev_b32_e32 v3, 1
	s_and_saveexec_b64 s[56:57], s[18:19]
	s_cbranch_execz .LBB6_2735
; %bb.2732:                             ;   in Loop: Header=BB6_2700 Depth=2
	v_and_b32_e32 v5, 0x7f, v2
	v_cmp_ne_u32_e64 s[18:19], s71, v5
	v_mov_b32_e32 v3, 0x7f800001
	s_and_saveexec_b64 s[58:59], s[18:19]
	s_cbranch_execz .LBB6_2734
; %bb.2733:                             ;   in Loop: Header=BB6_2700 Depth=2
	v_and_b32_e32 v6, 7, v2
	v_ffbh_u32_e32 v3, v6
	v_min_u32_e32 v8, 32, v3
	v_subrev_u32_e32 v3, 28, v8
	v_lshlrev_b64 v[2:3], v3, v[2:3]
	v_lshrrev_b32_e32 v7, 3, v5
	v_sub_u32_e32 v3, 29, v8
	v_and_b32_e32 v2, 7, v2
	v_cmp_gt_u32_e64 s[18:19], 8, v5
	v_cndmask_b32_e64 v3, v7, v3, s[18:19]
	v_cndmask_b32_e64 v2, v6, v2, s[18:19]
	v_lshlrev_b32_e32 v5, 16, v10
	v_lshlrev_b32_e32 v2, 20, v2
	v_and_b32_e32 v5, 0x80000000, v5
	v_lshl_add_u32 v3, v3, 23, v29
	v_or3_b32 v3, v5, v3, v2
.LBB6_2734:                             ;   in Loop: Header=BB6_2700 Depth=2
	s_or_b64 exec, exec, s[58:59]
.LBB6_2735:                             ;   in Loop: Header=BB6_2700 Depth=2
	s_or_b64 exec, exec, s[56:57]
.LBB6_2736:                             ;   in Loop: Header=BB6_2700 Depth=2
	s_or_b64 exec, exec, s[20:21]
	v_add_f32_e32 v2, v4, v3
	v_and_b32_sdwa v4, v2, s69 dst_sel:DWORD dst_unused:UNUSED_PAD src0_sel:BYTE_3 src1_sel:DWORD
	v_and_b32_e32 v6, 0x7f800000, v2
	v_mov_b32_e32 v7, v53
	v_and_b32_e32 v52, 0x7fffff, v2
	v_or_b32_e32 v28, 0x7e, v4
	v_cmp_ne_u64_e64 s[18:19], s[38:39], v[6:7]
	s_and_saveexec_b64 s[20:21], s[18:19]
	s_xor_b64 s[56:57], exec, s[20:21]
	s_cbranch_execz .LBB6_2746
; %bb.2737:                             ;   in Loop: Header=BB6_2700 Depth=2
	v_and_b32_e32 v6, 0x7fffffff, v2
	v_mov_b32_e32 v7, v53
	v_cmp_gt_u64_e64 s[18:19], s[40:41], v[6:7]
	s_and_saveexec_b64 s[58:59], s[18:19]
	s_cbranch_execz .LBB6_2745
; %bb.2738:                             ;   in Loop: Header=BB6_2700 Depth=2
	v_cmp_ne_u32_e64 s[18:19], 0, v2
	v_mov_b32_e32 v28, 0
	s_and_saveexec_b64 s[60:61], s[18:19]
	s_cbranch_execz .LBB6_2744
; %bb.2739:                             ;   in Loop: Header=BB6_2700 Depth=2
	v_bfe_u32 v2, v2, 23, 8
	v_sub_u32_e32 v5, 0x79, v2
	v_cmp_gt_u32_e64 s[18:19], s72, v2
	v_cndmask_b32_e64 v5, 0, v5, s[18:19]
	v_cmp_eq_u32_e64 s[18:19], 0, v2
	v_or_b32_e32 v6, 0x800000, v52
	v_cndmask_b32_e64 v5, v5, v38, s[18:19]
	v_add_u32_e32 v3, 0xffffff81, v2
	v_cndmask_b32_e64 v52, v6, v52, s[18:19]
	v_add_u32_e32 v2, 20, v5
	v_cndmask_b32_e64 v24, v3, v33, s[18:19]
	v_lshlrev_b64 v[2:3], v2, -1
	v_lshrrev_b64 v[8:9], v5, v[52:53]
	v_not_b32_e32 v3, v3
	v_not_b32_e32 v2, v2
	v_add_u32_e32 v6, 19, v5
	v_lshrrev_b32_e32 v28, 23, v8
	v_and_b32_e32 v3, 0, v3
	v_and_b32_e32 v2, v52, v2
	v_lshlrev_b64 v[6:7], v6, 1
	v_add3_u32 v28, v5, v24, v28
	v_bfe_u32 v5, v8, 20, 1
	v_add_u32_e32 v5, -1, v5
	v_cmp_eq_u64_e64 s[18:19], v[2:3], v[6:7]
	v_cndmask_b32_e64 v2, 0, v5, s[18:19]
	v_add_u32_e32 v2, v2, v8
	v_and_b32_e32 v2, 0xfffff, v2
	v_add_co_u32_e64 v2, s[18:19], v2, v8
	v_add_u32_e32 v24, 6, v28
	v_addc_co_u32_e64 v3, s[18:19], 0, v9, s[18:19]
	v_cmp_ne_u32_e64 s[18:19], 0, v24
                                        ; implicit-def: $vgpr5
	s_and_saveexec_b64 s[20:21], s[18:19]
	s_xor_b64 s[20:21], exec, s[20:21]
; %bb.2740:                             ;   in Loop: Header=BB6_2700 Depth=2
	v_cmp_lt_u64_e64 s[18:19], s[44:45], v[2:3]
	v_add_u32_e32 v5, 7, v28
	v_cndmask_b32_e64 v6, 0, 1, s[18:19]
	v_cndmask_b32_e64 v5, v24, v5, s[18:19]
	v_lshrrev_b64 v[2:3], v6, v[2:3]
; %bb.2741:                             ;   in Loop: Header=BB6_2700 Depth=2
	s_andn2_saveexec_b64 s[18:19], s[20:21]
; %bb.2742:                             ;   in Loop: Header=BB6_2700 Depth=2
	v_bfe_u32 v5, v2, 23, 1
; %bb.2743:                             ;   in Loop: Header=BB6_2700 Depth=2
	s_or_b64 exec, exec, s[18:19]
	v_lshrrev_b64 v[2:3], 20, v[2:3]
	v_cmp_gt_i32_e64 s[18:19], 16, v5
	v_cndmask_b32_e64 v3, 0, v3, s[18:19]
	v_cndmask_b32_e64 v2, 7, v2, s[18:19]
	v_cmp_eq_u64_e64 s[20:21], 0, v[2:3]
	v_min_i32_e32 v3, 15, v5
	v_cmp_eq_u32_e64 s[18:19], 0, v5
	v_lshlrev_b32_e32 v3, 3, v3
	v_and_or_b32 v2, v2, 7, v3
	s_and_b64 s[18:19], s[18:19], s[20:21]
	v_cndmask_b32_e64 v2, v2, 0, s[18:19]
	v_or_b32_e32 v28, v2, v4
.LBB6_2744:                             ;   in Loop: Header=BB6_2700 Depth=2
	s_or_b64 exec, exec, s[60:61]
.LBB6_2745:                             ;   in Loop: Header=BB6_2700 Depth=2
	s_or_b64 exec, exec, s[58:59]
                                        ; implicit-def: $vgpr2
.LBB6_2746:                             ;   in Loop: Header=BB6_2700 Depth=2
	s_andn2_saveexec_b64 s[20:21], s[56:57]
; %bb.2747:                             ;   in Loop: Header=BB6_2700 Depth=2
	v_or_b32_sdwa v2, v2, s71 dst_sel:DWORD dst_unused:UNUSED_PAD src0_sel:BYTE_3 src1_sel:DWORD
	v_cmp_eq_u64_e64 s[18:19], 0, v[52:53]
	v_cndmask_b32_e64 v28, v2, v28, s[18:19]
; %bb.2748:                             ;   in Loop: Header=BB6_2700 Depth=2
	s_or_b64 exec, exec, s[20:21]
	v_lshrrev_b32_e32 v2, 16, v14
	v_cmp_ne_u16_sdwa s[18:19], v2, v53 src0_sel:BYTE_0 src1_sel:DWORD
	v_mov_b32_e32 v3, 0
	v_mov_b32_e32 v4, 0
	s_and_saveexec_b64 s[20:21], s[18:19]
	s_cbranch_execz .LBB6_2754
; %bb.2749:                             ;   in Loop: Header=BB6_2700 Depth=2
	v_cmp_ne_u16_sdwa s[18:19], v2, s69 src0_sel:BYTE_0 src1_sel:DWORD
	v_bfrev_b32_e32 v4, 1
	s_and_saveexec_b64 s[56:57], s[18:19]
	s_cbranch_execz .LBB6_2753
; %bb.2750:                             ;   in Loop: Header=BB6_2700 Depth=2
	v_bfe_u32 v5, v14, 16, 7
	v_cmp_ne_u32_e64 s[18:19], s71, v5
	v_mov_b32_e32 v4, 0x7f800001
	s_and_saveexec_b64 s[58:59], s[18:19]
	s_cbranch_execz .LBB6_2752
; %bb.2751:                             ;   in Loop: Header=BB6_2700 Depth=2
	v_and_b32_e32 v4, 7, v2
	v_ffbh_u32_e32 v6, v4
	v_min_u32_e32 v9, 32, v6
	v_subrev_u32_e32 v6, 28, v9
	v_lshlrev_b64 v[6:7], v6, v[2:3]
	v_lshrrev_b32_e32 v8, 3, v5
	v_sub_u32_e32 v7, 29, v9
	v_and_b32_e32 v6, 7, v6
	v_cmp_gt_u32_e64 s[18:19], 8, v5
	v_cndmask_b32_e64 v5, v8, v7, s[18:19]
	v_cndmask_b32_e64 v4, v4, v6, s[18:19]
	v_lshlrev_b32_e32 v2, 24, v2
	v_lshlrev_b32_e32 v4, 20, v4
	v_and_b32_e32 v2, 0x80000000, v2
	v_lshl_add_u32 v5, v5, 23, v29
	v_or3_b32 v4, v2, v5, v4
.LBB6_2752:                             ;   in Loop: Header=BB6_2700 Depth=2
	s_or_b64 exec, exec, s[58:59]
.LBB6_2753:                             ;   in Loop: Header=BB6_2700 Depth=2
	s_or_b64 exec, exec, s[56:57]
.LBB6_2754:                             ;   in Loop: Header=BB6_2700 Depth=2
	s_or_b64 exec, exec, s[20:21]
	v_lshrrev_b32_e32 v2, 16, v10
	v_cmp_ne_u16_sdwa s[18:19], v2, v53 src0_sel:BYTE_0 src1_sel:DWORD
	s_and_saveexec_b64 s[20:21], s[18:19]
	s_cbranch_execz .LBB6_2760
; %bb.2755:                             ;   in Loop: Header=BB6_2700 Depth=2
	v_cmp_ne_u16_sdwa s[18:19], v2, s69 src0_sel:BYTE_0 src1_sel:DWORD
	v_bfrev_b32_e32 v3, 1
	s_and_saveexec_b64 s[56:57], s[18:19]
	s_cbranch_execz .LBB6_2759
; %bb.2756:                             ;   in Loop: Header=BB6_2700 Depth=2
	v_bfe_u32 v5, v10, 16, 7
	v_cmp_ne_u32_e64 s[18:19], s71, v5
	v_mov_b32_e32 v3, 0x7f800001
	s_and_saveexec_b64 s[58:59], s[18:19]
	s_cbranch_execz .LBB6_2758
; %bb.2757:                             ;   in Loop: Header=BB6_2700 Depth=2
	v_and_b32_e32 v6, 7, v2
	v_ffbh_u32_e32 v3, v6
	v_min_u32_e32 v8, 32, v3
	v_subrev_u32_e32 v3, 28, v8
	v_lshlrev_b64 v[2:3], v3, v[2:3]
	v_lshrrev_b32_e32 v7, 3, v5
	v_sub_u32_e32 v3, 29, v8
	v_and_b32_e32 v2, 7, v2
	v_cmp_gt_u32_e64 s[18:19], 8, v5
	v_cndmask_b32_e64 v3, v7, v3, s[18:19]
	v_cndmask_b32_e64 v2, v6, v2, s[18:19]
	v_lshlrev_b32_e32 v5, 8, v10
	v_lshlrev_b32_e32 v2, 20, v2
	v_and_b32_e32 v5, 0x80000000, v5
	v_lshl_add_u32 v3, v3, 23, v29
	v_or3_b32 v3, v5, v3, v2
.LBB6_2758:                             ;   in Loop: Header=BB6_2700 Depth=2
	s_or_b64 exec, exec, s[58:59]
.LBB6_2759:                             ;   in Loop: Header=BB6_2700 Depth=2
	s_or_b64 exec, exec, s[56:57]
.LBB6_2760:                             ;   in Loop: Header=BB6_2700 Depth=2
	s_or_b64 exec, exec, s[20:21]
	v_add_f32_e32 v2, v4, v3
	v_and_b32_sdwa v4, v2, s69 dst_sel:DWORD dst_unused:UNUSED_PAD src0_sel:BYTE_3 src1_sel:DWORD
	v_and_b32_e32 v6, 0x7f800000, v2
	v_mov_b32_e32 v7, v53
	v_and_b32_e32 v52, 0x7fffff, v2
	v_or_b32_e32 v34, 0x7e, v4
	v_cmp_ne_u64_e64 s[18:19], s[38:39], v[6:7]
	s_and_saveexec_b64 s[20:21], s[18:19]
	s_xor_b64 s[56:57], exec, s[20:21]
	s_cbranch_execz .LBB6_2770
; %bb.2761:                             ;   in Loop: Header=BB6_2700 Depth=2
	v_and_b32_e32 v6, 0x7fffffff, v2
	v_mov_b32_e32 v7, v53
	v_cmp_gt_u64_e64 s[18:19], s[40:41], v[6:7]
	s_and_saveexec_b64 s[58:59], s[18:19]
	s_cbranch_execz .LBB6_2769
; %bb.2762:                             ;   in Loop: Header=BB6_2700 Depth=2
	v_cmp_ne_u32_e64 s[18:19], 0, v2
	v_mov_b32_e32 v34, 0
	s_and_saveexec_b64 s[60:61], s[18:19]
	s_cbranch_execz .LBB6_2768
; %bb.2763:                             ;   in Loop: Header=BB6_2700 Depth=2
	v_bfe_u32 v2, v2, 23, 8
	v_sub_u32_e32 v5, 0x79, v2
	v_cmp_gt_u32_e64 s[18:19], s72, v2
	v_cndmask_b32_e64 v5, 0, v5, s[18:19]
	v_cmp_eq_u32_e64 s[18:19], 0, v2
	v_or_b32_e32 v6, 0x800000, v52
	v_cndmask_b32_e64 v5, v5, v38, s[18:19]
	v_add_u32_e32 v3, 0xffffff81, v2
	v_cndmask_b32_e64 v52, v6, v52, s[18:19]
	v_add_u32_e32 v2, 20, v5
	v_cndmask_b32_e64 v24, v3, v33, s[18:19]
	v_lshlrev_b64 v[2:3], v2, -1
	v_lshrrev_b64 v[8:9], v5, v[52:53]
	v_not_b32_e32 v3, v3
	v_not_b32_e32 v2, v2
	v_add_u32_e32 v6, 19, v5
	v_lshrrev_b32_e32 v30, 23, v8
	v_and_b32_e32 v3, 0, v3
	v_and_b32_e32 v2, v52, v2
	v_lshlrev_b64 v[6:7], v6, 1
	v_add3_u32 v30, v5, v24, v30
	v_bfe_u32 v5, v8, 20, 1
	v_add_u32_e32 v5, -1, v5
	v_cmp_eq_u64_e64 s[18:19], v[2:3], v[6:7]
	v_cndmask_b32_e64 v2, 0, v5, s[18:19]
	v_add_u32_e32 v2, v2, v8
	v_and_b32_e32 v2, 0xfffff, v2
	v_add_co_u32_e64 v2, s[18:19], v2, v8
	v_add_u32_e32 v24, 6, v30
	v_addc_co_u32_e64 v3, s[18:19], 0, v9, s[18:19]
	v_cmp_ne_u32_e64 s[18:19], 0, v24
                                        ; implicit-def: $vgpr5
	s_and_saveexec_b64 s[20:21], s[18:19]
	s_xor_b64 s[20:21], exec, s[20:21]
; %bb.2764:                             ;   in Loop: Header=BB6_2700 Depth=2
	v_cmp_lt_u64_e64 s[18:19], s[44:45], v[2:3]
	v_add_u32_e32 v5, 7, v30
	v_cndmask_b32_e64 v6, 0, 1, s[18:19]
	v_cndmask_b32_e64 v5, v24, v5, s[18:19]
	v_lshrrev_b64 v[2:3], v6, v[2:3]
; %bb.2765:                             ;   in Loop: Header=BB6_2700 Depth=2
	s_andn2_saveexec_b64 s[18:19], s[20:21]
; %bb.2766:                             ;   in Loop: Header=BB6_2700 Depth=2
	v_bfe_u32 v5, v2, 23, 1
; %bb.2767:                             ;   in Loop: Header=BB6_2700 Depth=2
	s_or_b64 exec, exec, s[18:19]
	v_lshrrev_b64 v[2:3], 20, v[2:3]
	v_cmp_gt_i32_e64 s[18:19], 16, v5
	v_cndmask_b32_e64 v3, 0, v3, s[18:19]
	v_cndmask_b32_e64 v2, 7, v2, s[18:19]
	v_cmp_eq_u64_e64 s[20:21], 0, v[2:3]
	v_min_i32_e32 v3, 15, v5
	v_cmp_eq_u32_e64 s[18:19], 0, v5
	v_lshlrev_b32_e32 v3, 3, v3
	v_and_or_b32 v2, v2, 7, v3
	s_and_b64 s[18:19], s[18:19], s[20:21]
	v_cndmask_b32_e64 v2, v2, 0, s[18:19]
	v_or_b32_e32 v34, v2, v4
.LBB6_2768:                             ;   in Loop: Header=BB6_2700 Depth=2
	s_or_b64 exec, exec, s[60:61]
.LBB6_2769:                             ;   in Loop: Header=BB6_2700 Depth=2
	s_or_b64 exec, exec, s[58:59]
                                        ; implicit-def: $vgpr2
.LBB6_2770:                             ;   in Loop: Header=BB6_2700 Depth=2
	s_andn2_saveexec_b64 s[20:21], s[56:57]
; %bb.2771:                             ;   in Loop: Header=BB6_2700 Depth=2
	v_or_b32_sdwa v2, v2, s71 dst_sel:DWORD dst_unused:UNUSED_PAD src0_sel:BYTE_3 src1_sel:DWORD
	v_cmp_eq_u64_e64 s[18:19], 0, v[52:53]
	v_cndmask_b32_e64 v34, v2, v34, s[18:19]
; %bb.2772:                             ;   in Loop: Header=BB6_2700 Depth=2
	s_or_b64 exec, exec, s[20:21]
	v_cmp_lt_u32_e64 s[18:19], s43, v14
	v_mov_b32_e32 v3, 0
	v_mov_b32_e32 v4, 0
	s_and_saveexec_b64 s[20:21], s[18:19]
	s_cbranch_execz .LBB6_2778
; %bb.2773:                             ;   in Loop: Header=BB6_2700 Depth=2
	v_lshrrev_b32_e32 v2, 24, v14
	v_cmp_ne_u32_e64 s[18:19], s69, v2
	v_bfrev_b32_e32 v4, 1
	s_and_saveexec_b64 s[56:57], s[18:19]
	s_cbranch_execz .LBB6_2777
; %bb.2774:                             ;   in Loop: Header=BB6_2700 Depth=2
	v_bfe_u32 v5, v14, 24, 7
	v_cmp_ne_u32_e64 s[18:19], s71, v5
	v_mov_b32_e32 v4, 0x7f800001
	s_and_saveexec_b64 s[58:59], s[18:19]
	s_cbranch_execz .LBB6_2776
; %bb.2775:                             ;   in Loop: Header=BB6_2700 Depth=2
	v_and_b32_e32 v4, 7, v2
	v_ffbh_u32_e32 v6, v4
	v_min_u32_e32 v9, 32, v6
	v_subrev_u32_e32 v6, 28, v9
	v_lshlrev_b64 v[6:7], v6, v[2:3]
	v_lshrrev_b32_e32 v8, 3, v5
	v_sub_u32_e32 v7, 29, v9
	v_and_b32_e32 v6, 7, v6
	v_cmp_gt_u32_e64 s[18:19], 8, v5
	v_cndmask_b32_e64 v5, v8, v7, s[18:19]
	v_cndmask_b32_e64 v4, v4, v6, s[18:19]
	v_lshlrev_b32_e32 v2, 24, v2
	v_lshlrev_b32_e32 v4, 20, v4
	v_and_b32_e32 v2, 0x80000000, v2
	v_lshl_add_u32 v5, v5, 23, v29
	v_or3_b32 v4, v2, v5, v4
.LBB6_2776:                             ;   in Loop: Header=BB6_2700 Depth=2
	s_or_b64 exec, exec, s[58:59]
.LBB6_2777:                             ;   in Loop: Header=BB6_2700 Depth=2
	s_or_b64 exec, exec, s[56:57]
.LBB6_2778:                             ;   in Loop: Header=BB6_2700 Depth=2
	s_or_b64 exec, exec, s[20:21]
	v_cmp_lt_u32_e64 s[18:19], s43, v10
	s_and_saveexec_b64 s[20:21], s[18:19]
	s_cbranch_execz .LBB6_2784
; %bb.2779:                             ;   in Loop: Header=BB6_2700 Depth=2
	v_lshrrev_b32_e32 v2, 24, v10
	v_cmp_ne_u32_e64 s[18:19], s69, v2
	v_bfrev_b32_e32 v3, 1
	s_and_saveexec_b64 s[56:57], s[18:19]
	s_cbranch_execz .LBB6_2783
; %bb.2780:                             ;   in Loop: Header=BB6_2700 Depth=2
	v_bfe_u32 v5, v10, 24, 7
	v_cmp_ne_u32_e64 s[18:19], s71, v5
	v_mov_b32_e32 v3, 0x7f800001
	s_and_saveexec_b64 s[58:59], s[18:19]
	s_cbranch_execz .LBB6_2782
; %bb.2781:                             ;   in Loop: Header=BB6_2700 Depth=2
	v_and_b32_e32 v3, 7, v2
	v_ffbh_u32_e32 v6, v3
	v_min_u32_e32 v9, 32, v6
	v_subrev_u32_e32 v6, 28, v9
	v_lshlrev_b64 v[6:7], v6, v[2:3]
	v_lshrrev_b32_e32 v8, 3, v5
	v_sub_u32_e32 v7, 29, v9
	v_and_b32_e32 v6, 7, v6
	v_cmp_gt_u32_e64 s[18:19], 8, v5
	v_cndmask_b32_e64 v5, v8, v7, s[18:19]
	v_cndmask_b32_e64 v3, v3, v6, s[18:19]
	v_lshlrev_b32_e32 v2, 24, v2
	v_lshlrev_b32_e32 v3, 20, v3
	v_and_b32_e32 v2, 0x80000000, v2
	v_lshl_add_u32 v5, v5, 23, v29
	v_or3_b32 v3, v2, v5, v3
.LBB6_2782:                             ;   in Loop: Header=BB6_2700 Depth=2
	s_or_b64 exec, exec, s[58:59]
.LBB6_2783:                             ;   in Loop: Header=BB6_2700 Depth=2
	s_or_b64 exec, exec, s[56:57]
.LBB6_2784:                             ;   in Loop: Header=BB6_2700 Depth=2
	s_or_b64 exec, exec, s[20:21]
	v_add_f32_e32 v2, v4, v3
	v_and_b32_sdwa v4, v2, s69 dst_sel:DWORD dst_unused:UNUSED_PAD src0_sel:BYTE_3 src1_sel:DWORD
	v_and_b32_e32 v6, 0x7f800000, v2
	v_mov_b32_e32 v7, v53
	v_and_b32_e32 v52, 0x7fffff, v2
	v_or_b32_e32 v30, 0x7e, v4
	v_cmp_ne_u64_e64 s[18:19], s[38:39], v[6:7]
	s_and_saveexec_b64 s[20:21], s[18:19]
	s_xor_b64 s[56:57], exec, s[20:21]
	s_cbranch_execz .LBB6_2794
; %bb.2785:                             ;   in Loop: Header=BB6_2700 Depth=2
	v_and_b32_e32 v6, 0x7fffffff, v2
	v_mov_b32_e32 v7, v53
	v_cmp_gt_u64_e64 s[18:19], s[40:41], v[6:7]
	s_and_saveexec_b64 s[58:59], s[18:19]
	s_cbranch_execz .LBB6_2793
; %bb.2786:                             ;   in Loop: Header=BB6_2700 Depth=2
	v_cmp_ne_u32_e64 s[18:19], 0, v2
	v_mov_b32_e32 v30, 0
	s_and_saveexec_b64 s[60:61], s[18:19]
	s_cbranch_execz .LBB6_2792
; %bb.2787:                             ;   in Loop: Header=BB6_2700 Depth=2
	v_bfe_u32 v2, v2, 23, 8
	v_sub_u32_e32 v5, 0x79, v2
	v_cmp_gt_u32_e64 s[18:19], s72, v2
	v_cndmask_b32_e64 v5, 0, v5, s[18:19]
	v_cmp_eq_u32_e64 s[18:19], 0, v2
	v_or_b32_e32 v6, 0x800000, v52
	v_cndmask_b32_e64 v5, v5, v38, s[18:19]
	v_add_u32_e32 v3, 0xffffff81, v2
	v_cndmask_b32_e64 v52, v6, v52, s[18:19]
	v_add_u32_e32 v2, 20, v5
	v_cndmask_b32_e64 v24, v3, v33, s[18:19]
	v_lshlrev_b64 v[2:3], v2, -1
	v_lshrrev_b64 v[8:9], v5, v[52:53]
	v_not_b32_e32 v3, v3
	v_not_b32_e32 v2, v2
	v_add_u32_e32 v6, 19, v5
	v_lshrrev_b32_e32 v30, 23, v8
	v_and_b32_e32 v3, 0, v3
	v_and_b32_e32 v2, v52, v2
	v_lshlrev_b64 v[6:7], v6, 1
	v_add3_u32 v30, v5, v24, v30
	v_bfe_u32 v5, v8, 20, 1
	v_add_u32_e32 v5, -1, v5
	v_cmp_eq_u64_e64 s[18:19], v[2:3], v[6:7]
	v_cndmask_b32_e64 v2, 0, v5, s[18:19]
	v_add_u32_e32 v2, v2, v8
	v_and_b32_e32 v2, 0xfffff, v2
	v_add_co_u32_e64 v2, s[18:19], v2, v8
	v_add_u32_e32 v24, 6, v30
	v_addc_co_u32_e64 v3, s[18:19], 0, v9, s[18:19]
	v_cmp_ne_u32_e64 s[18:19], 0, v24
                                        ; implicit-def: $vgpr5
	s_and_saveexec_b64 s[20:21], s[18:19]
	s_xor_b64 s[20:21], exec, s[20:21]
; %bb.2788:                             ;   in Loop: Header=BB6_2700 Depth=2
	v_cmp_lt_u64_e64 s[18:19], s[44:45], v[2:3]
	v_add_u32_e32 v5, 7, v30
	v_cndmask_b32_e64 v6, 0, 1, s[18:19]
	v_cndmask_b32_e64 v5, v24, v5, s[18:19]
	v_lshrrev_b64 v[2:3], v6, v[2:3]
; %bb.2789:                             ;   in Loop: Header=BB6_2700 Depth=2
	s_andn2_saveexec_b64 s[18:19], s[20:21]
; %bb.2790:                             ;   in Loop: Header=BB6_2700 Depth=2
	v_bfe_u32 v5, v2, 23, 1
; %bb.2791:                             ;   in Loop: Header=BB6_2700 Depth=2
	s_or_b64 exec, exec, s[18:19]
	v_lshrrev_b64 v[2:3], 20, v[2:3]
	v_cmp_gt_i32_e64 s[18:19], 16, v5
	v_cndmask_b32_e64 v3, 0, v3, s[18:19]
	v_cndmask_b32_e64 v2, 7, v2, s[18:19]
	v_cmp_eq_u64_e64 s[20:21], 0, v[2:3]
	v_min_i32_e32 v3, 15, v5
	v_cmp_eq_u32_e64 s[18:19], 0, v5
	v_lshlrev_b32_e32 v3, 3, v3
	v_and_or_b32 v2, v2, 7, v3
	s_and_b64 s[18:19], s[18:19], s[20:21]
	v_cndmask_b32_e64 v2, v2, 0, s[18:19]
	v_or_b32_e32 v30, v2, v4
.LBB6_2792:                             ;   in Loop: Header=BB6_2700 Depth=2
	s_or_b64 exec, exec, s[60:61]
.LBB6_2793:                             ;   in Loop: Header=BB6_2700 Depth=2
	s_or_b64 exec, exec, s[58:59]
                                        ; implicit-def: $vgpr2
.LBB6_2794:                             ;   in Loop: Header=BB6_2700 Depth=2
	s_andn2_saveexec_b64 s[20:21], s[56:57]
; %bb.2795:                             ;   in Loop: Header=BB6_2700 Depth=2
	v_or_b32_sdwa v2, v2, s71 dst_sel:DWORD dst_unused:UNUSED_PAD src0_sel:BYTE_3 src1_sel:DWORD
	v_cmp_eq_u64_e64 s[18:19], 0, v[52:53]
	v_cndmask_b32_e64 v30, v2, v30, s[18:19]
; %bb.2796:                             ;   in Loop: Header=BB6_2700 Depth=2
	s_or_b64 exec, exec, s[20:21]
	v_mov_b32_e32 v52, v15
	v_cmp_ne_u16_sdwa s[18:19], v15, v53 src0_sel:BYTE_0 src1_sel:DWORD
	v_mov_b32_e32 v3, 0
	v_mov_b32_e32 v2, 0
	s_and_saveexec_b64 s[20:21], s[18:19]
	s_cbranch_execz .LBB6_2802
; %bb.2797:                             ;   in Loop: Header=BB6_2700 Depth=2
	v_cmp_ne_u16_sdwa s[18:19], v15, s69 src0_sel:BYTE_0 src1_sel:DWORD
	v_bfrev_b32_e32 v2, 1
	s_and_saveexec_b64 s[56:57], s[18:19]
	s_cbranch_execz .LBB6_2801
; %bb.2798:                             ;   in Loop: Header=BB6_2700 Depth=2
	v_and_b32_e32 v4, 0x7f, v15
	v_cmp_ne_u32_e64 s[18:19], s71, v4
	v_mov_b32_e32 v2, 0x7f800001
	s_and_saveexec_b64 s[58:59], s[18:19]
	s_cbranch_execz .LBB6_2800
; %bb.2799:                             ;   in Loop: Header=BB6_2700 Depth=2
	v_and_b32_e32 v2, 7, v15
	v_ffbh_u32_e32 v2, v2
	v_min_u32_e32 v2, 32, v2
	v_subrev_u32_e32 v6, 28, v2
	v_cmp_gt_u32_e64 s[18:19], 8, v4
	v_lshrrev_b32_e32 v5, 3, v4
	v_sub_u32_e32 v2, 29, v2
	v_cndmask_b32_e64 v4, 0, v6, s[18:19]
	v_cndmask_b32_e64 v2, v5, v2, s[18:19]
	v_lshlrev_b64 v[4:5], v4, v[52:53]
	v_lshlrev_b32_e32 v4, 20, v4
	v_lshlrev_b32_e32 v5, 24, v52
	v_and_b32_e32 v4, 0x700000, v4
	v_and_b32_e32 v5, 0x80000000, v5
	v_lshl_add_u32 v2, v2, 23, v29
	v_or3_b32 v2, v5, v2, v4
.LBB6_2800:                             ;   in Loop: Header=BB6_2700 Depth=2
	s_or_b64 exec, exec, s[58:59]
.LBB6_2801:                             ;   in Loop: Header=BB6_2700 Depth=2
	s_or_b64 exec, exec, s[56:57]
.LBB6_2802:                             ;   in Loop: Header=BB6_2700 Depth=2
	s_or_b64 exec, exec, s[20:21]
	v_cmp_ne_u16_sdwa s[18:19], v11, v53 src0_sel:BYTE_0 src1_sel:DWORD
	s_and_saveexec_b64 s[20:21], s[18:19]
	s_cbranch_execz .LBB6_2808
; %bb.2803:                             ;   in Loop: Header=BB6_2700 Depth=2
	v_cmp_ne_u16_sdwa s[18:19], v11, s69 src0_sel:BYTE_0 src1_sel:DWORD
	v_bfrev_b32_e32 v3, 1
	s_and_saveexec_b64 s[56:57], s[18:19]
	s_cbranch_execz .LBB6_2807
; %bb.2804:                             ;   in Loop: Header=BB6_2700 Depth=2
	v_and_b32_e32 v4, 0x7f, v11
	v_cmp_ne_u32_e64 s[18:19], s71, v4
	v_mov_b32_e32 v3, 0x7f800001
	s_and_saveexec_b64 s[58:59], s[18:19]
	s_cbranch_execz .LBB6_2806
; %bb.2805:                             ;   in Loop: Header=BB6_2700 Depth=2
	v_and_b32_e32 v3, 7, v11
	v_ffbh_u32_e32 v3, v3
	v_min_u32_e32 v3, 32, v3
	v_subrev_u32_e32 v8, 28, v3
	v_cmp_gt_u32_e64 s[18:19], 8, v4
	v_mov_b32_e32 v6, v11
	v_mov_b32_e32 v7, v53
	v_lshrrev_b32_e32 v5, 3, v4
	v_sub_u32_e32 v3, 29, v3
	v_cndmask_b32_e64 v4, 0, v8, s[18:19]
	v_cndmask_b32_e64 v3, v5, v3, s[18:19]
	v_lshlrev_b64 v[4:5], v4, v[6:7]
	v_lshlrev_b32_e32 v4, 20, v4
	v_lshlrev_b32_e32 v5, 24, v6
	v_and_b32_e32 v4, 0x700000, v4
	v_and_b32_e32 v5, 0x80000000, v5
	v_lshl_add_u32 v3, v3, 23, v29
	v_or3_b32 v3, v5, v3, v4
.LBB6_2806:                             ;   in Loop: Header=BB6_2700 Depth=2
	s_or_b64 exec, exec, s[58:59]
.LBB6_2807:                             ;   in Loop: Header=BB6_2700 Depth=2
	s_or_b64 exec, exec, s[56:57]
.LBB6_2808:                             ;   in Loop: Header=BB6_2700 Depth=2
	s_or_b64 exec, exec, s[20:21]
	v_add_f32_e32 v5, v2, v3
	v_and_b32_sdwa v4, v5, s69 dst_sel:DWORD dst_unused:UNUSED_PAD src0_sel:BYTE_3 src1_sel:DWORD
	v_and_b32_e32 v6, 0x7f800000, v5
	v_mov_b32_e32 v7, v53
	v_and_b32_e32 v2, 0x7fffff, v5
	v_mov_b32_e32 v3, v53
	v_or_b32_e32 v31, 0x7e, v4
	v_cmp_ne_u64_e64 s[18:19], s[38:39], v[6:7]
	s_and_saveexec_b64 s[20:21], s[18:19]
	s_xor_b64 s[56:57], exec, s[20:21]
	s_cbranch_execz .LBB6_2818
; %bb.2809:                             ;   in Loop: Header=BB6_2700 Depth=2
	v_and_b32_e32 v6, 0x7fffffff, v5
	v_mov_b32_e32 v7, v53
	v_cmp_gt_u64_e64 s[18:19], s[40:41], v[6:7]
	s_and_saveexec_b64 s[58:59], s[18:19]
	s_cbranch_execz .LBB6_2817
; %bb.2810:                             ;   in Loop: Header=BB6_2700 Depth=2
	v_cmp_ne_u32_e64 s[18:19], 0, v5
	v_mov_b32_e32 v31, 0
	s_and_saveexec_b64 s[60:61], s[18:19]
	s_cbranch_execz .LBB6_2816
; %bb.2811:                             ;   in Loop: Header=BB6_2700 Depth=2
	v_bfe_u32 v5, v5, 23, 8
	v_sub_u32_e32 v7, 0x79, v5
	v_cmp_gt_u32_e64 s[18:19], s72, v5
	v_cndmask_b32_e64 v7, 0, v7, s[18:19]
	v_cmp_eq_u32_e64 s[18:19], 0, v5
	v_add_u32_e32 v6, 0xffffff81, v5
	v_cndmask_b32_e64 v24, v7, v38, s[18:19]
	v_cndmask_b32_e64 v5, v6, v33, s[18:19]
	v_add_u32_e32 v6, 20, v24
	v_or_b32_e32 v8, 0x800000, v2
	v_lshlrev_b64 v[6:7], v6, -1
	v_cndmask_b32_e64 v2, v8, v2, s[18:19]
	v_not_b32_e32 v6, v6
	v_and_b32_e32 v6, v2, v6
	v_lshrrev_b64 v[2:3], v24, v[2:3]
	v_not_b32_e32 v7, v7
	v_add_u32_e32 v8, 19, v24
	v_lshrrev_b32_e32 v31, 23, v2
	v_and_b32_e32 v7, 0, v7
	v_lshlrev_b64 v[8:9], v8, 1
	v_add3_u32 v31, v24, v5, v31
	v_bfe_u32 v5, v2, 20, 1
	v_add_u32_e32 v5, -1, v5
	v_cmp_eq_u64_e64 s[18:19], v[6:7], v[8:9]
	v_cndmask_b32_e64 v5, 0, v5, s[18:19]
	v_add_u32_e32 v5, v5, v2
	v_and_b32_e32 v5, 0xfffff, v5
	v_add_co_u32_e64 v2, s[18:19], v5, v2
	v_add_u32_e32 v24, 6, v31
	v_addc_co_u32_e64 v3, s[18:19], 0, v3, s[18:19]
	v_cmp_ne_u32_e64 s[18:19], 0, v24
                                        ; implicit-def: $vgpr5
	s_and_saveexec_b64 s[20:21], s[18:19]
	s_xor_b64 s[20:21], exec, s[20:21]
; %bb.2812:                             ;   in Loop: Header=BB6_2700 Depth=2
	v_cmp_lt_u64_e64 s[18:19], s[44:45], v[2:3]
	v_add_u32_e32 v5, 7, v31
	v_cndmask_b32_e64 v6, 0, 1, s[18:19]
	v_cndmask_b32_e64 v5, v24, v5, s[18:19]
	v_lshrrev_b64 v[2:3], v6, v[2:3]
; %bb.2813:                             ;   in Loop: Header=BB6_2700 Depth=2
	s_andn2_saveexec_b64 s[18:19], s[20:21]
; %bb.2814:                             ;   in Loop: Header=BB6_2700 Depth=2
	v_bfe_u32 v5, v2, 23, 1
; %bb.2815:                             ;   in Loop: Header=BB6_2700 Depth=2
	s_or_b64 exec, exec, s[18:19]
	v_lshrrev_b64 v[2:3], 20, v[2:3]
	v_cmp_gt_i32_e64 s[18:19], 16, v5
	v_cndmask_b32_e64 v3, 0, v3, s[18:19]
	v_cndmask_b32_e64 v2, 7, v2, s[18:19]
	v_cmp_eq_u64_e64 s[20:21], 0, v[2:3]
	v_min_i32_e32 v3, 15, v5
	v_cmp_eq_u32_e64 s[18:19], 0, v5
	v_lshlrev_b32_e32 v3, 3, v3
	v_and_or_b32 v2, v2, 7, v3
	s_and_b64 s[18:19], s[18:19], s[20:21]
	v_cndmask_b32_e64 v2, v2, 0, s[18:19]
	v_or_b32_e32 v31, v2, v4
.LBB6_2816:                             ;   in Loop: Header=BB6_2700 Depth=2
	s_or_b64 exec, exec, s[60:61]
.LBB6_2817:                             ;   in Loop: Header=BB6_2700 Depth=2
	s_or_b64 exec, exec, s[58:59]
                                        ; implicit-def: $vgpr5
                                        ; implicit-def: $vgpr2_vgpr3
.LBB6_2818:                             ;   in Loop: Header=BB6_2700 Depth=2
	s_andn2_saveexec_b64 s[20:21], s[56:57]
; %bb.2819:                             ;   in Loop: Header=BB6_2700 Depth=2
	v_or_b32_sdwa v4, v5, s71 dst_sel:DWORD dst_unused:UNUSED_PAD src0_sel:BYTE_3 src1_sel:DWORD
	v_cmp_eq_u64_e64 s[18:19], 0, v[2:3]
	v_cndmask_b32_e64 v31, v4, v31, s[18:19]
; %bb.2820:                             ;   in Loop: Header=BB6_2700 Depth=2
	s_or_b64 exec, exec, s[20:21]
	v_lshrrev_b16_e32 v2, 8, v52
	v_cmp_ne_u16_e64 s[18:19], 0, v2
	v_mov_b32_e32 v3, 0
	v_mov_b32_e32 v4, 0
	s_and_saveexec_b64 s[20:21], s[18:19]
	s_cbranch_execz .LBB6_2826
; %bb.2821:                             ;   in Loop: Header=BB6_2700 Depth=2
	v_cmp_ne_u16_e64 s[18:19], s69, v2
	v_bfrev_b32_e32 v4, 1
	s_and_saveexec_b64 s[56:57], s[18:19]
	s_cbranch_execz .LBB6_2825
; %bb.2822:                             ;   in Loop: Header=BB6_2700 Depth=2
	v_and_b32_e32 v5, 0x7f, v2
	v_cmp_ne_u32_e64 s[18:19], s71, v5
	v_mov_b32_e32 v4, 0x7f800001
	s_and_saveexec_b64 s[58:59], s[18:19]
	s_cbranch_execz .LBB6_2824
; %bb.2823:                             ;   in Loop: Header=BB6_2700 Depth=2
	v_and_b32_e32 v4, 7, v2
	v_ffbh_u32_e32 v6, v4
	v_min_u32_e32 v9, 32, v6
	v_subrev_u32_e32 v6, 28, v9
	v_lshlrev_b64 v[6:7], v6, v[2:3]
	v_lshrrev_b32_e32 v8, 3, v5
	v_sub_u32_e32 v2, 29, v9
	v_and_b32_e32 v6, 7, v6
	v_cmp_gt_u32_e64 s[18:19], 8, v5
	v_cndmask_b32_e64 v2, v8, v2, s[18:19]
	v_cndmask_b32_e64 v4, v4, v6, s[18:19]
	v_lshlrev_b32_e32 v5, 16, v52
	v_lshlrev_b32_e32 v4, 20, v4
	v_and_b32_e32 v5, 0x80000000, v5
	v_lshl_add_u32 v2, v2, 23, v29
	v_or3_b32 v4, v5, v2, v4
.LBB6_2824:                             ;   in Loop: Header=BB6_2700 Depth=2
	s_or_b64 exec, exec, s[58:59]
.LBB6_2825:                             ;   in Loop: Header=BB6_2700 Depth=2
	s_or_b64 exec, exec, s[56:57]
.LBB6_2826:                             ;   in Loop: Header=BB6_2700 Depth=2
	s_or_b64 exec, exec, s[20:21]
	v_mov_b32_e32 v2, v11
	v_lshrrev_b16_e32 v24, 8, v2
	v_cmp_ne_u16_e64 s[18:19], 0, v24
	s_and_saveexec_b64 s[20:21], s[18:19]
	s_cbranch_execz .LBB6_2832
; %bb.2827:                             ;   in Loop: Header=BB6_2700 Depth=2
	v_cmp_ne_u16_e64 s[18:19], s69, v24
	v_bfrev_b32_e32 v3, 1
	s_and_saveexec_b64 s[56:57], s[18:19]
	s_cbranch_execz .LBB6_2831
; %bb.2828:                             ;   in Loop: Header=BB6_2700 Depth=2
	v_and_b32_e32 v5, 0x7f, v24
	v_cmp_ne_u32_e64 s[18:19], s71, v5
	v_mov_b32_e32 v3, 0x7f800001
	s_and_saveexec_b64 s[58:59], s[18:19]
	s_cbranch_execz .LBB6_2830
; %bb.2829:                             ;   in Loop: Header=BB6_2700 Depth=2
	v_and_b32_e32 v3, 7, v24
	v_ffbh_u32_e32 v6, v3
	v_min_u32_e32 v9, 32, v6
	v_subrev_u32_e32 v6, 28, v9
	v_lshlrev_b64 v[6:7], v6, v[24:25]
	v_lshrrev_b32_e32 v8, 3, v5
	v_sub_u32_e32 v7, 29, v9
	v_and_b32_e32 v6, 7, v6
	v_cmp_gt_u32_e64 s[18:19], 8, v5
	v_cndmask_b32_e64 v5, v8, v7, s[18:19]
	v_cndmask_b32_e64 v3, v3, v6, s[18:19]
	v_lshlrev_b32_e32 v2, 16, v2
	v_lshlrev_b32_e32 v3, 20, v3
	v_and_b32_e32 v2, 0x80000000, v2
	v_lshl_add_u32 v5, v5, 23, v29
	v_or3_b32 v3, v2, v5, v3
.LBB6_2830:                             ;   in Loop: Header=BB6_2700 Depth=2
	s_or_b64 exec, exec, s[58:59]
.LBB6_2831:                             ;   in Loop: Header=BB6_2700 Depth=2
	s_or_b64 exec, exec, s[56:57]
.LBB6_2832:                             ;   in Loop: Header=BB6_2700 Depth=2
	s_or_b64 exec, exec, s[20:21]
	v_add_f32_e32 v2, v4, v3
	v_and_b32_sdwa v4, v2, s69 dst_sel:DWORD dst_unused:UNUSED_PAD src0_sel:BYTE_3 src1_sel:DWORD
	v_and_b32_e32 v6, 0x7f800000, v2
	v_mov_b32_e32 v7, v53
	v_and_b32_e32 v52, 0x7fffff, v2
	v_or_b32_e32 v24, 0x7e, v4
	v_cmp_ne_u64_e64 s[18:19], s[38:39], v[6:7]
	s_and_saveexec_b64 s[20:21], s[18:19]
	s_xor_b64 s[56:57], exec, s[20:21]
	s_cbranch_execz .LBB6_2842
; %bb.2833:                             ;   in Loop: Header=BB6_2700 Depth=2
	v_and_b32_e32 v6, 0x7fffffff, v2
	v_mov_b32_e32 v7, v53
	v_cmp_gt_u64_e64 s[18:19], s[40:41], v[6:7]
	s_and_saveexec_b64 s[58:59], s[18:19]
	s_cbranch_execz .LBB6_2841
; %bb.2834:                             ;   in Loop: Header=BB6_2700 Depth=2
	v_cmp_ne_u32_e64 s[18:19], 0, v2
	v_mov_b32_e32 v24, 0
	s_and_saveexec_b64 s[60:61], s[18:19]
	s_cbranch_execz .LBB6_2840
; %bb.2835:                             ;   in Loop: Header=BB6_2700 Depth=2
	v_bfe_u32 v2, v2, 23, 8
	v_sub_u32_e32 v5, 0x79, v2
	v_cmp_gt_u32_e64 s[18:19], s72, v2
	v_cndmask_b32_e64 v5, 0, v5, s[18:19]
	v_cmp_eq_u32_e64 s[18:19], 0, v2
	v_or_b32_e32 v6, 0x800000, v52
	v_cndmask_b32_e64 v5, v5, v38, s[18:19]
	v_add_u32_e32 v3, 0xffffff81, v2
	v_cndmask_b32_e64 v52, v6, v52, s[18:19]
	v_add_u32_e32 v2, 20, v5
	v_cndmask_b32_e64 v24, v3, v33, s[18:19]
	v_lshlrev_b64 v[2:3], v2, -1
	v_lshrrev_b64 v[8:9], v5, v[52:53]
	v_not_b32_e32 v3, v3
	v_not_b32_e32 v2, v2
	v_add_u32_e32 v6, 19, v5
	v_lshrrev_b32_e32 v32, 23, v8
	v_and_b32_e32 v3, 0, v3
	v_and_b32_e32 v2, v52, v2
	v_lshlrev_b64 v[6:7], v6, 1
	v_add3_u32 v35, v5, v24, v32
	v_bfe_u32 v5, v8, 20, 1
	v_add_u32_e32 v5, -1, v5
	v_cmp_eq_u64_e64 s[18:19], v[2:3], v[6:7]
	v_cndmask_b32_e64 v2, 0, v5, s[18:19]
	v_add_u32_e32 v2, v2, v8
	v_and_b32_e32 v2, 0xfffff, v2
	v_add_co_u32_e64 v2, s[18:19], v2, v8
	v_add_u32_e32 v24, 6, v35
	v_addc_co_u32_e64 v3, s[18:19], 0, v9, s[18:19]
	v_cmp_ne_u32_e64 s[18:19], 0, v24
                                        ; implicit-def: $vgpr5
	s_and_saveexec_b64 s[20:21], s[18:19]
	s_xor_b64 s[20:21], exec, s[20:21]
; %bb.2836:                             ;   in Loop: Header=BB6_2700 Depth=2
	v_cmp_lt_u64_e64 s[18:19], s[44:45], v[2:3]
	v_add_u32_e32 v5, 7, v35
	v_cndmask_b32_e64 v6, 0, 1, s[18:19]
	v_cndmask_b32_e64 v5, v24, v5, s[18:19]
	v_lshrrev_b64 v[2:3], v6, v[2:3]
; %bb.2837:                             ;   in Loop: Header=BB6_2700 Depth=2
	s_andn2_saveexec_b64 s[18:19], s[20:21]
; %bb.2838:                             ;   in Loop: Header=BB6_2700 Depth=2
	v_bfe_u32 v5, v2, 23, 1
; %bb.2839:                             ;   in Loop: Header=BB6_2700 Depth=2
	s_or_b64 exec, exec, s[18:19]
	v_lshrrev_b64 v[2:3], 20, v[2:3]
	v_cmp_gt_i32_e64 s[18:19], 16, v5
	v_cndmask_b32_e64 v3, 0, v3, s[18:19]
	v_cndmask_b32_e64 v2, 7, v2, s[18:19]
	v_cmp_eq_u64_e64 s[20:21], 0, v[2:3]
	v_min_i32_e32 v3, 15, v5
	v_cmp_eq_u32_e64 s[18:19], 0, v5
	v_lshlrev_b32_e32 v3, 3, v3
	v_and_or_b32 v2, v2, 7, v3
	s_and_b64 s[18:19], s[18:19], s[20:21]
	v_cndmask_b32_e64 v2, v2, 0, s[18:19]
	v_or_b32_e32 v24, v2, v4
.LBB6_2840:                             ;   in Loop: Header=BB6_2700 Depth=2
	s_or_b64 exec, exec, s[60:61]
.LBB6_2841:                             ;   in Loop: Header=BB6_2700 Depth=2
	s_or_b64 exec, exec, s[58:59]
                                        ; implicit-def: $vgpr2
.LBB6_2842:                             ;   in Loop: Header=BB6_2700 Depth=2
	s_andn2_saveexec_b64 s[20:21], s[56:57]
; %bb.2843:                             ;   in Loop: Header=BB6_2700 Depth=2
	v_or_b32_sdwa v2, v2, s71 dst_sel:DWORD dst_unused:UNUSED_PAD src0_sel:BYTE_3 src1_sel:DWORD
	v_cmp_eq_u64_e64 s[18:19], 0, v[52:53]
	v_cndmask_b32_e64 v24, v2, v24, s[18:19]
; %bb.2844:                             ;   in Loop: Header=BB6_2700 Depth=2
	s_or_b64 exec, exec, s[20:21]
	v_lshrrev_b32_e32 v2, 16, v15
	v_cmp_ne_u16_sdwa s[18:19], v2, v53 src0_sel:BYTE_0 src1_sel:DWORD
	v_mov_b32_e32 v3, 0
	v_mov_b32_e32 v4, 0
	s_and_saveexec_b64 s[20:21], s[18:19]
	s_cbranch_execz .LBB6_2850
; %bb.2845:                             ;   in Loop: Header=BB6_2700 Depth=2
	v_cmp_ne_u16_sdwa s[18:19], v2, s69 src0_sel:BYTE_0 src1_sel:DWORD
	v_bfrev_b32_e32 v4, 1
	s_and_saveexec_b64 s[56:57], s[18:19]
	s_cbranch_execz .LBB6_2849
; %bb.2846:                             ;   in Loop: Header=BB6_2700 Depth=2
	v_bfe_u32 v5, v15, 16, 7
	v_cmp_ne_u32_e64 s[18:19], s71, v5
	v_mov_b32_e32 v4, 0x7f800001
	s_and_saveexec_b64 s[58:59], s[18:19]
	s_cbranch_execz .LBB6_2848
; %bb.2847:                             ;   in Loop: Header=BB6_2700 Depth=2
	v_and_b32_e32 v4, 7, v2
	v_ffbh_u32_e32 v6, v4
	v_min_u32_e32 v9, 32, v6
	v_subrev_u32_e32 v6, 28, v9
	v_lshlrev_b64 v[6:7], v6, v[2:3]
	v_lshrrev_b32_e32 v8, 3, v5
	v_sub_u32_e32 v7, 29, v9
	v_and_b32_e32 v6, 7, v6
	v_cmp_gt_u32_e64 s[18:19], 8, v5
	v_cndmask_b32_e64 v5, v8, v7, s[18:19]
	v_cndmask_b32_e64 v4, v4, v6, s[18:19]
	v_lshlrev_b32_e32 v2, 24, v2
	v_lshlrev_b32_e32 v4, 20, v4
	v_and_b32_e32 v2, 0x80000000, v2
	v_lshl_add_u32 v5, v5, 23, v29
	v_or3_b32 v4, v2, v5, v4
.LBB6_2848:                             ;   in Loop: Header=BB6_2700 Depth=2
	s_or_b64 exec, exec, s[58:59]
.LBB6_2849:                             ;   in Loop: Header=BB6_2700 Depth=2
	s_or_b64 exec, exec, s[56:57]
.LBB6_2850:                             ;   in Loop: Header=BB6_2700 Depth=2
	s_or_b64 exec, exec, s[20:21]
	v_lshrrev_b32_e32 v2, 16, v11
	v_cmp_ne_u16_sdwa s[18:19], v2, v53 src0_sel:BYTE_0 src1_sel:DWORD
	s_and_saveexec_b64 s[20:21], s[18:19]
	s_cbranch_execz .LBB6_2856
; %bb.2851:                             ;   in Loop: Header=BB6_2700 Depth=2
	v_cmp_ne_u16_sdwa s[18:19], v2, s69 src0_sel:BYTE_0 src1_sel:DWORD
	v_bfrev_b32_e32 v3, 1
	s_and_saveexec_b64 s[56:57], s[18:19]
	s_cbranch_execz .LBB6_2855
; %bb.2852:                             ;   in Loop: Header=BB6_2700 Depth=2
	v_bfe_u32 v5, v11, 16, 7
	v_cmp_ne_u32_e64 s[18:19], s71, v5
	v_mov_b32_e32 v3, 0x7f800001
	s_and_saveexec_b64 s[58:59], s[18:19]
	s_cbranch_execz .LBB6_2854
; %bb.2853:                             ;   in Loop: Header=BB6_2700 Depth=2
	v_and_b32_e32 v6, 7, v2
	v_ffbh_u32_e32 v3, v6
	v_min_u32_e32 v8, 32, v3
	v_subrev_u32_e32 v3, 28, v8
	v_lshlrev_b64 v[2:3], v3, v[2:3]
	v_lshrrev_b32_e32 v7, 3, v5
	v_sub_u32_e32 v3, 29, v8
	v_and_b32_e32 v2, 7, v2
	v_cmp_gt_u32_e64 s[18:19], 8, v5
	v_cndmask_b32_e64 v3, v7, v3, s[18:19]
	v_cndmask_b32_e64 v2, v6, v2, s[18:19]
	v_lshlrev_b32_e32 v5, 8, v11
	v_lshlrev_b32_e32 v2, 20, v2
	v_and_b32_e32 v5, 0x80000000, v5
	v_lshl_add_u32 v3, v3, 23, v29
	v_or3_b32 v3, v5, v3, v2
.LBB6_2854:                             ;   in Loop: Header=BB6_2700 Depth=2
	s_or_b64 exec, exec, s[58:59]
.LBB6_2855:                             ;   in Loop: Header=BB6_2700 Depth=2
	s_or_b64 exec, exec, s[56:57]
.LBB6_2856:                             ;   in Loop: Header=BB6_2700 Depth=2
	s_or_b64 exec, exec, s[20:21]
	v_add_f32_e32 v2, v4, v3
	v_and_b32_sdwa v4, v2, s69 dst_sel:DWORD dst_unused:UNUSED_PAD src0_sel:BYTE_3 src1_sel:DWORD
	v_and_b32_e32 v6, 0x7f800000, v2
	v_mov_b32_e32 v7, v53
	v_and_b32_e32 v52, 0x7fffff, v2
	v_or_b32_e32 v35, 0x7e, v4
	v_cmp_ne_u64_e64 s[18:19], s[38:39], v[6:7]
	s_and_saveexec_b64 s[20:21], s[18:19]
	s_xor_b64 s[56:57], exec, s[20:21]
	s_cbranch_execz .LBB6_2866
; %bb.2857:                             ;   in Loop: Header=BB6_2700 Depth=2
	v_and_b32_e32 v6, 0x7fffffff, v2
	v_mov_b32_e32 v7, v53
	v_cmp_gt_u64_e64 s[18:19], s[40:41], v[6:7]
	s_and_saveexec_b64 s[58:59], s[18:19]
	s_cbranch_execz .LBB6_2865
; %bb.2858:                             ;   in Loop: Header=BB6_2700 Depth=2
	v_cmp_ne_u32_e64 s[18:19], 0, v2
	v_mov_b32_e32 v35, 0
	s_and_saveexec_b64 s[60:61], s[18:19]
	s_cbranch_execz .LBB6_2864
; %bb.2859:                             ;   in Loop: Header=BB6_2700 Depth=2
	v_bfe_u32 v2, v2, 23, 8
	v_sub_u32_e32 v5, 0x79, v2
	v_cmp_gt_u32_e64 s[18:19], s72, v2
	v_cndmask_b32_e64 v5, 0, v5, s[18:19]
	v_cmp_eq_u32_e64 s[18:19], 0, v2
	v_or_b32_e32 v6, 0x800000, v52
	v_cndmask_b32_e64 v5, v5, v38, s[18:19]
	v_add_u32_e32 v3, 0xffffff81, v2
	v_cndmask_b32_e64 v52, v6, v52, s[18:19]
	v_add_u32_e32 v2, 20, v5
	v_cndmask_b32_e64 v32, v3, v33, s[18:19]
	v_lshlrev_b64 v[2:3], v2, -1
	v_lshrrev_b64 v[8:9], v5, v[52:53]
	v_not_b32_e32 v3, v3
	v_not_b32_e32 v2, v2
	v_add_u32_e32 v6, 19, v5
	v_lshrrev_b32_e32 v33, 23, v8
	v_and_b32_e32 v3, 0, v3
	v_and_b32_e32 v2, v52, v2
	v_lshlrev_b64 v[6:7], v6, 1
	v_add3_u32 v38, v5, v32, v33
	v_bfe_u32 v5, v8, 20, 1
	v_add_u32_e32 v5, -1, v5
	v_cmp_eq_u64_e64 s[18:19], v[2:3], v[6:7]
	v_cndmask_b32_e64 v2, 0, v5, s[18:19]
	v_add_u32_e32 v2, v2, v8
	v_and_b32_e32 v2, 0xfffff, v2
	v_add_co_u32_e64 v2, s[18:19], v2, v8
	v_add_u32_e32 v35, 6, v38
	v_addc_co_u32_e64 v3, s[18:19], 0, v9, s[18:19]
	v_cmp_ne_u32_e64 s[18:19], 0, v35
                                        ; implicit-def: $vgpr5
	s_and_saveexec_b64 s[20:21], s[18:19]
	s_xor_b64 s[20:21], exec, s[20:21]
; %bb.2860:                             ;   in Loop: Header=BB6_2700 Depth=2
	v_cmp_lt_u64_e64 s[18:19], s[44:45], v[2:3]
	v_add_u32_e32 v5, 7, v38
	v_cndmask_b32_e64 v6, 0, 1, s[18:19]
	v_cndmask_b32_e64 v5, v35, v5, s[18:19]
	v_lshrrev_b64 v[2:3], v6, v[2:3]
; %bb.2861:                             ;   in Loop: Header=BB6_2700 Depth=2
	s_andn2_saveexec_b64 s[18:19], s[20:21]
; %bb.2862:                             ;   in Loop: Header=BB6_2700 Depth=2
	v_bfe_u32 v5, v2, 23, 1
; %bb.2863:                             ;   in Loop: Header=BB6_2700 Depth=2
	s_or_b64 exec, exec, s[18:19]
	v_lshrrev_b64 v[2:3], 20, v[2:3]
	v_cmp_gt_i32_e64 s[18:19], 16, v5
	v_cndmask_b32_e64 v3, 0, v3, s[18:19]
	v_cndmask_b32_e64 v2, 7, v2, s[18:19]
	v_cmp_eq_u64_e64 s[20:21], 0, v[2:3]
	v_min_i32_e32 v3, 15, v5
	v_lshlrev_b32_e32 v3, 3, v3
	v_cmp_eq_u32_e64 s[18:19], 0, v5
	v_and_b32_e32 v3, 0xf8, v3
	v_and_or_b32 v2, v2, 7, v3
	s_and_b64 s[18:19], s[18:19], s[20:21]
	v_cndmask_b32_e64 v2, v2, 0, s[18:19]
	v_or_b32_e32 v35, v2, v4
	v_mov_b32_e32 v33, 0xffffff82
	v_mov_b32_e32 v38, 0x78
.LBB6_2864:                             ;   in Loop: Header=BB6_2700 Depth=2
	s_or_b64 exec, exec, s[60:61]
.LBB6_2865:                             ;   in Loop: Header=BB6_2700 Depth=2
	s_or_b64 exec, exec, s[58:59]
                                        ; implicit-def: $vgpr2
.LBB6_2866:                             ;   in Loop: Header=BB6_2700 Depth=2
	s_andn2_saveexec_b64 s[20:21], s[56:57]
; %bb.2867:                             ;   in Loop: Header=BB6_2700 Depth=2
	v_or_b32_sdwa v2, v2, s71 dst_sel:DWORD dst_unused:UNUSED_PAD src0_sel:BYTE_3 src1_sel:DWORD
	v_cmp_eq_u64_e64 s[18:19], 0, v[52:53]
	v_cndmask_b32_e64 v35, v2, v35, s[18:19]
; %bb.2868:                             ;   in Loop: Header=BB6_2700 Depth=2
	s_or_b64 exec, exec, s[20:21]
	v_cmp_lt_u64_e64 s[18:19], s[42:43], v[14:15]
	v_mov_b32_e32 v3, 0
	v_mov_b32_e32 v4, 0
	s_and_saveexec_b64 s[20:21], s[18:19]
	s_cbranch_execz .LBB6_2874
; %bb.2869:                             ;   in Loop: Header=BB6_2700 Depth=2
	v_lshrrev_b32_e32 v2, 24, v15
	v_cmp_ne_u32_e64 s[18:19], s69, v2
	v_bfrev_b32_e32 v4, 1
	s_and_saveexec_b64 s[56:57], s[18:19]
	s_cbranch_execz .LBB6_2873
; %bb.2870:                             ;   in Loop: Header=BB6_2700 Depth=2
	v_bfe_u32 v5, v15, 24, 7
	v_cmp_ne_u32_e64 s[18:19], s71, v5
	v_mov_b32_e32 v4, 0x7f800001
	s_and_saveexec_b64 s[58:59], s[18:19]
	s_cbranch_execz .LBB6_2872
; %bb.2871:                             ;   in Loop: Header=BB6_2700 Depth=2
	v_and_b32_e32 v4, 7, v2
	v_ffbh_u32_e32 v6, v4
	v_min_u32_e32 v9, 32, v6
	v_subrev_u32_e32 v6, 28, v9
	v_lshlrev_b64 v[6:7], v6, v[2:3]
	v_lshrrev_b32_e32 v8, 3, v5
	v_sub_u32_e32 v7, 29, v9
	v_and_b32_e32 v6, 7, v6
	v_cmp_gt_u32_e64 s[18:19], 8, v5
	v_cndmask_b32_e64 v5, v8, v7, s[18:19]
	v_cndmask_b32_e64 v4, v4, v6, s[18:19]
	v_lshlrev_b32_e32 v2, 24, v2
	v_lshlrev_b32_e32 v4, 20, v4
	v_and_b32_e32 v2, 0x80000000, v2
	v_lshl_add_u32 v5, v5, 23, v29
	v_or3_b32 v4, v2, v5, v4
.LBB6_2872:                             ;   in Loop: Header=BB6_2700 Depth=2
	s_or_b64 exec, exec, s[58:59]
.LBB6_2873:                             ;   in Loop: Header=BB6_2700 Depth=2
	s_or_b64 exec, exec, s[56:57]
.LBB6_2874:                             ;   in Loop: Header=BB6_2700 Depth=2
	s_or_b64 exec, exec, s[20:21]
	v_cmp_lt_u64_e64 s[18:19], s[42:43], v[10:11]
	s_and_saveexec_b64 s[20:21], s[18:19]
	s_cbranch_execz .LBB6_2880
; %bb.2875:                             ;   in Loop: Header=BB6_2700 Depth=2
	v_lshrrev_b32_e32 v2, 24, v11
	v_cmp_ne_u32_e64 s[18:19], s69, v2
	v_bfrev_b32_e32 v3, 1
	s_and_saveexec_b64 s[56:57], s[18:19]
	s_cbranch_execz .LBB6_2879
; %bb.2876:                             ;   in Loop: Header=BB6_2700 Depth=2
	v_bfe_u32 v5, v11, 24, 7
	v_cmp_ne_u32_e64 s[18:19], s71, v5
	v_mov_b32_e32 v3, 0x7f800001
	s_and_saveexec_b64 s[58:59], s[18:19]
	s_cbranch_execz .LBB6_2878
; %bb.2877:                             ;   in Loop: Header=BB6_2700 Depth=2
	v_and_b32_e32 v3, 7, v2
	v_ffbh_u32_e32 v6, v3
	v_min_u32_e32 v9, 32, v6
	v_subrev_u32_e32 v6, 28, v9
	v_lshlrev_b64 v[6:7], v6, v[2:3]
	v_lshrrev_b32_e32 v8, 3, v5
	v_sub_u32_e32 v7, 29, v9
	v_and_b32_e32 v6, 7, v6
	v_cmp_gt_u32_e64 s[18:19], 8, v5
	v_cndmask_b32_e64 v5, v8, v7, s[18:19]
	v_cndmask_b32_e64 v3, v3, v6, s[18:19]
	v_lshlrev_b32_e32 v2, 24, v2
	v_lshlrev_b32_e32 v3, 20, v3
	v_and_b32_e32 v2, 0x80000000, v2
	v_lshl_add_u32 v5, v5, 23, v29
	v_or3_b32 v3, v2, v5, v3
.LBB6_2878:                             ;   in Loop: Header=BB6_2700 Depth=2
	s_or_b64 exec, exec, s[58:59]
.LBB6_2879:                             ;   in Loop: Header=BB6_2700 Depth=2
	s_or_b64 exec, exec, s[56:57]
.LBB6_2880:                             ;   in Loop: Header=BB6_2700 Depth=2
	s_or_b64 exec, exec, s[20:21]
	v_add_f32_e32 v2, v4, v3
	v_and_b32_sdwa v4, v2, s69 dst_sel:DWORD dst_unused:UNUSED_PAD src0_sel:BYTE_3 src1_sel:DWORD
	v_and_b32_e32 v6, 0x7f800000, v2
	v_mov_b32_e32 v7, v53
	v_and_b32_e32 v52, 0x7fffff, v2
	v_or_b32_e32 v11, 0x7e, v4
	v_cmp_ne_u64_e64 s[18:19], s[38:39], v[6:7]
	s_and_saveexec_b64 s[20:21], s[18:19]
	s_xor_b64 s[56:57], exec, s[20:21]
	s_cbranch_execz .LBB6_2890
; %bb.2881:                             ;   in Loop: Header=BB6_2700 Depth=2
	v_and_b32_e32 v6, 0x7fffffff, v2
	v_mov_b32_e32 v7, v53
	v_cmp_gt_u64_e64 s[18:19], s[40:41], v[6:7]
	s_and_saveexec_b64 s[58:59], s[18:19]
	s_cbranch_execz .LBB6_2889
; %bb.2882:                             ;   in Loop: Header=BB6_2700 Depth=2
	v_cmp_ne_u32_e64 s[18:19], 0, v2
	v_mov_b32_e32 v11, 0
	s_and_saveexec_b64 s[60:61], s[18:19]
	s_cbranch_execz .LBB6_2888
; %bb.2883:                             ;   in Loop: Header=BB6_2700 Depth=2
	v_bfe_u32 v2, v2, 23, 8
	v_sub_u32_e32 v5, 0x79, v2
	v_cmp_gt_u32_e64 s[18:19], s72, v2
	v_cndmask_b32_e64 v5, 0, v5, s[18:19]
	v_cmp_eq_u32_e64 s[18:19], 0, v2
	v_or_b32_e32 v6, 0x800000, v52
	v_cndmask_b32_e64 v5, v5, v38, s[18:19]
	v_add_u32_e32 v3, 0xffffff81, v2
	v_cndmask_b32_e64 v52, v6, v52, s[18:19]
	v_add_u32_e32 v2, 20, v5
	v_cndmask_b32_e64 v10, v3, v33, s[18:19]
	v_lshlrev_b64 v[2:3], v2, -1
	v_lshrrev_b64 v[8:9], v5, v[52:53]
	v_not_b32_e32 v3, v3
	v_not_b32_e32 v2, v2
	v_add_u32_e32 v6, 19, v5
	v_lshrrev_b32_e32 v11, 23, v8
	v_and_b32_e32 v3, 0, v3
	v_and_b32_e32 v2, v52, v2
	v_lshlrev_b64 v[6:7], v6, 1
	v_add3_u32 v11, v5, v10, v11
	v_bfe_u32 v5, v8, 20, 1
	v_add_u32_e32 v5, -1, v5
	v_cmp_eq_u64_e64 s[18:19], v[2:3], v[6:7]
	v_cndmask_b32_e64 v2, 0, v5, s[18:19]
	v_add_u32_e32 v2, v2, v8
	v_and_b32_e32 v2, 0xfffff, v2
	v_add_co_u32_e64 v2, s[18:19], v2, v8
	v_add_u32_e32 v10, 6, v11
	v_addc_co_u32_e64 v3, s[18:19], 0, v9, s[18:19]
	v_cmp_ne_u32_e64 s[18:19], 0, v10
                                        ; implicit-def: $vgpr5
	s_and_saveexec_b64 s[20:21], s[18:19]
	s_xor_b64 s[20:21], exec, s[20:21]
; %bb.2884:                             ;   in Loop: Header=BB6_2700 Depth=2
	v_cmp_lt_u64_e64 s[18:19], s[44:45], v[2:3]
	v_add_u32_e32 v5, 7, v11
	v_cndmask_b32_e64 v6, 0, 1, s[18:19]
	v_cndmask_b32_e64 v5, v10, v5, s[18:19]
	v_lshrrev_b64 v[2:3], v6, v[2:3]
; %bb.2885:                             ;   in Loop: Header=BB6_2700 Depth=2
	s_andn2_saveexec_b64 s[18:19], s[20:21]
; %bb.2886:                             ;   in Loop: Header=BB6_2700 Depth=2
	v_bfe_u32 v5, v2, 23, 1
; %bb.2887:                             ;   in Loop: Header=BB6_2700 Depth=2
	s_or_b64 exec, exec, s[18:19]
	v_lshrrev_b64 v[2:3], 20, v[2:3]
	v_cmp_gt_i32_e64 s[18:19], 16, v5
	v_cndmask_b32_e64 v3, 0, v3, s[18:19]
	v_cndmask_b32_e64 v2, 7, v2, s[18:19]
	v_cmp_eq_u64_e64 s[20:21], 0, v[2:3]
	v_min_i32_e32 v3, 15, v5
	v_lshlrev_b32_e32 v3, 3, v3
	v_cmp_eq_u32_e64 s[18:19], 0, v5
	v_and_b32_e32 v3, 0xf8, v3
	v_and_or_b32 v2, v2, 7, v3
	s_and_b64 s[18:19], s[18:19], s[20:21]
	v_cndmask_b32_e64 v2, v2, 0, s[18:19]
	v_or_b32_e32 v11, v2, v4
.LBB6_2888:                             ;   in Loop: Header=BB6_2700 Depth=2
	s_or_b64 exec, exec, s[60:61]
.LBB6_2889:                             ;   in Loop: Header=BB6_2700 Depth=2
	s_or_b64 exec, exec, s[58:59]
                                        ; implicit-def: $vgpr2
.LBB6_2890:                             ;   in Loop: Header=BB6_2700 Depth=2
	s_andn2_saveexec_b64 s[20:21], s[56:57]
; %bb.2891:                             ;   in Loop: Header=BB6_2700 Depth=2
	v_or_b32_sdwa v2, v2, s71 dst_sel:DWORD dst_unused:UNUSED_PAD src0_sel:BYTE_3 src1_sel:DWORD
	v_cmp_eq_u64_e64 s[18:19], 0, v[52:53]
	v_cndmask_b32_e64 v11, v2, v11, s[18:19]
; %bb.2892:                             ;   in Loop: Header=BB6_2700 Depth=2
	s_or_b64 exec, exec, s[20:21]
	v_cmp_ne_u16_sdwa s[18:19], v16, v53 src0_sel:BYTE_0 src1_sel:DWORD
	v_mov_b32_e32 v2, 0
	v_mov_b32_e32 v3, 0
	s_and_saveexec_b64 s[20:21], s[18:19]
	s_cbranch_execz .LBB6_2898
; %bb.2893:                             ;   in Loop: Header=BB6_2700 Depth=2
	v_cmp_ne_u16_sdwa s[18:19], v16, s69 src0_sel:BYTE_0 src1_sel:DWORD
	v_bfrev_b32_e32 v3, 1
	s_and_saveexec_b64 s[56:57], s[18:19]
	s_cbranch_execz .LBB6_2897
; %bb.2894:                             ;   in Loop: Header=BB6_2700 Depth=2
	v_and_b32_e32 v4, 0x7f, v16
	v_cmp_ne_u32_e64 s[18:19], s71, v4
	v_mov_b32_e32 v3, 0x7f800001
	s_and_saveexec_b64 s[58:59], s[18:19]
	s_cbranch_execz .LBB6_2896
; %bb.2895:                             ;   in Loop: Header=BB6_2700 Depth=2
	v_and_b32_e32 v3, 7, v16
	v_ffbh_u32_e32 v3, v3
	v_min_u32_e32 v3, 32, v3
	v_subrev_u32_e32 v6, 28, v3
	v_cmp_gt_u32_e64 s[18:19], 8, v4
	v_lshrrev_b32_e32 v5, 3, v4
	v_sub_u32_e32 v3, 29, v3
	v_cndmask_b32_e64 v4, 0, v6, s[18:19]
	v_cndmask_b32_e64 v3, v5, v3, s[18:19]
	v_lshlrev_b64 v[4:5], v4, v[16:17]
	v_lshlrev_b32_e32 v4, 20, v4
	v_lshlrev_b32_e32 v5, 24, v16
	v_and_b32_e32 v4, 0x700000, v4
	v_and_b32_e32 v5, 0x80000000, v5
	v_lshl_add_u32 v3, v3, 23, v29
	v_or3_b32 v3, v5, v3, v4
.LBB6_2896:                             ;   in Loop: Header=BB6_2700 Depth=2
	s_or_b64 exec, exec, s[58:59]
.LBB6_2897:                             ;   in Loop: Header=BB6_2700 Depth=2
	s_or_b64 exec, exec, s[56:57]
.LBB6_2898:                             ;   in Loop: Header=BB6_2700 Depth=2
	s_or_b64 exec, exec, s[20:21]
	v_cmp_ne_u16_sdwa s[18:19], v12, v53 src0_sel:BYTE_0 src1_sel:DWORD
	s_and_saveexec_b64 s[20:21], s[18:19]
	s_cbranch_execz .LBB6_2904
; %bb.2899:                             ;   in Loop: Header=BB6_2700 Depth=2
	v_cmp_ne_u16_sdwa s[18:19], v12, s69 src0_sel:BYTE_0 src1_sel:DWORD
	v_bfrev_b32_e32 v2, 1
	s_and_saveexec_b64 s[56:57], s[18:19]
	s_cbranch_execz .LBB6_2903
; %bb.2900:                             ;   in Loop: Header=BB6_2700 Depth=2
	v_and_b32_e32 v4, 0x7f, v12
	v_cmp_ne_u32_e64 s[18:19], s71, v4
	v_mov_b32_e32 v2, 0x7f800001
	s_and_saveexec_b64 s[58:59], s[18:19]
	s_cbranch_execz .LBB6_2902
; %bb.2901:                             ;   in Loop: Header=BB6_2700 Depth=2
	v_and_b32_e32 v2, 7, v12
	v_ffbh_u32_e32 v2, v2
	v_min_u32_e32 v2, 32, v2
	v_subrev_u32_e32 v6, 28, v2
	v_cmp_gt_u32_e64 s[18:19], 8, v4
	v_lshrrev_b32_e32 v5, 3, v4
	v_sub_u32_e32 v2, 29, v2
	v_cndmask_b32_e64 v4, 0, v6, s[18:19]
	v_cndmask_b32_e64 v2, v5, v2, s[18:19]
	v_lshlrev_b64 v[4:5], v4, v[12:13]
	v_lshlrev_b32_e32 v4, 20, v4
	v_lshlrev_b32_e32 v5, 24, v12
	v_and_b32_e32 v4, 0x700000, v4
	v_and_b32_e32 v5, 0x80000000, v5
	v_lshl_add_u32 v2, v2, 23, v29
	v_or3_b32 v2, v5, v2, v4
.LBB6_2902:                             ;   in Loop: Header=BB6_2700 Depth=2
	s_or_b64 exec, exec, s[58:59]
.LBB6_2903:                             ;   in Loop: Header=BB6_2700 Depth=2
	s_or_b64 exec, exec, s[56:57]
.LBB6_2904:                             ;   in Loop: Header=BB6_2700 Depth=2
	s_or_b64 exec, exec, s[20:21]
	v_add_f32_e32 v2, v3, v2
	v_and_b32_sdwa v4, v2, s69 dst_sel:DWORD dst_unused:UNUSED_PAD src0_sel:BYTE_3 src1_sel:DWORD
	v_and_b32_e32 v6, 0x7f800000, v2
	v_mov_b32_e32 v7, v53
	v_and_b32_e32 v52, 0x7fffff, v2
	v_or_b32_e32 v14, 0x7e, v4
	v_cmp_ne_u64_e64 s[18:19], s[38:39], v[6:7]
	s_and_saveexec_b64 s[20:21], s[18:19]
	s_xor_b64 s[56:57], exec, s[20:21]
	s_cbranch_execz .LBB6_2914
; %bb.2905:                             ;   in Loop: Header=BB6_2700 Depth=2
	v_and_b32_e32 v6, 0x7fffffff, v2
	v_mov_b32_e32 v7, v53
	v_cmp_gt_u64_e64 s[18:19], s[40:41], v[6:7]
	s_and_saveexec_b64 s[58:59], s[18:19]
	s_cbranch_execz .LBB6_2913
; %bb.2906:                             ;   in Loop: Header=BB6_2700 Depth=2
	v_cmp_ne_u32_e64 s[18:19], 0, v2
	v_mov_b32_e32 v14, 0
	s_and_saveexec_b64 s[60:61], s[18:19]
	s_cbranch_execz .LBB6_2912
; %bb.2907:                             ;   in Loop: Header=BB6_2700 Depth=2
	v_bfe_u32 v2, v2, 23, 8
	v_sub_u32_e32 v5, 0x79, v2
	v_cmp_gt_u32_e64 s[18:19], s72, v2
	v_cndmask_b32_e64 v5, 0, v5, s[18:19]
	v_cmp_eq_u32_e64 s[18:19], 0, v2
	v_or_b32_e32 v6, 0x800000, v52
	v_cndmask_b32_e64 v5, v5, v38, s[18:19]
	v_add_u32_e32 v3, 0xffffff81, v2
	v_cndmask_b32_e64 v52, v6, v52, s[18:19]
	v_add_u32_e32 v2, 20, v5
	v_cndmask_b32_e64 v10, v3, v33, s[18:19]
	v_lshlrev_b64 v[2:3], v2, -1
	v_lshrrev_b64 v[8:9], v5, v[52:53]
	v_not_b32_e32 v3, v3
	v_not_b32_e32 v2, v2
	v_add_u32_e32 v6, 19, v5
	v_lshrrev_b32_e32 v14, 23, v8
	v_and_b32_e32 v3, 0, v3
	v_and_b32_e32 v2, v52, v2
	v_lshlrev_b64 v[6:7], v6, 1
	v_add3_u32 v14, v5, v10, v14
	v_bfe_u32 v5, v8, 20, 1
	v_add_u32_e32 v5, -1, v5
	v_cmp_eq_u64_e64 s[18:19], v[2:3], v[6:7]
	v_cndmask_b32_e64 v2, 0, v5, s[18:19]
	v_add_u32_e32 v2, v2, v8
	v_and_b32_e32 v2, 0xfffff, v2
	v_add_co_u32_e64 v2, s[18:19], v2, v8
	v_add_u32_e32 v10, 6, v14
	v_addc_co_u32_e64 v3, s[18:19], 0, v9, s[18:19]
	v_cmp_ne_u32_e64 s[18:19], 0, v10
                                        ; implicit-def: $vgpr5
	s_and_saveexec_b64 s[20:21], s[18:19]
	s_xor_b64 s[20:21], exec, s[20:21]
; %bb.2908:                             ;   in Loop: Header=BB6_2700 Depth=2
	v_cmp_lt_u64_e64 s[18:19], s[44:45], v[2:3]
	v_add_u32_e32 v5, 7, v14
	v_cndmask_b32_e64 v6, 0, 1, s[18:19]
	v_cndmask_b32_e64 v5, v10, v5, s[18:19]
	v_lshrrev_b64 v[2:3], v6, v[2:3]
; %bb.2909:                             ;   in Loop: Header=BB6_2700 Depth=2
	s_andn2_saveexec_b64 s[18:19], s[20:21]
; %bb.2910:                             ;   in Loop: Header=BB6_2700 Depth=2
	v_bfe_u32 v5, v2, 23, 1
; %bb.2911:                             ;   in Loop: Header=BB6_2700 Depth=2
	s_or_b64 exec, exec, s[18:19]
	v_lshrrev_b64 v[2:3], 20, v[2:3]
	v_cmp_gt_i32_e64 s[18:19], 16, v5
	v_cndmask_b32_e64 v3, 0, v3, s[18:19]
	v_cndmask_b32_e64 v2, 7, v2, s[18:19]
	v_cmp_eq_u64_e64 s[20:21], 0, v[2:3]
	v_min_i32_e32 v3, 15, v5
	v_cmp_eq_u32_e64 s[18:19], 0, v5
	v_lshlrev_b32_e32 v3, 3, v3
	v_and_or_b32 v2, v2, 7, v3
	s_and_b64 s[18:19], s[18:19], s[20:21]
	v_cndmask_b32_e64 v2, v2, 0, s[18:19]
	v_or_b32_e32 v14, v2, v4
.LBB6_2912:                             ;   in Loop: Header=BB6_2700 Depth=2
	s_or_b64 exec, exec, s[60:61]
.LBB6_2913:                             ;   in Loop: Header=BB6_2700 Depth=2
	s_or_b64 exec, exec, s[58:59]
                                        ; implicit-def: $vgpr2
.LBB6_2914:                             ;   in Loop: Header=BB6_2700 Depth=2
	s_andn2_saveexec_b64 s[20:21], s[56:57]
; %bb.2915:                             ;   in Loop: Header=BB6_2700 Depth=2
	v_or_b32_sdwa v2, v2, s71 dst_sel:DWORD dst_unused:UNUSED_PAD src0_sel:BYTE_3 src1_sel:DWORD
	v_cmp_eq_u64_e64 s[18:19], 0, v[52:53]
	v_cndmask_b32_e64 v14, v2, v14, s[18:19]
; %bb.2916:                             ;   in Loop: Header=BB6_2700 Depth=2
	s_or_b64 exec, exec, s[20:21]
	v_lshrrev_b16_e32 v2, 8, v16
	v_cmp_ne_u16_e64 s[18:19], 0, v2
	v_mov_b32_e32 v3, 0
	v_mov_b32_e32 v4, 0
	s_and_saveexec_b64 s[20:21], s[18:19]
	s_cbranch_execz .LBB6_2922
; %bb.2917:                             ;   in Loop: Header=BB6_2700 Depth=2
	v_cmp_ne_u16_e64 s[18:19], s69, v2
	v_bfrev_b32_e32 v4, 1
	s_and_saveexec_b64 s[56:57], s[18:19]
	s_cbranch_execz .LBB6_2921
; %bb.2918:                             ;   in Loop: Header=BB6_2700 Depth=2
	v_and_b32_e32 v5, 0x7f, v2
	v_cmp_ne_u32_e64 s[18:19], s71, v5
	v_mov_b32_e32 v4, 0x7f800001
	s_and_saveexec_b64 s[58:59], s[18:19]
	s_cbranch_execz .LBB6_2920
; %bb.2919:                             ;   in Loop: Header=BB6_2700 Depth=2
	v_and_b32_e32 v4, 7, v2
	v_ffbh_u32_e32 v6, v4
	v_min_u32_e32 v9, 32, v6
	v_subrev_u32_e32 v6, 28, v9
	v_lshlrev_b64 v[6:7], v6, v[2:3]
	v_lshrrev_b32_e32 v8, 3, v5
	v_sub_u32_e32 v2, 29, v9
	v_and_b32_e32 v6, 7, v6
	v_cmp_gt_u32_e64 s[18:19], 8, v5
	v_cndmask_b32_e64 v2, v8, v2, s[18:19]
	v_cndmask_b32_e64 v4, v4, v6, s[18:19]
	v_lshlrev_b32_e32 v5, 16, v16
	v_lshlrev_b32_e32 v4, 20, v4
	v_and_b32_e32 v5, 0x80000000, v5
	v_lshl_add_u32 v2, v2, 23, v29
	v_or3_b32 v4, v5, v2, v4
.LBB6_2920:                             ;   in Loop: Header=BB6_2700 Depth=2
	s_or_b64 exec, exec, s[58:59]
.LBB6_2921:                             ;   in Loop: Header=BB6_2700 Depth=2
	s_or_b64 exec, exec, s[56:57]
.LBB6_2922:                             ;   in Loop: Header=BB6_2700 Depth=2
	s_or_b64 exec, exec, s[20:21]
	v_lshrrev_b16_e32 v2, 8, v12
	v_cmp_ne_u16_e64 s[18:19], 0, v2
	s_and_saveexec_b64 s[20:21], s[18:19]
	s_cbranch_execz .LBB6_2928
; %bb.2923:                             ;   in Loop: Header=BB6_2700 Depth=2
	v_cmp_ne_u16_e64 s[18:19], s69, v2
	v_bfrev_b32_e32 v3, 1
	s_and_saveexec_b64 s[56:57], s[18:19]
	s_cbranch_execz .LBB6_2927
; %bb.2924:                             ;   in Loop: Header=BB6_2700 Depth=2
	v_and_b32_e32 v5, 0x7f, v2
	v_cmp_ne_u32_e64 s[18:19], s71, v5
	v_mov_b32_e32 v3, 0x7f800001
	s_and_saveexec_b64 s[58:59], s[18:19]
	s_cbranch_execz .LBB6_2926
; %bb.2925:                             ;   in Loop: Header=BB6_2700 Depth=2
	v_and_b32_e32 v6, 7, v2
	v_ffbh_u32_e32 v3, v6
	v_min_u32_e32 v8, 32, v3
	v_subrev_u32_e32 v3, 28, v8
	v_lshlrev_b64 v[2:3], v3, v[2:3]
	v_lshrrev_b32_e32 v7, 3, v5
	v_sub_u32_e32 v3, 29, v8
	v_and_b32_e32 v2, 7, v2
	v_cmp_gt_u32_e64 s[18:19], 8, v5
	v_cndmask_b32_e64 v3, v7, v3, s[18:19]
	v_cndmask_b32_e64 v2, v6, v2, s[18:19]
	v_lshlrev_b32_e32 v5, 16, v12
	v_lshlrev_b32_e32 v2, 20, v2
	v_and_b32_e32 v5, 0x80000000, v5
	v_lshl_add_u32 v3, v3, 23, v29
	v_or3_b32 v3, v5, v3, v2
.LBB6_2926:                             ;   in Loop: Header=BB6_2700 Depth=2
	s_or_b64 exec, exec, s[58:59]
.LBB6_2927:                             ;   in Loop: Header=BB6_2700 Depth=2
	s_or_b64 exec, exec, s[56:57]
.LBB6_2928:                             ;   in Loop: Header=BB6_2700 Depth=2
	s_or_b64 exec, exec, s[20:21]
	v_add_f32_e32 v2, v4, v3
	v_and_b32_sdwa v4, v2, s69 dst_sel:DWORD dst_unused:UNUSED_PAD src0_sel:BYTE_3 src1_sel:DWORD
	v_and_b32_e32 v6, 0x7f800000, v2
	v_mov_b32_e32 v7, v53
	v_and_b32_e32 v52, 0x7fffff, v2
	v_or_b32_e32 v15, 0x7e, v4
	v_cmp_ne_u64_e64 s[18:19], s[38:39], v[6:7]
	s_and_saveexec_b64 s[20:21], s[18:19]
	s_xor_b64 s[56:57], exec, s[20:21]
	s_cbranch_execz .LBB6_2938
; %bb.2929:                             ;   in Loop: Header=BB6_2700 Depth=2
	v_and_b32_e32 v6, 0x7fffffff, v2
	v_mov_b32_e32 v7, v53
	v_cmp_gt_u64_e64 s[18:19], s[40:41], v[6:7]
	s_and_saveexec_b64 s[58:59], s[18:19]
	s_cbranch_execz .LBB6_2937
; %bb.2930:                             ;   in Loop: Header=BB6_2700 Depth=2
	v_cmp_ne_u32_e64 s[18:19], 0, v2
	v_mov_b32_e32 v15, 0
	s_and_saveexec_b64 s[60:61], s[18:19]
	s_cbranch_execz .LBB6_2936
; %bb.2931:                             ;   in Loop: Header=BB6_2700 Depth=2
	v_bfe_u32 v2, v2, 23, 8
	v_sub_u32_e32 v5, 0x79, v2
	v_cmp_gt_u32_e64 s[18:19], s72, v2
	v_cndmask_b32_e64 v5, 0, v5, s[18:19]
	v_cmp_eq_u32_e64 s[18:19], 0, v2
	v_or_b32_e32 v6, 0x800000, v52
	v_cndmask_b32_e64 v5, v5, v38, s[18:19]
	v_add_u32_e32 v3, 0xffffff81, v2
	v_cndmask_b32_e64 v52, v6, v52, s[18:19]
	v_add_u32_e32 v2, 20, v5
	v_cndmask_b32_e64 v10, v3, v33, s[18:19]
	v_lshlrev_b64 v[2:3], v2, -1
	v_lshrrev_b64 v[8:9], v5, v[52:53]
	v_not_b32_e32 v3, v3
	v_not_b32_e32 v2, v2
	v_add_u32_e32 v6, 19, v5
	v_lshrrev_b32_e32 v15, 23, v8
	v_and_b32_e32 v3, 0, v3
	v_and_b32_e32 v2, v52, v2
	v_lshlrev_b64 v[6:7], v6, 1
	v_add3_u32 v15, v5, v10, v15
	v_bfe_u32 v5, v8, 20, 1
	v_add_u32_e32 v5, -1, v5
	v_cmp_eq_u64_e64 s[18:19], v[2:3], v[6:7]
	v_cndmask_b32_e64 v2, 0, v5, s[18:19]
	v_add_u32_e32 v2, v2, v8
	v_and_b32_e32 v2, 0xfffff, v2
	v_add_co_u32_e64 v2, s[18:19], v2, v8
	v_add_u32_e32 v10, 6, v15
	v_addc_co_u32_e64 v3, s[18:19], 0, v9, s[18:19]
	v_cmp_ne_u32_e64 s[18:19], 0, v10
                                        ; implicit-def: $vgpr5
	s_and_saveexec_b64 s[20:21], s[18:19]
	s_xor_b64 s[20:21], exec, s[20:21]
; %bb.2932:                             ;   in Loop: Header=BB6_2700 Depth=2
	v_cmp_lt_u64_e64 s[18:19], s[44:45], v[2:3]
	v_add_u32_e32 v5, 7, v15
	v_cndmask_b32_e64 v6, 0, 1, s[18:19]
	v_cndmask_b32_e64 v5, v10, v5, s[18:19]
	v_lshrrev_b64 v[2:3], v6, v[2:3]
; %bb.2933:                             ;   in Loop: Header=BB6_2700 Depth=2
	s_andn2_saveexec_b64 s[18:19], s[20:21]
; %bb.2934:                             ;   in Loop: Header=BB6_2700 Depth=2
	v_bfe_u32 v5, v2, 23, 1
; %bb.2935:                             ;   in Loop: Header=BB6_2700 Depth=2
	s_or_b64 exec, exec, s[18:19]
	v_lshrrev_b64 v[2:3], 20, v[2:3]
	v_cmp_gt_i32_e64 s[18:19], 16, v5
	v_cndmask_b32_e64 v3, 0, v3, s[18:19]
	v_cndmask_b32_e64 v2, 7, v2, s[18:19]
	v_cmp_eq_u64_e64 s[20:21], 0, v[2:3]
	v_min_i32_e32 v3, 15, v5
	v_cmp_eq_u32_e64 s[18:19], 0, v5
	v_lshlrev_b32_e32 v3, 3, v3
	v_and_or_b32 v2, v2, 7, v3
	s_and_b64 s[18:19], s[18:19], s[20:21]
	v_cndmask_b32_e64 v2, v2, 0, s[18:19]
	v_or_b32_e32 v15, v2, v4
.LBB6_2936:                             ;   in Loop: Header=BB6_2700 Depth=2
	s_or_b64 exec, exec, s[60:61]
.LBB6_2937:                             ;   in Loop: Header=BB6_2700 Depth=2
	s_or_b64 exec, exec, s[58:59]
                                        ; implicit-def: $vgpr2
.LBB6_2938:                             ;   in Loop: Header=BB6_2700 Depth=2
	s_andn2_saveexec_b64 s[20:21], s[56:57]
; %bb.2939:                             ;   in Loop: Header=BB6_2700 Depth=2
	v_or_b32_sdwa v2, v2, s71 dst_sel:DWORD dst_unused:UNUSED_PAD src0_sel:BYTE_3 src1_sel:DWORD
	v_cmp_eq_u64_e64 s[18:19], 0, v[52:53]
	v_cndmask_b32_e64 v15, v2, v15, s[18:19]
; %bb.2940:                             ;   in Loop: Header=BB6_2700 Depth=2
	s_or_b64 exec, exec, s[20:21]
	v_lshrrev_b32_e32 v2, 16, v16
	v_cmp_ne_u16_sdwa s[18:19], v2, v53 src0_sel:BYTE_0 src1_sel:DWORD
	v_mov_b32_e32 v3, 0
	v_mov_b32_e32 v4, 0
	s_and_saveexec_b64 s[20:21], s[18:19]
	s_cbranch_execz .LBB6_2946
; %bb.2941:                             ;   in Loop: Header=BB6_2700 Depth=2
	v_cmp_ne_u16_sdwa s[18:19], v2, s69 src0_sel:BYTE_0 src1_sel:DWORD
	v_bfrev_b32_e32 v4, 1
	s_and_saveexec_b64 s[56:57], s[18:19]
	s_cbranch_execz .LBB6_2945
; %bb.2942:                             ;   in Loop: Header=BB6_2700 Depth=2
	v_bfe_u32 v5, v16, 16, 7
	v_cmp_ne_u32_e64 s[18:19], s71, v5
	v_mov_b32_e32 v4, 0x7f800001
	s_and_saveexec_b64 s[58:59], s[18:19]
	s_cbranch_execz .LBB6_2944
; %bb.2943:                             ;   in Loop: Header=BB6_2700 Depth=2
	v_and_b32_e32 v4, 7, v2
	v_ffbh_u32_e32 v6, v4
	v_min_u32_e32 v9, 32, v6
	v_subrev_u32_e32 v6, 28, v9
	v_lshlrev_b64 v[6:7], v6, v[2:3]
	v_lshrrev_b32_e32 v8, 3, v5
	v_sub_u32_e32 v7, 29, v9
	v_and_b32_e32 v6, 7, v6
	v_cmp_gt_u32_e64 s[18:19], 8, v5
	v_cndmask_b32_e64 v5, v8, v7, s[18:19]
	v_cndmask_b32_e64 v4, v4, v6, s[18:19]
	v_lshlrev_b32_e32 v2, 24, v2
	v_lshlrev_b32_e32 v4, 20, v4
	v_and_b32_e32 v2, 0x80000000, v2
	v_lshl_add_u32 v5, v5, 23, v29
	v_or3_b32 v4, v2, v5, v4
.LBB6_2944:                             ;   in Loop: Header=BB6_2700 Depth=2
	s_or_b64 exec, exec, s[58:59]
.LBB6_2945:                             ;   in Loop: Header=BB6_2700 Depth=2
	s_or_b64 exec, exec, s[56:57]
.LBB6_2946:                             ;   in Loop: Header=BB6_2700 Depth=2
	s_or_b64 exec, exec, s[20:21]
	v_lshrrev_b32_e32 v2, 16, v12
	v_cmp_ne_u16_sdwa s[18:19], v2, v53 src0_sel:BYTE_0 src1_sel:DWORD
	s_and_saveexec_b64 s[20:21], s[18:19]
	s_cbranch_execz .LBB6_2952
; %bb.2947:                             ;   in Loop: Header=BB6_2700 Depth=2
	v_cmp_ne_u16_sdwa s[18:19], v2, s69 src0_sel:BYTE_0 src1_sel:DWORD
	v_bfrev_b32_e32 v3, 1
	s_and_saveexec_b64 s[56:57], s[18:19]
	s_cbranch_execz .LBB6_2951
; %bb.2948:                             ;   in Loop: Header=BB6_2700 Depth=2
	v_bfe_u32 v5, v12, 16, 7
	v_cmp_ne_u32_e64 s[18:19], s71, v5
	v_mov_b32_e32 v3, 0x7f800001
	s_and_saveexec_b64 s[58:59], s[18:19]
	s_cbranch_execz .LBB6_2950
; %bb.2949:                             ;   in Loop: Header=BB6_2700 Depth=2
	v_and_b32_e32 v6, 7, v2
	v_ffbh_u32_e32 v3, v6
	v_min_u32_e32 v8, 32, v3
	v_subrev_u32_e32 v3, 28, v8
	v_lshlrev_b64 v[2:3], v3, v[2:3]
	v_lshrrev_b32_e32 v7, 3, v5
	v_sub_u32_e32 v3, 29, v8
	v_and_b32_e32 v2, 7, v2
	v_cmp_gt_u32_e64 s[18:19], 8, v5
	v_cndmask_b32_e64 v3, v7, v3, s[18:19]
	v_cndmask_b32_e64 v2, v6, v2, s[18:19]
	v_lshlrev_b32_e32 v5, 8, v12
	v_lshlrev_b32_e32 v2, 20, v2
	v_and_b32_e32 v5, 0x80000000, v5
	v_lshl_add_u32 v3, v3, 23, v29
	v_or3_b32 v3, v5, v3, v2
.LBB6_2950:                             ;   in Loop: Header=BB6_2700 Depth=2
	s_or_b64 exec, exec, s[58:59]
.LBB6_2951:                             ;   in Loop: Header=BB6_2700 Depth=2
	s_or_b64 exec, exec, s[56:57]
.LBB6_2952:                             ;   in Loop: Header=BB6_2700 Depth=2
	s_or_b64 exec, exec, s[20:21]
	v_add_f32_e32 v2, v4, v3
	v_and_b32_sdwa v4, v2, s69 dst_sel:DWORD dst_unused:UNUSED_PAD src0_sel:BYTE_3 src1_sel:DWORD
	v_and_b32_e32 v6, 0x7f800000, v2
	v_mov_b32_e32 v7, v53
	v_and_b32_e32 v52, 0x7fffff, v2
	v_or_b32_e32 v50, 0x7e, v4
	v_cmp_ne_u64_e64 s[18:19], s[38:39], v[6:7]
	s_and_saveexec_b64 s[20:21], s[18:19]
	s_xor_b64 s[56:57], exec, s[20:21]
	s_cbranch_execz .LBB6_2962
; %bb.2953:                             ;   in Loop: Header=BB6_2700 Depth=2
	v_and_b32_e32 v6, 0x7fffffff, v2
	v_mov_b32_e32 v7, v53
	v_cmp_gt_u64_e64 s[18:19], s[40:41], v[6:7]
	s_and_saveexec_b64 s[58:59], s[18:19]
	s_cbranch_execz .LBB6_2961
; %bb.2954:                             ;   in Loop: Header=BB6_2700 Depth=2
	v_cmp_ne_u32_e64 s[18:19], 0, v2
	v_mov_b32_e32 v50, 0
	s_and_saveexec_b64 s[60:61], s[18:19]
	s_cbranch_execz .LBB6_2960
; %bb.2955:                             ;   in Loop: Header=BB6_2700 Depth=2
	v_bfe_u32 v2, v2, 23, 8
	v_sub_u32_e32 v5, 0x79, v2
	v_cmp_gt_u32_e64 s[18:19], s72, v2
	v_cndmask_b32_e64 v5, 0, v5, s[18:19]
	v_cmp_eq_u32_e64 s[18:19], 0, v2
	v_or_b32_e32 v6, 0x800000, v52
	v_cndmask_b32_e64 v5, v5, v38, s[18:19]
	v_add_u32_e32 v3, 0xffffff81, v2
	v_cndmask_b32_e64 v52, v6, v52, s[18:19]
	v_add_u32_e32 v2, 20, v5
	v_cndmask_b32_e64 v10, v3, v33, s[18:19]
	v_lshlrev_b64 v[2:3], v2, -1
	v_lshrrev_b64 v[8:9], v5, v[52:53]
	v_not_b32_e32 v3, v3
	v_not_b32_e32 v2, v2
	v_add_u32_e32 v6, 19, v5
	v_lshrrev_b32_e32 v32, 23, v8
	v_and_b32_e32 v3, 0, v3
	v_and_b32_e32 v2, v52, v2
	v_lshlrev_b64 v[6:7], v6, 1
	v_add3_u32 v38, v5, v10, v32
	v_bfe_u32 v5, v8, 20, 1
	v_add_u32_e32 v5, -1, v5
	v_cmp_eq_u64_e64 s[18:19], v[2:3], v[6:7]
	v_cndmask_b32_e64 v2, 0, v5, s[18:19]
	v_add_u32_e32 v2, v2, v8
	v_and_b32_e32 v2, 0xfffff, v2
	v_add_co_u32_e64 v2, s[18:19], v2, v8
	v_add_u32_e32 v10, 6, v38
	v_addc_co_u32_e64 v3, s[18:19], 0, v9, s[18:19]
	v_cmp_ne_u32_e64 s[18:19], 0, v10
                                        ; implicit-def: $vgpr5
	s_and_saveexec_b64 s[20:21], s[18:19]
	s_xor_b64 s[20:21], exec, s[20:21]
; %bb.2956:                             ;   in Loop: Header=BB6_2700 Depth=2
	v_cmp_lt_u64_e64 s[18:19], s[44:45], v[2:3]
	v_add_u32_e32 v5, 7, v38
	v_cndmask_b32_e64 v6, 0, 1, s[18:19]
	v_cndmask_b32_e64 v5, v10, v5, s[18:19]
	v_lshrrev_b64 v[2:3], v6, v[2:3]
; %bb.2957:                             ;   in Loop: Header=BB6_2700 Depth=2
	s_andn2_saveexec_b64 s[18:19], s[20:21]
; %bb.2958:                             ;   in Loop: Header=BB6_2700 Depth=2
	v_bfe_u32 v5, v2, 23, 1
; %bb.2959:                             ;   in Loop: Header=BB6_2700 Depth=2
	s_or_b64 exec, exec, s[18:19]
	v_lshrrev_b64 v[2:3], 20, v[2:3]
	v_cmp_gt_i32_e64 s[18:19], 16, v5
	v_cndmask_b32_e64 v3, 0, v3, s[18:19]
	v_cndmask_b32_e64 v2, 7, v2, s[18:19]
	v_cmp_eq_u64_e64 s[20:21], 0, v[2:3]
	v_min_i32_e32 v3, 15, v5
	v_cmp_eq_u32_e64 s[18:19], 0, v5
	v_lshlrev_b32_e32 v3, 3, v3
	v_and_or_b32 v2, v2, 7, v3
	s_and_b64 s[18:19], s[18:19], s[20:21]
	v_cndmask_b32_e64 v2, v2, 0, s[18:19]
	v_or_b32_e32 v50, v2, v4
	v_mov_b32_e32 v38, 0x78
.LBB6_2960:                             ;   in Loop: Header=BB6_2700 Depth=2
	s_or_b64 exec, exec, s[60:61]
.LBB6_2961:                             ;   in Loop: Header=BB6_2700 Depth=2
	s_or_b64 exec, exec, s[58:59]
                                        ; implicit-def: $vgpr2
.LBB6_2962:                             ;   in Loop: Header=BB6_2700 Depth=2
	s_andn2_saveexec_b64 s[20:21], s[56:57]
; %bb.2963:                             ;   in Loop: Header=BB6_2700 Depth=2
	v_or_b32_sdwa v2, v2, s71 dst_sel:DWORD dst_unused:UNUSED_PAD src0_sel:BYTE_3 src1_sel:DWORD
	v_cmp_eq_u64_e64 s[18:19], 0, v[52:53]
	v_cndmask_b32_e64 v50, v2, v50, s[18:19]
; %bb.2964:                             ;   in Loop: Header=BB6_2700 Depth=2
	s_or_b64 exec, exec, s[20:21]
	v_cmp_lt_u32_e64 s[18:19], s43, v16
	v_mov_b32_e32 v3, 0
	v_mov_b32_e32 v4, 0
	s_and_saveexec_b64 s[20:21], s[18:19]
	s_cbranch_execz .LBB6_2970
; %bb.2965:                             ;   in Loop: Header=BB6_2700 Depth=2
	v_lshrrev_b32_e32 v2, 24, v16
	v_cmp_ne_u32_e64 s[18:19], s69, v2
	v_bfrev_b32_e32 v4, 1
	s_and_saveexec_b64 s[56:57], s[18:19]
	s_cbranch_execz .LBB6_2969
; %bb.2966:                             ;   in Loop: Header=BB6_2700 Depth=2
	v_bfe_u32 v5, v16, 24, 7
	v_cmp_ne_u32_e64 s[18:19], s71, v5
	v_mov_b32_e32 v4, 0x7f800001
	s_and_saveexec_b64 s[58:59], s[18:19]
	s_cbranch_execz .LBB6_2968
; %bb.2967:                             ;   in Loop: Header=BB6_2700 Depth=2
	v_and_b32_e32 v4, 7, v2
	v_ffbh_u32_e32 v6, v4
	v_min_u32_e32 v9, 32, v6
	v_subrev_u32_e32 v6, 28, v9
	v_lshlrev_b64 v[6:7], v6, v[2:3]
	v_lshrrev_b32_e32 v8, 3, v5
	v_sub_u32_e32 v7, 29, v9
	v_and_b32_e32 v6, 7, v6
	v_cmp_gt_u32_e64 s[18:19], 8, v5
	v_cndmask_b32_e64 v5, v8, v7, s[18:19]
	v_cndmask_b32_e64 v4, v4, v6, s[18:19]
	v_lshlrev_b32_e32 v2, 24, v2
	v_lshlrev_b32_e32 v4, 20, v4
	v_and_b32_e32 v2, 0x80000000, v2
	v_lshl_add_u32 v5, v5, 23, v29
	v_or3_b32 v4, v2, v5, v4
.LBB6_2968:                             ;   in Loop: Header=BB6_2700 Depth=2
	s_or_b64 exec, exec, s[58:59]
.LBB6_2969:                             ;   in Loop: Header=BB6_2700 Depth=2
	s_or_b64 exec, exec, s[56:57]
.LBB6_2970:                             ;   in Loop: Header=BB6_2700 Depth=2
	s_or_b64 exec, exec, s[20:21]
	v_cmp_lt_u32_e64 s[18:19], s43, v12
	s_and_saveexec_b64 s[20:21], s[18:19]
	s_cbranch_execz .LBB6_2976
; %bb.2971:                             ;   in Loop: Header=BB6_2700 Depth=2
	v_lshrrev_b32_e32 v2, 24, v12
	v_cmp_ne_u32_e64 s[18:19], s69, v2
	v_bfrev_b32_e32 v3, 1
	s_and_saveexec_b64 s[56:57], s[18:19]
	s_cbranch_execz .LBB6_2975
; %bb.2972:                             ;   in Loop: Header=BB6_2700 Depth=2
	v_bfe_u32 v5, v12, 24, 7
	v_cmp_ne_u32_e64 s[18:19], s71, v5
	v_mov_b32_e32 v3, 0x7f800001
	s_and_saveexec_b64 s[58:59], s[18:19]
	s_cbranch_execz .LBB6_2974
; %bb.2973:                             ;   in Loop: Header=BB6_2700 Depth=2
	v_and_b32_e32 v3, 7, v2
	v_ffbh_u32_e32 v6, v3
	v_min_u32_e32 v9, 32, v6
	v_subrev_u32_e32 v6, 28, v9
	v_lshlrev_b64 v[6:7], v6, v[2:3]
	v_lshrrev_b32_e32 v8, 3, v5
	v_sub_u32_e32 v7, 29, v9
	v_and_b32_e32 v6, 7, v6
	v_cmp_gt_u32_e64 s[18:19], 8, v5
	v_cndmask_b32_e64 v5, v8, v7, s[18:19]
	v_cndmask_b32_e64 v3, v3, v6, s[18:19]
	v_lshlrev_b32_e32 v2, 24, v2
	v_lshlrev_b32_e32 v3, 20, v3
	v_and_b32_e32 v2, 0x80000000, v2
	v_lshl_add_u32 v5, v5, 23, v29
	v_or3_b32 v3, v2, v5, v3
.LBB6_2974:                             ;   in Loop: Header=BB6_2700 Depth=2
	s_or_b64 exec, exec, s[58:59]
.LBB6_2975:                             ;   in Loop: Header=BB6_2700 Depth=2
	s_or_b64 exec, exec, s[56:57]
.LBB6_2976:                             ;   in Loop: Header=BB6_2700 Depth=2
	s_or_b64 exec, exec, s[20:21]
	v_add_f32_e32 v2, v4, v3
	v_and_b32_sdwa v5, v2, s69 dst_sel:DWORD dst_unused:UNUSED_PAD src0_sel:BYTE_3 src1_sel:DWORD
	v_and_b32_e32 v6, 0x7f800000, v2
	v_mov_b32_e32 v7, v53
	v_and_b32_e32 v52, 0x7fffff, v2
	v_or_b32_e32 v4, 0x7e, v5
	v_cmp_ne_u64_e64 s[18:19], s[38:39], v[6:7]
	s_and_saveexec_b64 s[20:21], s[18:19]
	s_xor_b64 s[56:57], exec, s[20:21]
	s_cbranch_execz .LBB6_2986
; %bb.2977:                             ;   in Loop: Header=BB6_2700 Depth=2
	v_and_b32_e32 v6, 0x7fffffff, v2
	v_mov_b32_e32 v7, v53
	v_cmp_gt_u64_e64 s[18:19], s[40:41], v[6:7]
	s_and_saveexec_b64 s[58:59], s[18:19]
	s_cbranch_execz .LBB6_2985
; %bb.2978:                             ;   in Loop: Header=BB6_2700 Depth=2
	v_cmp_ne_u32_e64 s[18:19], 0, v2
	v_mov_b32_e32 v4, 0
	s_and_saveexec_b64 s[60:61], s[18:19]
	s_cbranch_execz .LBB6_2984
; %bb.2979:                             ;   in Loop: Header=BB6_2700 Depth=2
	v_bfe_u32 v2, v2, 23, 8
	v_sub_u32_e32 v4, 0x79, v2
	v_cmp_gt_u32_e64 s[18:19], s72, v2
	v_cndmask_b32_e64 v4, 0, v4, s[18:19]
	v_cmp_eq_u32_e64 s[18:19], 0, v2
	v_or_b32_e32 v6, 0x800000, v52
	v_cndmask_b32_e64 v4, v4, v38, s[18:19]
	v_add_u32_e32 v3, 0xffffff81, v2
	v_cndmask_b32_e64 v52, v6, v52, s[18:19]
	v_add_u32_e32 v2, 20, v4
	v_cndmask_b32_e64 v10, v3, v33, s[18:19]
	v_lshlrev_b64 v[2:3], v2, -1
	v_lshrrev_b64 v[8:9], v4, v[52:53]
	v_not_b32_e32 v3, v3
	v_not_b32_e32 v2, v2
	v_add_u32_e32 v6, 19, v4
	v_lshrrev_b32_e32 v32, 23, v8
	v_and_b32_e32 v3, 0, v3
	v_and_b32_e32 v2, v52, v2
	v_lshlrev_b64 v[6:7], v6, 1
	v_add3_u32 v38, v4, v10, v32
	v_bfe_u32 v4, v8, 20, 1
	v_add_u32_e32 v4, -1, v4
	v_cmp_eq_u64_e64 s[18:19], v[2:3], v[6:7]
	v_cndmask_b32_e64 v2, 0, v4, s[18:19]
	v_add_u32_e32 v2, v2, v8
	v_and_b32_e32 v2, 0xfffff, v2
	v_add_co_u32_e64 v2, s[18:19], v2, v8
	v_add_u32_e32 v10, 6, v38
	v_addc_co_u32_e64 v3, s[18:19], 0, v9, s[18:19]
	v_cmp_ne_u32_e64 s[18:19], 0, v10
                                        ; implicit-def: $vgpr4
	s_and_saveexec_b64 s[20:21], s[18:19]
	s_xor_b64 s[20:21], exec, s[20:21]
; %bb.2980:                             ;   in Loop: Header=BB6_2700 Depth=2
	v_cmp_lt_u64_e64 s[18:19], s[44:45], v[2:3]
	v_add_u32_e32 v4, 7, v38
	v_cndmask_b32_e64 v6, 0, 1, s[18:19]
	v_cndmask_b32_e64 v4, v10, v4, s[18:19]
	v_lshrrev_b64 v[2:3], v6, v[2:3]
; %bb.2981:                             ;   in Loop: Header=BB6_2700 Depth=2
	s_andn2_saveexec_b64 s[18:19], s[20:21]
; %bb.2982:                             ;   in Loop: Header=BB6_2700 Depth=2
	v_bfe_u32 v4, v2, 23, 1
; %bb.2983:                             ;   in Loop: Header=BB6_2700 Depth=2
	s_or_b64 exec, exec, s[18:19]
	v_lshrrev_b64 v[2:3], 20, v[2:3]
	v_cmp_gt_i32_e64 s[18:19], 16, v4
	v_cndmask_b32_e64 v3, 0, v3, s[18:19]
	v_cndmask_b32_e64 v2, 7, v2, s[18:19]
	v_cmp_eq_u64_e64 s[20:21], 0, v[2:3]
	v_min_i32_e32 v3, 15, v4
	v_cmp_eq_u32_e64 s[18:19], 0, v4
	v_lshlrev_b32_e32 v3, 3, v3
	v_and_or_b32 v2, v2, 7, v3
	s_and_b64 s[18:19], s[18:19], s[20:21]
	v_cndmask_b32_e64 v2, v2, 0, s[18:19]
	v_or_b32_e32 v4, v2, v5
	v_mov_b32_e32 v38, 0x78
.LBB6_2984:                             ;   in Loop: Header=BB6_2700 Depth=2
	s_or_b64 exec, exec, s[60:61]
.LBB6_2985:                             ;   in Loop: Header=BB6_2700 Depth=2
	s_or_b64 exec, exec, s[58:59]
                                        ; implicit-def: $vgpr2
.LBB6_2986:                             ;   in Loop: Header=BB6_2700 Depth=2
	s_andn2_saveexec_b64 s[20:21], s[56:57]
; %bb.2987:                             ;   in Loop: Header=BB6_2700 Depth=2
	v_or_b32_sdwa v2, v2, s71 dst_sel:DWORD dst_unused:UNUSED_PAD src0_sel:BYTE_3 src1_sel:DWORD
	v_cmp_eq_u64_e64 s[18:19], 0, v[52:53]
	v_cndmask_b32_e64 v4, v2, v4, s[18:19]
; %bb.2988:                             ;   in Loop: Header=BB6_2700 Depth=2
	s_or_b64 exec, exec, s[20:21]
	v_mov_b32_e32 v52, v17
	v_cmp_ne_u16_sdwa s[18:19], v17, v53 src0_sel:BYTE_0 src1_sel:DWORD
	v_mov_b32_e32 v3, 0
	v_mov_b32_e32 v2, 0
	s_and_saveexec_b64 s[20:21], s[18:19]
	s_cbranch_execz .LBB6_2994
; %bb.2989:                             ;   in Loop: Header=BB6_2700 Depth=2
	v_cmp_ne_u16_sdwa s[18:19], v17, s69 src0_sel:BYTE_0 src1_sel:DWORD
	v_bfrev_b32_e32 v2, 1
	s_and_saveexec_b64 s[56:57], s[18:19]
	s_cbranch_execz .LBB6_2993
; %bb.2990:                             ;   in Loop: Header=BB6_2700 Depth=2
	v_and_b32_e32 v5, 0x7f, v17
	v_cmp_ne_u32_e64 s[18:19], s71, v5
	v_mov_b32_e32 v2, 0x7f800001
	s_and_saveexec_b64 s[58:59], s[18:19]
	s_cbranch_execz .LBB6_2992
; %bb.2991:                             ;   in Loop: Header=BB6_2700 Depth=2
	v_and_b32_e32 v2, 7, v17
	v_ffbh_u32_e32 v2, v2
	v_min_u32_e32 v2, 32, v2
	v_subrev_u32_e32 v7, 28, v2
	v_cmp_gt_u32_e64 s[18:19], 8, v5
	v_lshrrev_b32_e32 v6, 3, v5
	v_sub_u32_e32 v2, 29, v2
	v_cndmask_b32_e64 v5, 0, v7, s[18:19]
	v_cndmask_b32_e64 v2, v6, v2, s[18:19]
	v_lshlrev_b64 v[6:7], v5, v[52:53]
	v_lshlrev_b32_e32 v5, 20, v6
	v_lshlrev_b32_e32 v6, 24, v52
	v_and_b32_e32 v5, 0x700000, v5
	v_and_b32_e32 v6, 0x80000000, v6
	v_lshl_add_u32 v2, v2, 23, v29
	v_or3_b32 v2, v6, v2, v5
.LBB6_2992:                             ;   in Loop: Header=BB6_2700 Depth=2
	s_or_b64 exec, exec, s[58:59]
.LBB6_2993:                             ;   in Loop: Header=BB6_2700 Depth=2
	s_or_b64 exec, exec, s[56:57]
.LBB6_2994:                             ;   in Loop: Header=BB6_2700 Depth=2
	s_or_b64 exec, exec, s[20:21]
	v_cmp_ne_u16_sdwa s[18:19], v13, v53 src0_sel:BYTE_0 src1_sel:DWORD
	s_and_saveexec_b64 s[20:21], s[18:19]
	s_cbranch_execz .LBB6_3000
; %bb.2995:                             ;   in Loop: Header=BB6_2700 Depth=2
	v_cmp_ne_u16_sdwa s[18:19], v13, s69 src0_sel:BYTE_0 src1_sel:DWORD
	v_bfrev_b32_e32 v3, 1
	s_and_saveexec_b64 s[56:57], s[18:19]
	s_cbranch_execz .LBB6_2999
; %bb.2996:                             ;   in Loop: Header=BB6_2700 Depth=2
	v_and_b32_e32 v5, 0x7f, v13
	v_cmp_ne_u32_e64 s[18:19], s71, v5
	v_mov_b32_e32 v3, 0x7f800001
	s_and_saveexec_b64 s[58:59], s[18:19]
	s_cbranch_execz .LBB6_2998
; %bb.2997:                             ;   in Loop: Header=BB6_2700 Depth=2
	v_and_b32_e32 v3, 7, v13
	v_ffbh_u32_e32 v3, v3
	v_min_u32_e32 v3, 32, v3
	v_subrev_u32_e32 v9, 28, v3
	v_cmp_gt_u32_e64 s[18:19], 8, v5
	v_mov_b32_e32 v6, v13
	v_mov_b32_e32 v7, v53
	v_lshrrev_b32_e32 v8, 3, v5
	v_sub_u32_e32 v3, 29, v3
	v_cndmask_b32_e64 v5, 0, v9, s[18:19]
	v_cndmask_b32_e64 v3, v8, v3, s[18:19]
	v_lshlrev_b64 v[8:9], v5, v[6:7]
	v_lshlrev_b32_e32 v5, 20, v8
	v_lshlrev_b32_e32 v6, 24, v6
	v_and_b32_e32 v5, 0x700000, v5
	v_and_b32_e32 v6, 0x80000000, v6
	v_lshl_add_u32 v3, v3, 23, v29
	v_or3_b32 v3, v6, v3, v5
.LBB6_2998:                             ;   in Loop: Header=BB6_2700 Depth=2
	s_or_b64 exec, exec, s[58:59]
.LBB6_2999:                             ;   in Loop: Header=BB6_2700 Depth=2
	s_or_b64 exec, exec, s[56:57]
.LBB6_3000:                             ;   in Loop: Header=BB6_2700 Depth=2
	s_or_b64 exec, exec, s[20:21]
	v_add_f32_e32 v48, v2, v3
	v_and_b32_sdwa v10, v48, s69 dst_sel:DWORD dst_unused:UNUSED_PAD src0_sel:BYTE_3 src1_sel:DWORD
	v_and_b32_e32 v6, 0x7f800000, v48
	v_mov_b32_e32 v7, v53
	v_and_b32_e32 v2, 0x7fffff, v48
	v_mov_b32_e32 v3, v53
	v_or_b32_e32 v5, 0x7e, v10
	v_cmp_ne_u64_e64 s[18:19], s[38:39], v[6:7]
	s_and_saveexec_b64 s[20:21], s[18:19]
	s_xor_b64 s[56:57], exec, s[20:21]
	s_cbranch_execz .LBB6_3010
; %bb.3001:                             ;   in Loop: Header=BB6_2700 Depth=2
	v_and_b32_e32 v6, 0x7fffffff, v48
	v_mov_b32_e32 v7, v53
	v_cmp_gt_u64_e64 s[18:19], s[40:41], v[6:7]
	s_and_saveexec_b64 s[58:59], s[18:19]
	s_cbranch_execz .LBB6_3009
; %bb.3002:                             ;   in Loop: Header=BB6_2700 Depth=2
	v_cmp_ne_u32_e64 s[18:19], 0, v48
	v_mov_b32_e32 v5, 0
	s_and_saveexec_b64 s[60:61], s[18:19]
	s_cbranch_execz .LBB6_3008
; %bb.3003:                             ;   in Loop: Header=BB6_2700 Depth=2
	v_bfe_u32 v5, v48, 23, 8
	v_sub_u32_e32 v7, 0x79, v5
	v_cmp_gt_u32_e64 s[18:19], s72, v5
	v_cndmask_b32_e64 v7, 0, v7, s[18:19]
	v_cmp_eq_u32_e64 s[18:19], 0, v5
	v_add_u32_e32 v6, 0xffffff81, v5
	v_cndmask_b32_e64 v32, v7, v38, s[18:19]
	v_cndmask_b32_e64 v5, v6, v33, s[18:19]
	v_add_u32_e32 v6, 20, v32
	v_or_b32_e32 v8, 0x800000, v2
	v_lshlrev_b64 v[6:7], v6, -1
	v_cndmask_b32_e64 v2, v8, v2, s[18:19]
	v_not_b32_e32 v6, v6
	v_and_b32_e32 v6, v2, v6
	v_lshrrev_b64 v[2:3], v32, v[2:3]
	v_not_b32_e32 v7, v7
	v_add_u32_e32 v8, 19, v32
	v_lshrrev_b32_e32 v33, 23, v2
	v_and_b32_e32 v7, 0, v7
	v_lshlrev_b64 v[8:9], v8, 1
	v_add3_u32 v38, v32, v5, v33
	v_bfe_u32 v5, v2, 20, 1
	v_add_u32_e32 v5, -1, v5
	v_cmp_eq_u64_e64 s[18:19], v[6:7], v[8:9]
	v_cndmask_b32_e64 v5, 0, v5, s[18:19]
	v_add_u32_e32 v5, v5, v2
	v_and_b32_e32 v5, 0xfffff, v5
	v_add_co_u32_e64 v2, s[18:19], v5, v2
	v_add_u32_e32 v48, 6, v38
	v_addc_co_u32_e64 v3, s[18:19], 0, v3, s[18:19]
	v_cmp_ne_u32_e64 s[18:19], 0, v48
                                        ; implicit-def: $vgpr5
	s_and_saveexec_b64 s[20:21], s[18:19]
	s_xor_b64 s[20:21], exec, s[20:21]
; %bb.3004:                             ;   in Loop: Header=BB6_2700 Depth=2
	v_cmp_lt_u64_e64 s[18:19], s[44:45], v[2:3]
	v_add_u32_e32 v5, 7, v38
	v_cndmask_b32_e64 v6, 0, 1, s[18:19]
	v_cndmask_b32_e64 v5, v48, v5, s[18:19]
	v_lshrrev_b64 v[2:3], v6, v[2:3]
; %bb.3005:                             ;   in Loop: Header=BB6_2700 Depth=2
	s_andn2_saveexec_b64 s[18:19], s[20:21]
; %bb.3006:                             ;   in Loop: Header=BB6_2700 Depth=2
	v_bfe_u32 v5, v2, 23, 1
; %bb.3007:                             ;   in Loop: Header=BB6_2700 Depth=2
	s_or_b64 exec, exec, s[18:19]
	v_lshrrev_b64 v[2:3], 20, v[2:3]
	v_cmp_gt_i32_e64 s[18:19], 16, v5
	v_cndmask_b32_e64 v3, 0, v3, s[18:19]
	v_cndmask_b32_e64 v2, 7, v2, s[18:19]
	v_cmp_eq_u64_e64 s[20:21], 0, v[2:3]
	v_min_i32_e32 v3, 15, v5
	v_cmp_eq_u32_e64 s[18:19], 0, v5
	v_lshlrev_b32_e32 v3, 3, v3
	v_and_or_b32 v2, v2, 7, v3
	s_and_b64 s[18:19], s[18:19], s[20:21]
	v_cndmask_b32_e64 v2, v2, 0, s[18:19]
	v_or_b32_e32 v5, v2, v10
	v_mov_b32_e32 v33, 0xffffff82
	v_mov_b32_e32 v38, 0x78
.LBB6_3008:                             ;   in Loop: Header=BB6_2700 Depth=2
	s_or_b64 exec, exec, s[60:61]
.LBB6_3009:                             ;   in Loop: Header=BB6_2700 Depth=2
	s_or_b64 exec, exec, s[58:59]
                                        ; implicit-def: $vgpr48
                                        ; implicit-def: $vgpr2_vgpr3
.LBB6_3010:                             ;   in Loop: Header=BB6_2700 Depth=2
	s_andn2_saveexec_b64 s[20:21], s[56:57]
; %bb.3011:                             ;   in Loop: Header=BB6_2700 Depth=2
	v_or_b32_sdwa v6, v48, s71 dst_sel:DWORD dst_unused:UNUSED_PAD src0_sel:BYTE_3 src1_sel:DWORD
	v_cmp_eq_u64_e64 s[18:19], 0, v[2:3]
	v_cndmask_b32_e64 v5, v6, v5, s[18:19]
; %bb.3012:                             ;   in Loop: Header=BB6_2700 Depth=2
	s_or_b64 exec, exec, s[20:21]
	v_lshrrev_b16_e32 v2, 8, v52
	v_cmp_ne_u16_e64 s[18:19], 0, v2
	v_mov_b32_e32 v3, 0
	v_mov_b32_e32 v48, 0
	s_and_saveexec_b64 s[20:21], s[18:19]
	s_cbranch_execz .LBB6_3018
; %bb.3013:                             ;   in Loop: Header=BB6_2700 Depth=2
	v_cmp_ne_u16_e64 s[18:19], s69, v2
	v_bfrev_b32_e32 v48, 1
	s_and_saveexec_b64 s[56:57], s[18:19]
	s_cbranch_execz .LBB6_3017
; %bb.3014:                             ;   in Loop: Header=BB6_2700 Depth=2
	v_and_b32_e32 v10, 0x7f, v2
	v_cmp_ne_u32_e64 s[18:19], s71, v10
	v_mov_b32_e32 v48, 0x7f800001
	s_and_saveexec_b64 s[58:59], s[18:19]
	s_cbranch_execz .LBB6_3016
; %bb.3015:                             ;   in Loop: Header=BB6_2700 Depth=2
	v_and_b32_e32 v8, 7, v2
	v_ffbh_u32_e32 v6, v8
	v_min_u32_e32 v32, 32, v6
	v_subrev_u32_e32 v6, 28, v32
	v_lshlrev_b64 v[6:7], v6, v[2:3]
	v_lshrrev_b32_e32 v9, 3, v10
	v_sub_u32_e32 v2, 29, v32
	v_and_b32_e32 v6, 7, v6
	v_cmp_gt_u32_e64 s[18:19], 8, v10
	v_cndmask_b32_e64 v2, v9, v2, s[18:19]
	v_cndmask_b32_e64 v6, v8, v6, s[18:19]
	v_lshlrev_b32_e32 v7, 16, v52
	v_lshlrev_b32_e32 v6, 20, v6
	v_and_b32_e32 v7, 0x80000000, v7
	v_lshl_add_u32 v2, v2, 23, v29
	v_or3_b32 v48, v7, v2, v6
.LBB6_3016:                             ;   in Loop: Header=BB6_2700 Depth=2
	s_or_b64 exec, exec, s[58:59]
.LBB6_3017:                             ;   in Loop: Header=BB6_2700 Depth=2
	s_or_b64 exec, exec, s[56:57]
.LBB6_3018:                             ;   in Loop: Header=BB6_2700 Depth=2
	s_or_b64 exec, exec, s[20:21]
	v_mov_b32_e32 v2, v13
	v_lshrrev_b16_e32 v10, 8, v2
	v_cmp_ne_u16_e64 s[18:19], 0, v10
	s_and_saveexec_b64 s[20:21], s[18:19]
	s_cbranch_execz .LBB6_3024
; %bb.3019:                             ;   in Loop: Header=BB6_2700 Depth=2
	v_cmp_ne_u16_e64 s[18:19], s69, v10
	v_bfrev_b32_e32 v3, 1
	s_and_saveexec_b64 s[56:57], s[18:19]
	s_cbranch_execz .LBB6_3023
; %bb.3020:                             ;   in Loop: Header=BB6_2700 Depth=2
	v_and_b32_e32 v38, 0x7f, v10
	v_cmp_ne_u32_e64 s[18:19], s71, v38
	v_mov_b32_e32 v3, 0x7f800001
	s_and_saveexec_b64 s[58:59], s[18:19]
	s_cbranch_execz .LBB6_3022
; %bb.3021:                             ;   in Loop: Header=BB6_2700 Depth=2
	v_and_b32_e32 v3, 7, v10
	v_ffbh_u32_e32 v6, v3
	v_min_u32_e32 v9, 32, v6
	v_subrev_u32_e32 v6, 28, v9
	v_lshlrev_b64 v[6:7], v6, v[10:11]
	v_lshrrev_b32_e32 v8, 3, v38
	v_sub_u32_e32 v7, 29, v9
	v_and_b32_e32 v6, 7, v6
	v_cmp_gt_u32_e64 s[18:19], 8, v38
	v_cndmask_b32_e64 v7, v8, v7, s[18:19]
	v_cndmask_b32_e64 v3, v3, v6, s[18:19]
	v_lshlrev_b32_e32 v2, 16, v2
	v_lshlrev_b32_e32 v3, 20, v3
	v_and_b32_e32 v2, 0x80000000, v2
	v_lshl_add_u32 v6, v7, 23, v29
	v_or3_b32 v3, v2, v6, v3
.LBB6_3022:                             ;   in Loop: Header=BB6_2700 Depth=2
	s_or_b64 exec, exec, s[58:59]
	v_mov_b32_e32 v38, 0x78
.LBB6_3023:                             ;   in Loop: Header=BB6_2700 Depth=2
	s_or_b64 exec, exec, s[56:57]
.LBB6_3024:                             ;   in Loop: Header=BB6_2700 Depth=2
	s_or_b64 exec, exec, s[20:21]
	v_add_f32_e32 v2, v48, v3
	v_and_b32_sdwa v48, v2, s69 dst_sel:DWORD dst_unused:UNUSED_PAD src0_sel:BYTE_3 src1_sel:DWORD
	v_and_b32_e32 v6, 0x7f800000, v2
	v_mov_b32_e32 v7, v53
	v_and_b32_e32 v52, 0x7fffff, v2
	v_or_b32_e32 v10, 0x7e, v48
	v_cmp_ne_u64_e64 s[18:19], s[38:39], v[6:7]
	s_and_saveexec_b64 s[20:21], s[18:19]
	s_xor_b64 s[56:57], exec, s[20:21]
	s_cbranch_execz .LBB6_3034
; %bb.3025:                             ;   in Loop: Header=BB6_2700 Depth=2
	v_and_b32_e32 v6, 0x7fffffff, v2
	v_mov_b32_e32 v7, v53
	v_cmp_gt_u64_e64 s[18:19], s[40:41], v[6:7]
	s_and_saveexec_b64 s[58:59], s[18:19]
	s_cbranch_execz .LBB6_3033
; %bb.3026:                             ;   in Loop: Header=BB6_2700 Depth=2
	v_cmp_ne_u32_e64 s[18:19], 0, v2
	v_mov_b32_e32 v10, 0
	s_and_saveexec_b64 s[60:61], s[18:19]
	s_cbranch_execz .LBB6_3032
; %bb.3027:                             ;   in Loop: Header=BB6_2700 Depth=2
	v_bfe_u32 v2, v2, 23, 8
	v_sub_u32_e32 v6, 0x79, v2
	v_cmp_gt_u32_e64 s[18:19], s72, v2
	v_cndmask_b32_e64 v6, 0, v6, s[18:19]
	v_cmp_eq_u32_e64 s[18:19], 0, v2
	v_or_b32_e32 v7, 0x800000, v52
	v_cndmask_b32_e64 v32, v6, v38, s[18:19]
	v_add_u32_e32 v3, 0xffffff81, v2
	v_cndmask_b32_e64 v52, v7, v52, s[18:19]
	v_add_u32_e32 v2, 20, v32
	v_cndmask_b32_e64 v10, v3, v33, s[18:19]
	v_lshlrev_b64 v[2:3], v2, -1
	v_lshrrev_b64 v[8:9], v32, v[52:53]
	v_not_b32_e32 v3, v3
	v_not_b32_e32 v2, v2
	v_add_u32_e32 v6, 19, v32
	v_lshrrev_b32_e32 v33, 23, v8
	v_and_b32_e32 v3, 0, v3
	v_and_b32_e32 v2, v52, v2
	v_lshlrev_b64 v[6:7], v6, 1
	v_add3_u32 v38, v32, v10, v33
	v_bfe_u32 v10, v8, 20, 1
	v_add_u32_e32 v10, -1, v10
	v_cmp_eq_u64_e64 s[18:19], v[2:3], v[6:7]
	v_cndmask_b32_e64 v2, 0, v10, s[18:19]
	v_add_u32_e32 v2, v2, v8
	v_and_b32_e32 v2, 0xfffff, v2
	v_add_co_u32_e64 v2, s[18:19], v2, v8
	v_add_u32_e32 v49, 6, v38
	v_addc_co_u32_e64 v3, s[18:19], 0, v9, s[18:19]
	v_cmp_ne_u32_e64 s[18:19], 0, v49
                                        ; implicit-def: $vgpr10
	s_and_saveexec_b64 s[20:21], s[18:19]
	s_xor_b64 s[20:21], exec, s[20:21]
; %bb.3028:                             ;   in Loop: Header=BB6_2700 Depth=2
	v_add_u32_e32 v6, 7, v38
	v_cmp_lt_u64_e64 s[18:19], s[44:45], v[2:3]
	v_cndmask_b32_e64 v10, v49, v6, s[18:19]
	v_cndmask_b32_e64 v6, 0, 1, s[18:19]
	v_lshrrev_b64 v[2:3], v6, v[2:3]
; %bb.3029:                             ;   in Loop: Header=BB6_2700 Depth=2
	s_andn2_saveexec_b64 s[18:19], s[20:21]
; %bb.3030:                             ;   in Loop: Header=BB6_2700 Depth=2
	v_bfe_u32 v10, v2, 23, 1
; %bb.3031:                             ;   in Loop: Header=BB6_2700 Depth=2
	s_or_b64 exec, exec, s[18:19]
	v_lshrrev_b64 v[2:3], 20, v[2:3]
	v_cmp_gt_i32_e64 s[18:19], 16, v10
	v_cndmask_b32_e64 v3, 0, v3, s[18:19]
	v_cndmask_b32_e64 v2, 7, v2, s[18:19]
	v_cmp_eq_u64_e64 s[20:21], 0, v[2:3]
	v_min_i32_e32 v3, 15, v10
	v_cmp_eq_u32_e64 s[18:19], 0, v10
	v_lshlrev_b32_e32 v3, 3, v3
	v_and_or_b32 v2, v2, 7, v3
	s_and_b64 s[18:19], s[18:19], s[20:21]
	v_cndmask_b32_e64 v2, v2, 0, s[18:19]
	v_or_b32_e32 v10, v2, v48
	v_mov_b32_e32 v33, 0xffffff82
	v_mov_b32_e32 v38, 0x78
.LBB6_3032:                             ;   in Loop: Header=BB6_2700 Depth=2
	s_or_b64 exec, exec, s[60:61]
.LBB6_3033:                             ;   in Loop: Header=BB6_2700 Depth=2
	s_or_b64 exec, exec, s[58:59]
                                        ; implicit-def: $vgpr2
.LBB6_3034:                             ;   in Loop: Header=BB6_2700 Depth=2
	s_andn2_saveexec_b64 s[20:21], s[56:57]
; %bb.3035:                             ;   in Loop: Header=BB6_2700 Depth=2
	v_or_b32_sdwa v2, v2, s71 dst_sel:DWORD dst_unused:UNUSED_PAD src0_sel:BYTE_3 src1_sel:DWORD
	v_cmp_eq_u64_e64 s[18:19], 0, v[52:53]
	v_cndmask_b32_e64 v10, v2, v10, s[18:19]
; %bb.3036:                             ;   in Loop: Header=BB6_2700 Depth=2
	s_or_b64 exec, exec, s[20:21]
	v_lshrrev_b32_e32 v2, 16, v17
	v_cmp_ne_u16_sdwa s[18:19], v2, v53 src0_sel:BYTE_0 src1_sel:DWORD
	v_mov_b32_e32 v3, 0
	v_mov_b32_e32 v48, 0
	s_and_saveexec_b64 s[20:21], s[18:19]
	s_cbranch_execz .LBB6_3042
; %bb.3037:                             ;   in Loop: Header=BB6_2700 Depth=2
	v_cmp_ne_u16_sdwa s[18:19], v2, s69 src0_sel:BYTE_0 src1_sel:DWORD
	v_bfrev_b32_e32 v48, 1
	s_and_saveexec_b64 s[56:57], s[18:19]
	s_cbranch_execz .LBB6_3041
; %bb.3038:                             ;   in Loop: Header=BB6_2700 Depth=2
	v_bfe_u32 v38, v17, 16, 7
	v_cmp_ne_u32_e64 s[18:19], s71, v38
	v_mov_b32_e32 v48, 0x7f800001
	s_and_saveexec_b64 s[58:59], s[18:19]
	s_cbranch_execz .LBB6_3040
; %bb.3039:                             ;   in Loop: Header=BB6_2700 Depth=2
	v_and_b32_e32 v8, 7, v2
	v_ffbh_u32_e32 v6, v8
	v_min_u32_e32 v32, 32, v6
	v_subrev_u32_e32 v6, 28, v32
	v_lshlrev_b64 v[6:7], v6, v[2:3]
	v_lshrrev_b32_e32 v9, 3, v38
	v_sub_u32_e32 v7, 29, v32
	v_and_b32_e32 v6, 7, v6
	v_cmp_gt_u32_e64 s[18:19], 8, v38
	v_cndmask_b32_e64 v7, v9, v7, s[18:19]
	v_cndmask_b32_e64 v6, v8, v6, s[18:19]
	v_lshlrev_b32_e32 v2, 24, v2
	v_lshlrev_b32_e32 v6, 20, v6
	v_and_b32_e32 v2, 0x80000000, v2
	v_lshl_add_u32 v7, v7, 23, v29
	v_or3_b32 v48, v2, v7, v6
.LBB6_3040:                             ;   in Loop: Header=BB6_2700 Depth=2
	s_or_b64 exec, exec, s[58:59]
	v_mov_b32_e32 v38, 0x78
.LBB6_3041:                             ;   in Loop: Header=BB6_2700 Depth=2
	s_or_b64 exec, exec, s[56:57]
.LBB6_3042:                             ;   in Loop: Header=BB6_2700 Depth=2
	s_or_b64 exec, exec, s[20:21]
	v_lshrrev_b32_e32 v2, 16, v13
	v_cmp_ne_u16_sdwa s[18:19], v2, v53 src0_sel:BYTE_0 src1_sel:DWORD
	s_and_saveexec_b64 s[20:21], s[18:19]
	s_cbranch_execz .LBB6_3048
; %bb.3043:                             ;   in Loop: Header=BB6_2700 Depth=2
	v_cmp_ne_u16_sdwa s[18:19], v2, s69 src0_sel:BYTE_0 src1_sel:DWORD
	v_bfrev_b32_e32 v3, 1
	s_and_saveexec_b64 s[56:57], s[18:19]
	s_cbranch_execz .LBB6_3047
; %bb.3044:                             ;   in Loop: Header=BB6_2700 Depth=2
	v_bfe_u32 v38, v13, 16, 7
	v_cmp_ne_u32_e64 s[18:19], s71, v38
	v_mov_b32_e32 v3, 0x7f800001
	s_and_saveexec_b64 s[58:59], s[18:19]
	s_cbranch_execz .LBB6_3046
; %bb.3045:                             ;   in Loop: Header=BB6_2700 Depth=2
	v_and_b32_e32 v6, 7, v2
	v_ffbh_u32_e32 v3, v6
	v_min_u32_e32 v8, 32, v3
	v_subrev_u32_e32 v3, 28, v8
	v_lshlrev_b64 v[2:3], v3, v[2:3]
	v_lshrrev_b32_e32 v7, 3, v38
	v_sub_u32_e32 v3, 29, v8
	v_and_b32_e32 v2, 7, v2
	v_cmp_gt_u32_e64 s[18:19], 8, v38
	v_cndmask_b32_e64 v3, v7, v3, s[18:19]
	v_cndmask_b32_e64 v2, v6, v2, s[18:19]
	v_lshlrev_b32_e32 v6, 8, v13
	v_lshlrev_b32_e32 v2, 20, v2
	v_and_b32_e32 v6, 0x80000000, v6
	v_lshl_add_u32 v3, v3, 23, v29
	v_or3_b32 v3, v6, v3, v2
.LBB6_3046:                             ;   in Loop: Header=BB6_2700 Depth=2
	s_or_b64 exec, exec, s[58:59]
	v_mov_b32_e32 v38, 0x78
.LBB6_3047:                             ;   in Loop: Header=BB6_2700 Depth=2
	s_or_b64 exec, exec, s[56:57]
.LBB6_3048:                             ;   in Loop: Header=BB6_2700 Depth=2
	s_or_b64 exec, exec, s[20:21]
	v_add_f32_e32 v2, v48, v3
	v_and_b32_sdwa v49, v2, s69 dst_sel:DWORD dst_unused:UNUSED_PAD src0_sel:BYTE_3 src1_sel:DWORD
	v_and_b32_e32 v6, 0x7f800000, v2
	v_mov_b32_e32 v7, v53
	v_and_b32_e32 v52, 0x7fffff, v2
	v_or_b32_e32 v48, 0x7e, v49
	v_cmp_ne_u64_e64 s[18:19], s[38:39], v[6:7]
	s_and_saveexec_b64 s[20:21], s[18:19]
	s_xor_b64 s[56:57], exec, s[20:21]
	s_cbranch_execz .LBB6_3058
; %bb.3049:                             ;   in Loop: Header=BB6_2700 Depth=2
	v_and_b32_e32 v6, 0x7fffffff, v2
	v_mov_b32_e32 v7, v53
	v_cmp_gt_u64_e64 s[18:19], s[40:41], v[6:7]
	s_and_saveexec_b64 s[58:59], s[18:19]
	s_cbranch_execz .LBB6_3057
; %bb.3050:                             ;   in Loop: Header=BB6_2700 Depth=2
	v_cmp_ne_u32_e64 s[18:19], 0, v2
	v_mov_b32_e32 v48, 0
	s_and_saveexec_b64 s[60:61], s[18:19]
	s_cbranch_execz .LBB6_3056
; %bb.3051:                             ;   in Loop: Header=BB6_2700 Depth=2
	v_bfe_u32 v2, v2, 23, 8
	v_sub_u32_e32 v6, 0x79, v2
	v_cmp_gt_u32_e64 s[18:19], s72, v2
	v_add_u32_e32 v3, 0xffffff81, v2
	v_cndmask_b32_e64 v6, 0, v6, s[18:19]
	v_cmp_eq_u32_e64 s[18:19], 0, v2
	v_or_b32_e32 v7, 0x800000, v52
	v_cndmask_b32_e64 v32, v3, v33, s[18:19]
	v_cndmask_b32_e64 v33, v6, v38, s[18:19]
	;; [unrolled: 1-line block ×3, first 2 shown]
	v_add_u32_e32 v2, 20, v33
	v_lshlrev_b64 v[2:3], v2, -1
	v_lshrrev_b64 v[8:9], v33, v[52:53]
	v_not_b32_e32 v3, v3
	v_not_b32_e32 v2, v2
	v_add_u32_e32 v6, 19, v33
	v_lshrrev_b32_e32 v38, 23, v8
	v_and_b32_e32 v3, 0, v3
	v_and_b32_e32 v2, v52, v2
	v_lshlrev_b64 v[6:7], v6, 1
	v_add3_u32 v38, v33, v32, v38
	v_bfe_u32 v32, v8, 20, 1
	v_add_u32_e32 v32, -1, v32
	v_cmp_eq_u64_e64 s[18:19], v[2:3], v[6:7]
	v_cndmask_b32_e64 v2, 0, v32, s[18:19]
	v_add_u32_e32 v2, v2, v8
	v_and_b32_e32 v2, 0xfffff, v2
	v_add_co_u32_e64 v2, s[18:19], v2, v8
	v_add_u32_e32 v51, 6, v38
	v_addc_co_u32_e64 v3, s[18:19], 0, v9, s[18:19]
	v_cmp_ne_u32_e64 s[18:19], 0, v51
                                        ; implicit-def: $vgpr48
	s_and_saveexec_b64 s[20:21], s[18:19]
	s_xor_b64 s[20:21], exec, s[20:21]
; %bb.3052:                             ;   in Loop: Header=BB6_2700 Depth=2
	v_add_u32_e32 v6, 7, v38
	v_cmp_lt_u64_e64 s[18:19], s[44:45], v[2:3]
	v_cndmask_b32_e64 v48, v51, v6, s[18:19]
	v_cndmask_b32_e64 v6, 0, 1, s[18:19]
	v_lshrrev_b64 v[2:3], v6, v[2:3]
; %bb.3053:                             ;   in Loop: Header=BB6_2700 Depth=2
	s_andn2_saveexec_b64 s[18:19], s[20:21]
; %bb.3054:                             ;   in Loop: Header=BB6_2700 Depth=2
	v_bfe_u32 v48, v2, 23, 1
; %bb.3055:                             ;   in Loop: Header=BB6_2700 Depth=2
	s_or_b64 exec, exec, s[18:19]
	v_lshrrev_b64 v[2:3], 20, v[2:3]
	v_cmp_gt_i32_e64 s[18:19], 16, v48
	v_cndmask_b32_e64 v3, 0, v3, s[18:19]
	v_cndmask_b32_e64 v2, 7, v2, s[18:19]
	v_cmp_eq_u64_e64 s[20:21], 0, v[2:3]
	v_min_i32_e32 v3, 15, v48
	v_lshlrev_b32_e32 v3, 3, v3
	v_cmp_eq_u32_e64 s[18:19], 0, v48
	v_and_b32_e32 v3, 0xf8, v3
	v_and_or_b32 v2, v2, 7, v3
	s_and_b64 s[18:19], s[18:19], s[20:21]
	v_cndmask_b32_e64 v2, v2, 0, s[18:19]
	v_or_b32_e32 v48, v2, v49
	v_mov_b32_e32 v33, 0xffffff82
	v_mov_b32_e32 v38, 0x78
.LBB6_3056:                             ;   in Loop: Header=BB6_2700 Depth=2
	s_or_b64 exec, exec, s[60:61]
.LBB6_3057:                             ;   in Loop: Header=BB6_2700 Depth=2
	s_or_b64 exec, exec, s[58:59]
                                        ; implicit-def: $vgpr2
.LBB6_3058:                             ;   in Loop: Header=BB6_2700 Depth=2
	s_andn2_saveexec_b64 s[20:21], s[56:57]
; %bb.3059:                             ;   in Loop: Header=BB6_2700 Depth=2
	v_or_b32_sdwa v2, v2, s71 dst_sel:DWORD dst_unused:UNUSED_PAD src0_sel:BYTE_3 src1_sel:DWORD
	v_cmp_eq_u64_e64 s[18:19], 0, v[52:53]
	v_cndmask_b32_e64 v48, v2, v48, s[18:19]
; %bb.3060:                             ;   in Loop: Header=BB6_2700 Depth=2
	s_or_b64 exec, exec, s[20:21]
	v_cmp_lt_u64_e64 s[18:19], s[42:43], v[16:17]
	v_mov_b32_e32 v3, 0
	v_mov_b32_e32 v16, 0
	s_and_saveexec_b64 s[20:21], s[18:19]
	s_cbranch_execz .LBB6_3066
; %bb.3061:                             ;   in Loop: Header=BB6_2700 Depth=2
	v_lshrrev_b32_e32 v2, 24, v17
	v_cmp_ne_u32_e64 s[18:19], s69, v2
	v_bfrev_b32_e32 v16, 1
	s_and_saveexec_b64 s[56:57], s[18:19]
	s_cbranch_execz .LBB6_3065
; %bb.3062:                             ;   in Loop: Header=BB6_2700 Depth=2
	v_bfe_u32 v17, v17, 24, 7
	v_cmp_ne_u32_e64 s[18:19], s71, v17
	v_mov_b32_e32 v16, 0x7f800001
	s_and_saveexec_b64 s[58:59], s[18:19]
	s_cbranch_execz .LBB6_3064
; %bb.3063:                             ;   in Loop: Header=BB6_2700 Depth=2
	v_and_b32_e32 v8, 7, v2
	v_ffbh_u32_e32 v6, v8
	v_min_u32_e32 v16, 32, v6
	v_subrev_u32_e32 v6, 28, v16
	v_lshlrev_b64 v[6:7], v6, v[2:3]
	v_lshrrev_b32_e32 v9, 3, v17
	v_sub_u32_e32 v7, 29, v16
	v_and_b32_e32 v6, 7, v6
	v_cmp_gt_u32_e64 s[18:19], 8, v17
	v_cndmask_b32_e64 v7, v9, v7, s[18:19]
	v_cndmask_b32_e64 v6, v8, v6, s[18:19]
	v_lshlrev_b32_e32 v2, 24, v2
	v_lshlrev_b32_e32 v6, 20, v6
	v_and_b32_e32 v2, 0x80000000, v2
	v_lshl_add_u32 v7, v7, 23, v29
	v_or3_b32 v16, v2, v7, v6
.LBB6_3064:                             ;   in Loop: Header=BB6_2700 Depth=2
	s_or_b64 exec, exec, s[58:59]
.LBB6_3065:                             ;   in Loop: Header=BB6_2700 Depth=2
	s_or_b64 exec, exec, s[56:57]
.LBB6_3066:                             ;   in Loop: Header=BB6_2700 Depth=2
	s_or_b64 exec, exec, s[20:21]
	v_cmp_lt_u64_e64 s[18:19], s[42:43], v[12:13]
	s_and_saveexec_b64 s[20:21], s[18:19]
	s_cbranch_execz .LBB6_3072
; %bb.3067:                             ;   in Loop: Header=BB6_2700 Depth=2
	v_lshrrev_b32_e32 v2, 24, v13
	v_cmp_ne_u32_e64 s[18:19], s69, v2
	v_bfrev_b32_e32 v3, 1
	s_and_saveexec_b64 s[56:57], s[18:19]
	s_cbranch_execz .LBB6_3071
; %bb.3068:                             ;   in Loop: Header=BB6_2700 Depth=2
	v_bfe_u32 v12, v13, 24, 7
	v_cmp_ne_u32_e64 s[18:19], s71, v12
	v_mov_b32_e32 v3, 0x7f800001
	s_and_saveexec_b64 s[58:59], s[18:19]
	s_cbranch_execz .LBB6_3070
; %bb.3069:                             ;   in Loop: Header=BB6_2700 Depth=2
	v_and_b32_e32 v3, 7, v2
	v_ffbh_u32_e32 v6, v3
	v_min_u32_e32 v9, 32, v6
	v_subrev_u32_e32 v6, 28, v9
	v_lshlrev_b64 v[6:7], v6, v[2:3]
	v_lshrrev_b32_e32 v8, 3, v12
	v_sub_u32_e32 v7, 29, v9
	v_and_b32_e32 v6, 7, v6
	v_cmp_gt_u32_e64 s[18:19], 8, v12
	v_cndmask_b32_e64 v7, v8, v7, s[18:19]
	v_cndmask_b32_e64 v3, v3, v6, s[18:19]
	v_lshlrev_b32_e32 v2, 24, v2
	v_lshlrev_b32_e32 v3, 20, v3
	v_and_b32_e32 v2, 0x80000000, v2
	v_lshl_add_u32 v6, v7, 23, v29
	v_or3_b32 v3, v2, v6, v3
.LBB6_3070:                             ;   in Loop: Header=BB6_2700 Depth=2
	s_or_b64 exec, exec, s[58:59]
.LBB6_3071:                             ;   in Loop: Header=BB6_2700 Depth=2
	s_or_b64 exec, exec, s[56:57]
.LBB6_3072:                             ;   in Loop: Header=BB6_2700 Depth=2
	s_or_b64 exec, exec, s[20:21]
	v_add_f32_e32 v3, v16, v3
	v_and_b32_sdwa v12, v3, s69 dst_sel:DWORD dst_unused:UNUSED_PAD src0_sel:BYTE_3 src1_sel:DWORD
	v_and_b32_e32 v6, 0x7f800000, v3
	v_mov_b32_e32 v7, v53
	v_and_b32_e32 v52, 0x7fffff, v3
	v_or_b32_e32 v2, 0x7e, v12
	v_cmp_ne_u64_e64 s[18:19], s[38:39], v[6:7]
	s_and_saveexec_b64 s[20:21], s[18:19]
	s_xor_b64 s[56:57], exec, s[20:21]
	s_cbranch_execz .LBB6_3082
; %bb.3073:                             ;   in Loop: Header=BB6_2700 Depth=2
	v_and_b32_e32 v6, 0x7fffffff, v3
	v_mov_b32_e32 v7, v53
	v_cmp_gt_u64_e64 s[18:19], s[40:41], v[6:7]
	s_and_saveexec_b64 s[58:59], s[18:19]
	s_cbranch_execz .LBB6_3081
; %bb.3074:                             ;   in Loop: Header=BB6_2700 Depth=2
	v_cmp_ne_u32_e64 s[18:19], 0, v3
	v_mov_b32_e32 v2, 0
	s_and_saveexec_b64 s[60:61], s[18:19]
	s_cbranch_execz .LBB6_3080
; %bb.3075:                             ;   in Loop: Header=BB6_2700 Depth=2
	v_bfe_u32 v2, v3, 23, 8
	v_sub_u32_e32 v6, 0x79, v2
	v_cmp_gt_u32_e64 s[18:19], s72, v2
	v_cndmask_b32_e64 v6, 0, v6, s[18:19]
	v_cmp_eq_u32_e64 s[18:19], 0, v2
	v_or_b32_e32 v7, 0x800000, v52
	v_cndmask_b32_e64 v16, v6, v38, s[18:19]
	v_add_u32_e32 v3, 0xffffff81, v2
	v_cndmask_b32_e64 v52, v7, v52, s[18:19]
	v_add_u32_e32 v2, 20, v16
	v_cndmask_b32_e64 v13, v3, v33, s[18:19]
	v_lshlrev_b64 v[2:3], v2, -1
	v_lshrrev_b64 v[8:9], v16, v[52:53]
	v_not_b32_e32 v3, v3
	v_not_b32_e32 v2, v2
	v_add_u32_e32 v6, 19, v16
	v_lshrrev_b32_e32 v17, 23, v8
	v_and_b32_e32 v3, 0, v3
	v_and_b32_e32 v2, v52, v2
	v_lshlrev_b64 v[6:7], v6, 1
	v_add3_u32 v17, v16, v13, v17
	v_bfe_u32 v13, v8, 20, 1
	v_add_u32_e32 v13, -1, v13
	v_cmp_eq_u64_e64 s[18:19], v[2:3], v[6:7]
	v_cndmask_b32_e64 v2, 0, v13, s[18:19]
	v_add_u32_e32 v2, v2, v8
	v_and_b32_e32 v2, 0xfffff, v2
	v_add_co_u32_e64 v2, s[18:19], v2, v8
	v_add_u32_e32 v16, 6, v17
	v_addc_co_u32_e64 v3, s[18:19], 0, v9, s[18:19]
	v_cmp_ne_u32_e64 s[18:19], 0, v16
                                        ; implicit-def: $vgpr13
	s_and_saveexec_b64 s[20:21], s[18:19]
	s_xor_b64 s[20:21], exec, s[20:21]
; %bb.3076:                             ;   in Loop: Header=BB6_2700 Depth=2
	v_add_u32_e32 v6, 7, v17
	v_cmp_lt_u64_e64 s[18:19], s[44:45], v[2:3]
	v_cndmask_b32_e64 v13, v16, v6, s[18:19]
	v_cndmask_b32_e64 v6, 0, 1, s[18:19]
	v_lshrrev_b64 v[2:3], v6, v[2:3]
; %bb.3077:                             ;   in Loop: Header=BB6_2700 Depth=2
	s_andn2_saveexec_b64 s[18:19], s[20:21]
; %bb.3078:                             ;   in Loop: Header=BB6_2700 Depth=2
	v_bfe_u32 v13, v2, 23, 1
; %bb.3079:                             ;   in Loop: Header=BB6_2700 Depth=2
	s_or_b64 exec, exec, s[18:19]
	v_lshrrev_b64 v[2:3], 20, v[2:3]
	v_cmp_gt_i32_e64 s[18:19], 16, v13
	v_cndmask_b32_e64 v3, 0, v3, s[18:19]
	v_cndmask_b32_e64 v2, 7, v2, s[18:19]
	v_cmp_eq_u64_e64 s[20:21], 0, v[2:3]
	v_min_i32_e32 v3, 15, v13
	v_lshlrev_b32_e32 v3, 3, v3
	v_cmp_eq_u32_e64 s[18:19], 0, v13
	v_and_b32_e32 v3, 0xf8, v3
	v_and_or_b32 v2, v2, 7, v3
	s_and_b64 s[18:19], s[18:19], s[20:21]
	v_cndmask_b32_e64 v2, v2, 0, s[18:19]
	v_or_b32_e32 v2, v2, v12
.LBB6_3080:                             ;   in Loop: Header=BB6_2700 Depth=2
	s_or_b64 exec, exec, s[60:61]
.LBB6_3081:                             ;   in Loop: Header=BB6_2700 Depth=2
	s_or_b64 exec, exec, s[58:59]
                                        ; implicit-def: $vgpr3
.LBB6_3082:                             ;   in Loop: Header=BB6_2700 Depth=2
	s_andn2_saveexec_b64 s[20:21], s[56:57]
	s_cbranch_execz .LBB6_2699
; %bb.3083:                             ;   in Loop: Header=BB6_2700 Depth=2
	v_or_b32_sdwa v3, v3, s71 dst_sel:DWORD dst_unused:UNUSED_PAD src0_sel:BYTE_3 src1_sel:DWORD
	v_cmp_eq_u64_e64 s[18:19], 0, v[52:53]
	v_cndmask_b32_e64 v2, v3, v2, s[18:19]
	s_branch .LBB6_2699
.LBB6_3084:                             ;   in Loop: Header=BB6_1854 Depth=1
	s_or_b64 exec, exec, s[54:55]
.LBB6_3085:                             ;   in Loop: Header=BB6_1854 Depth=1
	s_or_b64 exec, exec, s[52:53]
	v_and_b32_e32 v3, 15, v56
	v_cndmask_b32_e32 v1, v27, v3, vcc
	v_cmp_ne_u32_e64 s[18:19], 0, v1
	s_mov_b64 s[20:21], 0
	v_mov_b32_e32 v0, 0
                                        ; implicit-def: $vgpr16
                                        ; implicit-def: $vgpr2
	s_and_saveexec_b64 s[52:53], s[18:19]
	s_cbranch_execz .LBB6_3087
; %bb.3086:                             ;   in Loop: Header=BB6_1854 Depth=1
	v_sub_u32_e32 v2, v27, v3
	v_and_b32_e32 v0, 0x3ffffc00, v56
	v_cndmask_b32_e32 v2, 0, v2, vcc
	v_add_u32_e32 v0, v2, v0
	v_cmp_lt_i32_e32 vcc, 0, v26
	v_accvgpr_read_b32 v2, a26
	v_cndmask_b32_e32 v2, 0, v2, vcc
	v_sub_u32_e32 v2, v2, v26
	v_lshl_add_u32 v16, v2, 6, v25
	v_ashrrev_i32_e32 v2, 31, v16
	v_lshrrev_b32_e32 v2, 26, v2
	v_add_u32_e32 v2, v16, v2
	s_mov_b64 s[20:21], exec
	v_ashrrev_i32_e32 v2, 6, v2
.LBB6_3087:                             ;   in Loop: Header=BB6_1854 Depth=1
	s_or_b64 exec, exec, s[52:53]
	s_and_b64 s[18:19], s[20:21], exec
.LBB6_3088:                             ;   in Loop: Header=BB6_1854 Depth=1
	s_or_b64 exec, exec, s[50:51]
	s_and_saveexec_b64 s[20:21], s[18:19]
	s_cbranch_execz .LBB6_3573
.LBB6_3089:                             ;   in Loop: Header=BB6_1854 Depth=1
	v_ashrrev_i32_e32 v3, 31, v1
	v_lshrrev_b32_e32 v3, 22, v3
	v_add_u32_e32 v3, v1, v3
	v_ashrrev_i32_e32 v4, 10, v3
	v_sub_u32_e32 v17, v4, v2
	v_ashrrev_i32_e32 v3, 31, v16
	v_cmp_lt_i32_e32 vcc, 0, v17
	v_lshrrev_b32_e32 v3, 26, v3
	s_and_saveexec_b64 s[50:51], vcc
	s_cbranch_execz .LBB6_3541
; %bb.3090:                             ;   in Loop: Header=BB6_1854 Depth=1
	v_accvgpr_write_b32 a37, v3
	v_add_u32_e32 v3, v16, v3
	v_and_b32_e32 v3, 0xffffffc0, v3
	v_accvgpr_write_b32 a38, v4
	s_trap 2
	v_sub_u32_e32 v6, v16, v3
	v_lshlrev_b32_e32 v7, 10, v2
	ds_read_b128 v[2:5], v0
	v_add3_u32 v8, v0, v6, v7
	ds_read_b64 v[6:7], v0
	v_ashrrev_i32_e32 v9, 31, v8
	v_accvgpr_write_b32 a36, v56
	s_waitcnt lgkmcnt(0)
	v_add_co_u32_e32 v10, vcc, v2, v8
	v_addc_co_u32_e32 v11, vcc, v3, v9, vcc
	v_add_co_u32_e32 v12, vcc, v4, v8
	v_addc_co_u32_e32 v13, vcc, v5, v9, vcc
	s_waitcnt lgkmcnt(0)
	v_add_co_u32_e32 v2, vcc, 0x3c0, v6
	v_addc_co_u32_e32 v3, vcc, 0, v7, vcc
	v_add_co_u32_e32 v14, vcc, v2, v8
	v_accvgpr_write_b32 a35, v47
	v_accvgpr_write_b32 a34, v40
	v_addc_co_u32_e32 v15, vcc, v3, v9, vcc
	s_mov_b64 s[52:53], 0
	s_branch .LBB6_3092
.LBB6_3091:                             ;   in Loop: Header=BB6_3092 Depth=2
	s_or_b64 exec, exec, s[18:19]
	v_add_co_u32_e32 v6, vcc, 0xfffffc40, v14
	v_addc_co_u32_e32 v7, vcc, -1, v15, vcc
	flat_store_byte v[6:7], v20 glc slc
	v_add_co_u32_e32 v6, vcc, 0xfffffc80, v14
	v_addc_co_u32_e32 v7, vcc, -1, v15, vcc
	flat_store_byte v[6:7], v23 glc slc
	v_add_co_u32_e32 v6, vcc, 0xfffffcc0, v14
	v_addc_co_u32_e32 v7, vcc, -1, v15, vcc
	flat_store_byte v[6:7], v26 glc slc
	v_add_co_u32_e32 v6, vcc, 0xfffffd00, v14
	v_addc_co_u32_e32 v7, vcc, -1, v15, vcc
	flat_store_byte v[6:7], v34 glc slc
	v_add_co_u32_e32 v6, vcc, 0xfffffd40, v14
	v_addc_co_u32_e32 v7, vcc, -1, v15, vcc
	flat_store_byte v[6:7], v55 glc slc
	v_add_co_u32_e32 v6, vcc, 0xfffffd80, v14
	v_addc_co_u32_e32 v7, vcc, -1, v15, vcc
	flat_store_byte v[6:7], v30 glc slc
	v_add_co_u32_e32 v6, vcc, 0xfffffdc0, v14
	v_addc_co_u32_e32 v7, vcc, -1, v15, vcc
	flat_store_byte v[6:7], v31 glc slc
	v_add_co_u32_e32 v6, vcc, 0xfffffe00, v14
	v_addc_co_u32_e32 v7, vcc, -1, v15, vcc
	flat_store_byte v[6:7], v56 glc slc
	v_add_co_u32_e32 v6, vcc, 0xfffffe40, v14
	v_addc_co_u32_e32 v7, vcc, -1, v15, vcc
	flat_store_byte v[6:7], v51 glc slc
	v_add_co_u32_e32 v6, vcc, 0xfffffe80, v14
	v_addc_co_u32_e32 v7, vcc, -1, v15, vcc
	flat_store_byte v[6:7], v46 glc slc
	v_add_co_u32_e32 v6, vcc, 0xfffffec0, v14
	v_addc_co_u32_e32 v7, vcc, -1, v15, vcc
	flat_store_byte v[6:7], v44 glc slc
	v_add_co_u32_e32 v6, vcc, 0xffffff00, v14
	v_addc_co_u32_e32 v7, vcc, -1, v15, vcc
	flat_store_byte v[6:7], v18 glc slc
	v_add_co_u32_e32 v6, vcc, 0xffffff40, v14
	v_addc_co_u32_e32 v7, vcc, -1, v15, vcc
	flat_store_byte v[6:7], v4 glc slc
	v_add_co_u32_e32 v6, vcc, 0xffffff80, v14
	v_addc_co_u32_e32 v7, vcc, -1, v15, vcc
	v_add_co_u32_e32 v4, vcc, s67, v14
	flat_store_byte v[6:7], v5 glc slc
	v_addc_co_u32_e32 v5, vcc, -1, v15, vcc
	v_add_co_u32_e32 v10, vcc, v10, v60
	v_addc_co_u32_e32 v11, vcc, v11, v61, vcc
	v_add_co_u32_e32 v12, vcc, v12, v60
	v_accvgpr_read_b32 v2, a26
	v_addc_co_u32_e32 v13, vcc, v13, v61, vcc
	v_sub_u32_e32 v17, v17, v2
	v_cmp_gt_i32_e32 vcc, 1, v17
	flat_store_byte v[4:5], v24 glc slc
	flat_store_byte v[14:15], v3 glc slc
	s_or_b64 s[52:53], vcc, s[52:53]
	v_add_co_u32_e32 v14, vcc, v14, v60
	v_addc_co_u32_e32 v15, vcc, v15, v61, vcc
	s_andn2_b64 exec, exec, s[52:53]
	s_cbranch_execz .LBB6_3540
.LBB6_3092:                             ;   Parent Loop BB6_1854 Depth=1
                                        ; =>  This Inner Loop Header: Depth=2
	flat_load_ubyte v49, v[10:11] glc slc
	flat_load_ubyte v19, v[10:11] offset:64 glc slc
	flat_load_ubyte v34, v[10:11] offset:128 glc slc
	flat_load_ubyte v5, v[10:11] offset:192 glc slc
	flat_load_ubyte v55, v[10:11] offset:256 glc slc
	flat_load_ubyte v18, v[10:11] offset:320 glc slc
	flat_load_ubyte v59, v[10:11] offset:384 glc slc
	flat_load_ubyte v56, v[10:11] offset:448 glc slc
	flat_load_ubyte v58, v[10:11] offset:512 glc slc
	flat_load_ubyte v47, v[10:11] offset:576 glc slc
	flat_load_ubyte v45, v[10:11] offset:640 glc slc
	flat_load_ubyte v41, v[10:11] offset:704 glc slc
	flat_load_ubyte v50, v[10:11] offset:768 glc slc
	flat_load_ubyte v28, v[10:11] offset:832 glc slc
	flat_load_ubyte v25, v[10:11] offset:896 glc slc
	flat_load_ubyte v22, v[10:11] offset:960 glc slc
	flat_load_ubyte v3, v[12:13] glc slc
	flat_load_ubyte v23, v[12:13] offset:64 glc slc
	flat_load_ubyte v26, v[12:13] offset:128 glc slc
	;; [unrolled: 1-line block ×15, first 2 shown]
	v_mov_b32_e32 v20, 0
	v_mov_b32_e32 v48, 0
	s_waitcnt vmcnt(0) lgkmcnt(0)
	v_cmp_ne_u16_e32 vcc, 0, v49
	s_and_saveexec_b64 s[18:19], vcc
	s_cbranch_execz .LBB6_3098
; %bb.3093:                             ;   in Loop: Header=BB6_3092 Depth=2
	v_cmp_ne_u16_e32 vcc, s69, v49
	v_bfrev_b32_e32 v48, 1
	s_and_saveexec_b64 s[54:55], vcc
	s_cbranch_execz .LBB6_3097
; %bb.3094:                             ;   in Loop: Header=BB6_3092 Depth=2
	v_and_b32_e32 v2, 0xffff, v49
	v_and_b32_e32 v38, 0x7f, v2
	v_cmp_ne_u32_e32 vcc, s71, v38
	v_mov_b32_e32 v48, 0x7f800001
	s_and_saveexec_b64 s[56:57], vcc
	s_cbranch_execz .LBB6_3096
; %bb.3095:                             ;   in Loop: Header=BB6_3092 Depth=2
	v_and_b32_e32 v8, 7, v2
	v_ffbh_u32_e32 v6, v8
	v_min_u32_e32 v32, 32, v6
	v_subrev_u32_e32 v6, 28, v32
	v_lshlrev_b64 v[6:7], v6, v[2:3]
	v_lshrrev_b32_e32 v9, 3, v38
	v_sub_u32_e32 v2, 29, v32
	v_and_b32_e32 v6, 7, v6
	v_cmp_gt_u32_e32 vcc, 8, v38
	v_cndmask_b32_e32 v2, v9, v2, vcc
	v_cndmask_b32_e32 v6, v8, v6, vcc
	v_lshlrev_b32_e32 v7, 24, v49
	v_lshlrev_b32_e32 v6, 20, v6
	v_and_b32_e32 v7, 0x80000000, v7
	v_lshl_add_u32 v2, v2, 23, v29
	v_or3_b32 v48, v7, v2, v6
.LBB6_3096:                             ;   in Loop: Header=BB6_3092 Depth=2
	s_or_b64 exec, exec, s[56:57]
	v_mov_b32_e32 v38, 0x78
.LBB6_3097:                             ;   in Loop: Header=BB6_3092 Depth=2
	s_or_b64 exec, exec, s[54:55]
.LBB6_3098:                             ;   in Loop: Header=BB6_3092 Depth=2
	s_or_b64 exec, exec, s[18:19]
	v_and_b32_e32 v2, 0xff, v3
	v_cmp_ne_u16_e32 vcc, 0, v2
	s_and_saveexec_b64 s[18:19], vcc
	s_cbranch_execz .LBB6_3104
; %bb.3099:                             ;   in Loop: Header=BB6_3092 Depth=2
	v_cmp_ne_u16_e32 vcc, s69, v2
	v_bfrev_b32_e32 v20, 1
	s_and_saveexec_b64 s[54:55], vcc
	s_cbranch_execz .LBB6_3103
; %bb.3100:                             ;   in Loop: Header=BB6_3092 Depth=2
	v_and_b32_e32 v38, 0x7f, v3
	v_cmp_ne_u32_e32 vcc, s71, v38
	v_mov_b32_e32 v20, 0x7f800001
	s_and_saveexec_b64 s[56:57], vcc
	s_cbranch_execz .LBB6_3102
; %bb.3101:                             ;   in Loop: Header=BB6_3092 Depth=2
	v_and_b32_e32 v8, 7, v2
	v_ffbh_u32_e32 v6, v8
	v_min_u32_e32 v20, 32, v6
	v_subrev_u32_e32 v6, 28, v20
	v_lshlrev_b64 v[6:7], v6, v[2:3]
	v_lshrrev_b32_e32 v9, 3, v38
	v_sub_u32_e32 v2, 29, v20
	v_and_b32_e32 v6, 7, v6
	v_cmp_gt_u32_e32 vcc, 8, v38
	v_cndmask_b32_e32 v2, v9, v2, vcc
	v_cndmask_b32_e32 v6, v8, v6, vcc
	v_lshlrev_b32_e32 v3, 24, v3
	v_lshlrev_b32_e32 v6, 20, v6
	v_and_b32_e32 v3, 0x80000000, v3
	v_lshl_add_u32 v2, v2, 23, v29
	v_or3_b32 v20, v3, v2, v6
.LBB6_3102:                             ;   in Loop: Header=BB6_3092 Depth=2
	s_or_b64 exec, exec, s[56:57]
	v_mov_b32_e32 v38, 0x78
.LBB6_3103:                             ;   in Loop: Header=BB6_3092 Depth=2
	s_or_b64 exec, exec, s[54:55]
.LBB6_3104:                             ;   in Loop: Header=BB6_3092 Depth=2
	s_or_b64 exec, exec, s[18:19]
	v_add_f32_e32 v2, v48, v20
	v_and_b32_sdwa v48, v2, s69 dst_sel:DWORD dst_unused:UNUSED_PAD src0_sel:BYTE_3 src1_sel:DWORD
	v_and_b32_e32 v6, 0x7f800000, v2
	v_mov_b32_e32 v7, v53
	v_and_b32_e32 v52, 0x7fffff, v2
	v_or_b32_e32 v20, 0x7e, v48
	v_cmp_ne_u64_e32 vcc, s[38:39], v[6:7]
	s_and_saveexec_b64 s[18:19], vcc
	s_xor_b64 s[54:55], exec, s[18:19]
	s_cbranch_execz .LBB6_3118
; %bb.3105:                             ;   in Loop: Header=BB6_3092 Depth=2
	v_and_b32_e32 v6, 0x7fffffff, v2
	v_mov_b32_e32 v7, v53
	v_cmp_gt_u64_e32 vcc, s[40:41], v[6:7]
	s_and_saveexec_b64 s[18:19], vcc
	s_xor_b64 s[56:57], exec, s[18:19]
	s_cbranch_execz .LBB6_3117
; %bb.3106:                             ;   in Loop: Header=BB6_3092 Depth=2
	v_cmp_ne_u32_e32 vcc, 0, v2
	v_mov_b32_e32 v20, 0
	s_and_saveexec_b64 s[58:59], vcc
	s_cbranch_execz .LBB6_3116
; %bb.3107:                             ;   in Loop: Header=BB6_3092 Depth=2
	v_bfe_u32 v2, v2, 23, 8
	v_sub_u32_e32 v6, 0x79, v2
	v_cmp_gt_u32_e32 vcc, s72, v2
	v_cndmask_b32_e32 v6, 0, v6, vcc
	v_cmp_eq_u32_e32 vcc, 0, v2
	v_or_b32_e32 v7, 0x800000, v52
	v_cndmask_b32_e32 v32, v6, v38, vcc
	v_add_u32_e32 v3, 0xffffff81, v2
	v_cndmask_b32_e32 v52, v7, v52, vcc
	v_add_u32_e32 v2, 20, v32
	v_cndmask_b32_e32 v20, v3, v33, vcc
	v_lshlrev_b64 v[2:3], v2, -1
	v_lshrrev_b64 v[8:9], v32, v[52:53]
	v_not_b32_e32 v3, v3
	v_not_b32_e32 v2, v2
	v_add_u32_e32 v6, 19, v32
	v_lshrrev_b32_e32 v33, 23, v8
	v_and_b32_e32 v3, 0, v3
	v_and_b32_e32 v2, v52, v2
	v_lshlrev_b64 v[6:7], v6, 1
	v_add3_u32 v38, v32, v20, v33
	v_bfe_u32 v32, v8, 20, 1
	v_add_u32_e32 v32, -1, v32
	v_cmp_eq_u64_e32 vcc, v[2:3], v[6:7]
	v_cndmask_b32_e32 v2, 0, v32, vcc
	v_add_u32_e32 v2, v2, v8
	v_and_b32_e32 v2, 0xfffff, v2
	v_add_co_u32_e32 v2, vcc, v2, v8
	v_add_u32_e32 v20, 6, v38
	v_addc_co_u32_e32 v3, vcc, 0, v9, vcc
	v_cmp_ne_u32_e32 vcc, 0, v20
                                        ; implicit-def: $vgpr49
	s_and_saveexec_b64 s[18:19], vcc
	s_xor_b64 s[18:19], exec, s[18:19]
; %bb.3108:                             ;   in Loop: Header=BB6_3092 Depth=2
	v_add_u32_e32 v6, 7, v38
	v_cmp_lt_u64_e32 vcc, s[44:45], v[2:3]
	v_cndmask_b32_e32 v49, v20, v6, vcc
	v_cndmask_b32_e64 v6, 0, 1, vcc
	v_lshrrev_b64 v[2:3], v6, v[2:3]
; %bb.3109:                             ;   in Loop: Header=BB6_3092 Depth=2
	s_andn2_saveexec_b64 s[18:19], s[18:19]
; %bb.3110:                             ;   in Loop: Header=BB6_3092 Depth=2
	v_bfe_u32 v49, v2, 23, 1
; %bb.3111:                             ;   in Loop: Header=BB6_3092 Depth=2
	s_or_b64 exec, exec, s[18:19]
	v_lshrrev_b64 v[2:3], 20, v[2:3]
	v_cmp_gt_i32_e32 vcc, 16, v49
	v_cndmask_b32_e32 v3, 0, v3, vcc
	v_cndmask_b32_e32 v2, 7, v2, vcc
	v_cmp_ne_u32_e32 vcc, 0, v49
	v_cmp_ne_u64_e64 s[18:19], 0, v[2:3]
	s_or_b64 s[18:19], vcc, s[18:19]
                                        ; implicit-def: $vgpr20
	s_mov_b64 vcc, exec
	s_and_b64 s[60:61], vcc, s[18:19]
	s_xor_b64 s[18:19], s[60:61], vcc
	v_mov_b32_e32 v33, 0xffffff82
	v_mov_b32_e32 v38, 0x78
	s_mov_b64 exec, s[60:61]
; %bb.3112:                             ;   in Loop: Header=BB6_3092 Depth=2
	v_min_i32_e32 v3, 15, v49
	v_lshl_or_b32 v3, v3, 3, v48
	v_and_or_b32 v20, v2, 7, v3
                                        ; implicit-def: $vgpr48
; %bb.3113:                             ;   in Loop: Header=BB6_3092 Depth=2
	s_andn2_saveexec_b64 s[18:19], s[18:19]
; %bb.3114:                             ;   in Loop: Header=BB6_3092 Depth=2
	v_mov_b32_e32 v20, v48
; %bb.3115:                             ;   in Loop: Header=BB6_3092 Depth=2
	s_or_b64 exec, exec, s[18:19]
.LBB6_3116:                             ;   in Loop: Header=BB6_3092 Depth=2
	s_or_b64 exec, exec, s[58:59]
.LBB6_3117:                             ;   in Loop: Header=BB6_3092 Depth=2
	s_andn2_saveexec_b64 s[18:19], s[56:57]
	s_or_b64 exec, exec, s[18:19]
                                        ; implicit-def: $vgpr2
.LBB6_3118:                             ;   in Loop: Header=BB6_3092 Depth=2
	s_andn2_saveexec_b64 s[18:19], s[54:55]
; %bb.3119:                             ;   in Loop: Header=BB6_3092 Depth=2
	v_or_b32_sdwa v2, v2, s71 dst_sel:DWORD dst_unused:UNUSED_PAD src0_sel:BYTE_3 src1_sel:DWORD
	v_cmp_eq_u64_e32 vcc, 0, v[52:53]
	v_cndmask_b32_e32 v20, v2, v20, vcc
; %bb.3120:                             ;   in Loop: Header=BB6_3092 Depth=2
	s_or_b64 exec, exec, s[18:19]
	v_and_b32_e32 v2, 0xff, v19
	v_cmp_ne_u16_e32 vcc, 0, v2
	v_mov_b32_e32 v3, 0
	v_mov_b32_e32 v48, 0
	s_and_saveexec_b64 s[18:19], vcc
	s_cbranch_execz .LBB6_3126
; %bb.3121:                             ;   in Loop: Header=BB6_3092 Depth=2
	v_cmp_ne_u16_e32 vcc, s69, v2
	v_bfrev_b32_e32 v48, 1
	s_and_saveexec_b64 s[54:55], vcc
	s_cbranch_execz .LBB6_3125
; %bb.3122:                             ;   in Loop: Header=BB6_3092 Depth=2
	v_and_b32_e32 v38, 0x7f, v19
	v_cmp_ne_u32_e32 vcc, s71, v38
	v_mov_b32_e32 v48, 0x7f800001
	s_and_saveexec_b64 s[56:57], vcc
	s_cbranch_execz .LBB6_3124
; %bb.3123:                             ;   in Loop: Header=BB6_3092 Depth=2
	v_and_b32_e32 v8, 7, v2
	v_ffbh_u32_e32 v6, v8
	v_min_u32_e32 v32, 32, v6
	v_subrev_u32_e32 v6, 28, v32
	v_lshlrev_b64 v[6:7], v6, v[2:3]
	v_lshrrev_b32_e32 v9, 3, v38
	v_sub_u32_e32 v2, 29, v32
	v_and_b32_e32 v6, 7, v6
	v_cmp_gt_u32_e32 vcc, 8, v38
	v_cndmask_b32_e32 v2, v9, v2, vcc
	v_cndmask_b32_e32 v6, v8, v6, vcc
	v_lshlrev_b32_e32 v7, 24, v19
	v_lshlrev_b32_e32 v6, 20, v6
	v_and_b32_e32 v7, 0x80000000, v7
	v_lshl_add_u32 v2, v2, 23, v29
	v_or3_b32 v48, v7, v2, v6
.LBB6_3124:                             ;   in Loop: Header=BB6_3092 Depth=2
	s_or_b64 exec, exec, s[56:57]
	v_mov_b32_e32 v38, 0x78
.LBB6_3125:                             ;   in Loop: Header=BB6_3092 Depth=2
	s_or_b64 exec, exec, s[54:55]
.LBB6_3126:                             ;   in Loop: Header=BB6_3092 Depth=2
	s_or_b64 exec, exec, s[18:19]
	v_and_b32_e32 v2, 0xff, v23
	v_cmp_ne_u16_e32 vcc, 0, v2
	s_and_saveexec_b64 s[18:19], vcc
	s_cbranch_execz .LBB6_3132
; %bb.3127:                             ;   in Loop: Header=BB6_3092 Depth=2
	v_cmp_ne_u16_e32 vcc, s69, v2
	v_bfrev_b32_e32 v3, 1
	s_and_saveexec_b64 s[54:55], vcc
	s_cbranch_execz .LBB6_3131
; %bb.3128:                             ;   in Loop: Header=BB6_3092 Depth=2
	v_and_b32_e32 v19, 0x7f, v23
	v_cmp_ne_u32_e32 vcc, s71, v19
	v_mov_b32_e32 v3, 0x7f800001
	s_and_saveexec_b64 s[56:57], vcc
	s_cbranch_execz .LBB6_3130
; %bb.3129:                             ;   in Loop: Header=BB6_3092 Depth=2
	v_and_b32_e32 v6, 7, v2
	v_ffbh_u32_e32 v3, v6
	v_min_u32_e32 v8, 32, v3
	v_subrev_u32_e32 v3, 28, v8
	v_lshlrev_b64 v[2:3], v3, v[2:3]
	v_lshrrev_b32_e32 v7, 3, v19
	v_sub_u32_e32 v3, 29, v8
	v_and_b32_e32 v2, 7, v2
	v_cmp_gt_u32_e32 vcc, 8, v19
	v_cndmask_b32_e32 v3, v7, v3, vcc
	v_cndmask_b32_e32 v2, v6, v2, vcc
	v_lshlrev_b32_e32 v6, 24, v23
	v_lshlrev_b32_e32 v2, 20, v2
	v_and_b32_e32 v6, 0x80000000, v6
	v_lshl_add_u32 v3, v3, 23, v29
	v_or3_b32 v3, v6, v3, v2
.LBB6_3130:                             ;   in Loop: Header=BB6_3092 Depth=2
	s_or_b64 exec, exec, s[56:57]
.LBB6_3131:                             ;   in Loop: Header=BB6_3092 Depth=2
	s_or_b64 exec, exec, s[54:55]
.LBB6_3132:                             ;   in Loop: Header=BB6_3092 Depth=2
	s_or_b64 exec, exec, s[18:19]
	v_add_f32_e32 v2, v48, v3
	v_and_b32_sdwa v19, v2, s69 dst_sel:DWORD dst_unused:UNUSED_PAD src0_sel:BYTE_3 src1_sel:DWORD
	v_and_b32_e32 v6, 0x7f800000, v2
	v_mov_b32_e32 v7, v53
	v_and_b32_e32 v52, 0x7fffff, v2
	v_or_b32_e32 v23, 0x7e, v19
	v_cmp_ne_u64_e32 vcc, s[38:39], v[6:7]
	s_and_saveexec_b64 s[18:19], vcc
	s_xor_b64 s[54:55], exec, s[18:19]
	s_cbranch_execz .LBB6_3146
; %bb.3133:                             ;   in Loop: Header=BB6_3092 Depth=2
	v_and_b32_e32 v6, 0x7fffffff, v2
	v_mov_b32_e32 v7, v53
	v_cmp_gt_u64_e32 vcc, s[40:41], v[6:7]
	s_and_saveexec_b64 s[18:19], vcc
	s_xor_b64 s[56:57], exec, s[18:19]
	s_cbranch_execz .LBB6_3145
; %bb.3134:                             ;   in Loop: Header=BB6_3092 Depth=2
	v_cmp_ne_u32_e32 vcc, 0, v2
	v_mov_b32_e32 v23, 0
	s_and_saveexec_b64 s[58:59], vcc
	s_cbranch_execz .LBB6_3144
; %bb.3135:                             ;   in Loop: Header=BB6_3092 Depth=2
	v_bfe_u32 v2, v2, 23, 8
	v_sub_u32_e32 v6, 0x79, v2
	v_cmp_gt_u32_e32 vcc, s72, v2
	v_cndmask_b32_e32 v6, 0, v6, vcc
	v_cmp_eq_u32_e32 vcc, 0, v2
	v_or_b32_e32 v7, 0x800000, v52
	v_cndmask_b32_e32 v32, v6, v38, vcc
	v_add_u32_e32 v3, 0xffffff81, v2
	v_cndmask_b32_e32 v52, v7, v52, vcc
	v_add_u32_e32 v2, 20, v32
	v_cndmask_b32_e32 v23, v3, v33, vcc
	v_lshlrev_b64 v[2:3], v2, -1
	v_lshrrev_b64 v[8:9], v32, v[52:53]
	v_not_b32_e32 v3, v3
	v_not_b32_e32 v2, v2
	v_add_u32_e32 v6, 19, v32
	v_lshrrev_b32_e32 v33, 23, v8
	v_and_b32_e32 v3, 0, v3
	v_and_b32_e32 v2, v52, v2
	v_lshlrev_b64 v[6:7], v6, 1
	v_add3_u32 v38, v32, v23, v33
	v_bfe_u32 v32, v8, 20, 1
	v_add_u32_e32 v32, -1, v32
	v_cmp_eq_u64_e32 vcc, v[2:3], v[6:7]
	v_cndmask_b32_e32 v2, 0, v32, vcc
	v_add_u32_e32 v2, v2, v8
	v_and_b32_e32 v2, 0xfffff, v2
	v_add_co_u32_e32 v2, vcc, v2, v8
	v_add_u32_e32 v23, 6, v38
	v_addc_co_u32_e32 v3, vcc, 0, v9, vcc
	v_cmp_ne_u32_e32 vcc, 0, v23
                                        ; implicit-def: $vgpr48
	s_and_saveexec_b64 s[18:19], vcc
	s_xor_b64 s[18:19], exec, s[18:19]
; %bb.3136:                             ;   in Loop: Header=BB6_3092 Depth=2
	v_add_u32_e32 v6, 7, v38
	v_cmp_lt_u64_e32 vcc, s[44:45], v[2:3]
	v_cndmask_b32_e32 v48, v23, v6, vcc
	v_cndmask_b32_e64 v6, 0, 1, vcc
	v_lshrrev_b64 v[2:3], v6, v[2:3]
; %bb.3137:                             ;   in Loop: Header=BB6_3092 Depth=2
	s_andn2_saveexec_b64 s[18:19], s[18:19]
; %bb.3138:                             ;   in Loop: Header=BB6_3092 Depth=2
	v_bfe_u32 v48, v2, 23, 1
; %bb.3139:                             ;   in Loop: Header=BB6_3092 Depth=2
	s_or_b64 exec, exec, s[18:19]
	v_lshrrev_b64 v[2:3], 20, v[2:3]
	v_cmp_gt_i32_e32 vcc, 16, v48
	v_cndmask_b32_e32 v3, 0, v3, vcc
	v_cndmask_b32_e32 v2, 7, v2, vcc
	v_cmp_ne_u32_e32 vcc, 0, v48
	v_cmp_ne_u64_e64 s[18:19], 0, v[2:3]
	s_or_b64 s[18:19], vcc, s[18:19]
                                        ; implicit-def: $vgpr23
	s_mov_b64 vcc, exec
	s_and_b64 s[60:61], vcc, s[18:19]
	s_xor_b64 s[18:19], s[60:61], vcc
	v_mov_b32_e32 v33, 0xffffff82
	v_mov_b32_e32 v38, 0x78
	s_mov_b64 exec, s[60:61]
; %bb.3140:                             ;   in Loop: Header=BB6_3092 Depth=2
	v_min_i32_e32 v3, 15, v48
	v_lshl_or_b32 v3, v3, 3, v19
	v_and_or_b32 v23, v2, 7, v3
                                        ; implicit-def: $vgpr19
; %bb.3141:                             ;   in Loop: Header=BB6_3092 Depth=2
	s_andn2_saveexec_b64 s[18:19], s[18:19]
; %bb.3142:                             ;   in Loop: Header=BB6_3092 Depth=2
	v_mov_b32_e32 v23, v19
; %bb.3143:                             ;   in Loop: Header=BB6_3092 Depth=2
	s_or_b64 exec, exec, s[18:19]
.LBB6_3144:                             ;   in Loop: Header=BB6_3092 Depth=2
	s_or_b64 exec, exec, s[58:59]
.LBB6_3145:                             ;   in Loop: Header=BB6_3092 Depth=2
	s_andn2_saveexec_b64 s[18:19], s[56:57]
	s_or_b64 exec, exec, s[18:19]
                                        ; implicit-def: $vgpr2
.LBB6_3146:                             ;   in Loop: Header=BB6_3092 Depth=2
	s_andn2_saveexec_b64 s[18:19], s[54:55]
; %bb.3147:                             ;   in Loop: Header=BB6_3092 Depth=2
	v_or_b32_sdwa v2, v2, s71 dst_sel:DWORD dst_unused:UNUSED_PAD src0_sel:BYTE_3 src1_sel:DWORD
	v_cmp_eq_u64_e32 vcc, 0, v[52:53]
	v_cndmask_b32_e32 v23, v2, v23, vcc
; %bb.3148:                             ;   in Loop: Header=BB6_3092 Depth=2
	s_or_b64 exec, exec, s[18:19]
	v_and_b32_e32 v2, 0xff, v34
	v_cmp_ne_u16_e32 vcc, 0, v2
	v_mov_b32_e32 v3, 0
	v_mov_b32_e32 v19, 0
	s_and_saveexec_b64 s[18:19], vcc
	s_cbranch_execz .LBB6_3154
; %bb.3149:                             ;   in Loop: Header=BB6_3092 Depth=2
	v_cmp_ne_u16_e32 vcc, s69, v2
	v_bfrev_b32_e32 v19, 1
	s_and_saveexec_b64 s[54:55], vcc
	s_cbranch_execz .LBB6_3153
; %bb.3150:                             ;   in Loop: Header=BB6_3092 Depth=2
	v_and_b32_e32 v38, 0x7f, v34
	v_cmp_ne_u32_e32 vcc, s71, v38
	v_mov_b32_e32 v19, 0x7f800001
	s_and_saveexec_b64 s[56:57], vcc
	s_cbranch_execz .LBB6_3152
; %bb.3151:                             ;   in Loop: Header=BB6_3092 Depth=2
	v_and_b32_e32 v8, 7, v2
	v_ffbh_u32_e32 v6, v8
	v_min_u32_e32 v19, 32, v6
	v_subrev_u32_e32 v6, 28, v19
	v_lshlrev_b64 v[6:7], v6, v[2:3]
	v_lshrrev_b32_e32 v9, 3, v38
	v_sub_u32_e32 v2, 29, v19
	v_and_b32_e32 v6, 7, v6
	v_cmp_gt_u32_e32 vcc, 8, v38
	v_cndmask_b32_e32 v2, v9, v2, vcc
	v_cndmask_b32_e32 v6, v8, v6, vcc
	v_lshlrev_b32_e32 v7, 24, v34
	v_lshlrev_b32_e32 v6, 20, v6
	v_and_b32_e32 v7, 0x80000000, v7
	v_lshl_add_u32 v2, v2, 23, v29
	v_or3_b32 v19, v7, v2, v6
.LBB6_3152:                             ;   in Loop: Header=BB6_3092 Depth=2
	s_or_b64 exec, exec, s[56:57]
	v_mov_b32_e32 v38, 0x78
.LBB6_3153:                             ;   in Loop: Header=BB6_3092 Depth=2
	s_or_b64 exec, exec, s[54:55]
.LBB6_3154:                             ;   in Loop: Header=BB6_3092 Depth=2
	s_or_b64 exec, exec, s[18:19]
	v_and_b32_e32 v2, 0xff, v26
	v_cmp_ne_u16_e32 vcc, 0, v2
	s_and_saveexec_b64 s[18:19], vcc
	s_cbranch_execz .LBB6_3160
; %bb.3155:                             ;   in Loop: Header=BB6_3092 Depth=2
	v_cmp_ne_u16_e32 vcc, s69, v2
	v_bfrev_b32_e32 v3, 1
	s_and_saveexec_b64 s[54:55], vcc
	s_cbranch_execz .LBB6_3159
; %bb.3156:                             ;   in Loop: Header=BB6_3092 Depth=2
	v_and_b32_e32 v34, 0x7f, v26
	v_cmp_ne_u32_e32 vcc, s71, v34
	v_mov_b32_e32 v3, 0x7f800001
	s_and_saveexec_b64 s[56:57], vcc
	s_cbranch_execz .LBB6_3158
; %bb.3157:                             ;   in Loop: Header=BB6_3092 Depth=2
	v_and_b32_e32 v6, 7, v2
	v_ffbh_u32_e32 v3, v6
	v_min_u32_e32 v8, 32, v3
	v_subrev_u32_e32 v3, 28, v8
	v_lshlrev_b64 v[2:3], v3, v[2:3]
	v_lshrrev_b32_e32 v7, 3, v34
	v_sub_u32_e32 v3, 29, v8
	v_and_b32_e32 v2, 7, v2
	v_cmp_gt_u32_e32 vcc, 8, v34
	v_cndmask_b32_e32 v3, v7, v3, vcc
	v_cndmask_b32_e32 v2, v6, v2, vcc
	v_lshlrev_b32_e32 v6, 24, v26
	v_lshlrev_b32_e32 v2, 20, v2
	v_and_b32_e32 v6, 0x80000000, v6
	v_lshl_add_u32 v3, v3, 23, v29
	v_or3_b32 v3, v6, v3, v2
.LBB6_3158:                             ;   in Loop: Header=BB6_3092 Depth=2
	s_or_b64 exec, exec, s[56:57]
.LBB6_3159:                             ;   in Loop: Header=BB6_3092 Depth=2
	s_or_b64 exec, exec, s[54:55]
.LBB6_3160:                             ;   in Loop: Header=BB6_3092 Depth=2
	s_or_b64 exec, exec, s[18:19]
	v_add_f32_e32 v2, v19, v3
	v_and_b32_sdwa v19, v2, s69 dst_sel:DWORD dst_unused:UNUSED_PAD src0_sel:BYTE_3 src1_sel:DWORD
	v_and_b32_e32 v6, 0x7f800000, v2
	v_mov_b32_e32 v7, v53
	v_and_b32_e32 v52, 0x7fffff, v2
	v_or_b32_e32 v26, 0x7e, v19
	v_cmp_ne_u64_e32 vcc, s[38:39], v[6:7]
	s_and_saveexec_b64 s[18:19], vcc
	s_xor_b64 s[54:55], exec, s[18:19]
	s_cbranch_execz .LBB6_3174
; %bb.3161:                             ;   in Loop: Header=BB6_3092 Depth=2
	v_and_b32_e32 v6, 0x7fffffff, v2
	v_mov_b32_e32 v7, v53
	v_cmp_gt_u64_e32 vcc, s[40:41], v[6:7]
	s_and_saveexec_b64 s[18:19], vcc
	s_xor_b64 s[56:57], exec, s[18:19]
	s_cbranch_execz .LBB6_3173
; %bb.3162:                             ;   in Loop: Header=BB6_3092 Depth=2
	v_cmp_ne_u32_e32 vcc, 0, v2
	v_mov_b32_e32 v26, 0
	s_and_saveexec_b64 s[58:59], vcc
	s_cbranch_execz .LBB6_3172
; %bb.3163:                             ;   in Loop: Header=BB6_3092 Depth=2
	v_bfe_u32 v2, v2, 23, 8
	v_sub_u32_e32 v6, 0x79, v2
	v_cmp_gt_u32_e32 vcc, s72, v2
	v_cndmask_b32_e32 v6, 0, v6, vcc
	v_cmp_eq_u32_e32 vcc, 0, v2
	v_or_b32_e32 v7, 0x800000, v52
	v_cndmask_b32_e32 v32, v6, v38, vcc
	v_add_u32_e32 v3, 0xffffff81, v2
	v_cndmask_b32_e32 v52, v7, v52, vcc
	v_add_u32_e32 v2, 20, v32
	v_cndmask_b32_e32 v26, v3, v33, vcc
	v_lshlrev_b64 v[2:3], v2, -1
	v_lshrrev_b64 v[8:9], v32, v[52:53]
	v_not_b32_e32 v3, v3
	v_not_b32_e32 v2, v2
	v_add_u32_e32 v6, 19, v32
	v_lshrrev_b32_e32 v33, 23, v8
	v_and_b32_e32 v3, 0, v3
	v_and_b32_e32 v2, v52, v2
	v_lshlrev_b64 v[6:7], v6, 1
	v_add3_u32 v38, v32, v26, v33
	v_bfe_u32 v32, v8, 20, 1
	v_add_u32_e32 v32, -1, v32
	v_cmp_eq_u64_e32 vcc, v[2:3], v[6:7]
	v_cndmask_b32_e32 v2, 0, v32, vcc
	v_add_u32_e32 v2, v2, v8
	v_and_b32_e32 v2, 0xfffff, v2
	v_add_co_u32_e32 v2, vcc, v2, v8
	v_add_u32_e32 v26, 6, v38
	v_addc_co_u32_e32 v3, vcc, 0, v9, vcc
	v_cmp_ne_u32_e32 vcc, 0, v26
                                        ; implicit-def: $vgpr34
	s_and_saveexec_b64 s[18:19], vcc
	s_xor_b64 s[18:19], exec, s[18:19]
; %bb.3164:                             ;   in Loop: Header=BB6_3092 Depth=2
	v_add_u32_e32 v6, 7, v38
	v_cmp_lt_u64_e32 vcc, s[44:45], v[2:3]
	v_cndmask_b32_e32 v34, v26, v6, vcc
	v_cndmask_b32_e64 v6, 0, 1, vcc
	v_lshrrev_b64 v[2:3], v6, v[2:3]
; %bb.3165:                             ;   in Loop: Header=BB6_3092 Depth=2
	s_andn2_saveexec_b64 s[18:19], s[18:19]
; %bb.3166:                             ;   in Loop: Header=BB6_3092 Depth=2
	v_bfe_u32 v34, v2, 23, 1
; %bb.3167:                             ;   in Loop: Header=BB6_3092 Depth=2
	s_or_b64 exec, exec, s[18:19]
	v_lshrrev_b64 v[2:3], 20, v[2:3]
	v_cmp_gt_i32_e32 vcc, 16, v34
	v_cndmask_b32_e32 v3, 0, v3, vcc
	v_cndmask_b32_e32 v2, 7, v2, vcc
	v_cmp_ne_u32_e32 vcc, 0, v34
	v_cmp_ne_u64_e64 s[18:19], 0, v[2:3]
	s_or_b64 s[18:19], vcc, s[18:19]
                                        ; implicit-def: $vgpr26
	s_mov_b64 vcc, exec
	s_and_b64 s[60:61], vcc, s[18:19]
	s_xor_b64 s[18:19], s[60:61], vcc
	v_mov_b32_e32 v33, 0xffffff82
	v_mov_b32_e32 v38, 0x78
	s_mov_b64 exec, s[60:61]
; %bb.3168:                             ;   in Loop: Header=BB6_3092 Depth=2
	v_min_i32_e32 v3, 15, v34
	v_lshl_or_b32 v3, v3, 3, v19
	v_and_or_b32 v26, v2, 7, v3
                                        ; implicit-def: $vgpr19
; %bb.3169:                             ;   in Loop: Header=BB6_3092 Depth=2
	s_andn2_saveexec_b64 s[18:19], s[18:19]
; %bb.3170:                             ;   in Loop: Header=BB6_3092 Depth=2
	v_mov_b32_e32 v26, v19
; %bb.3171:                             ;   in Loop: Header=BB6_3092 Depth=2
	s_or_b64 exec, exec, s[18:19]
.LBB6_3172:                             ;   in Loop: Header=BB6_3092 Depth=2
	s_or_b64 exec, exec, s[58:59]
.LBB6_3173:                             ;   in Loop: Header=BB6_3092 Depth=2
	s_andn2_saveexec_b64 s[18:19], s[56:57]
	s_or_b64 exec, exec, s[18:19]
                                        ; implicit-def: $vgpr2
.LBB6_3174:                             ;   in Loop: Header=BB6_3092 Depth=2
	s_andn2_saveexec_b64 s[18:19], s[54:55]
; %bb.3175:                             ;   in Loop: Header=BB6_3092 Depth=2
	v_or_b32_sdwa v2, v2, s71 dst_sel:DWORD dst_unused:UNUSED_PAD src0_sel:BYTE_3 src1_sel:DWORD
	v_cmp_eq_u64_e32 vcc, 0, v[52:53]
	v_cndmask_b32_e32 v26, v2, v26, vcc
; %bb.3176:                             ;   in Loop: Header=BB6_3092 Depth=2
	s_or_b64 exec, exec, s[18:19]
	v_and_b32_e32 v2, 0xff, v5
	v_cmp_ne_u16_e32 vcc, 0, v2
	v_mov_b32_e32 v3, 0
	v_mov_b32_e32 v19, 0
	s_and_saveexec_b64 s[18:19], vcc
	s_cbranch_execz .LBB6_3182
; %bb.3177:                             ;   in Loop: Header=BB6_3092 Depth=2
	v_cmp_ne_u16_e32 vcc, s69, v2
	v_bfrev_b32_e32 v19, 1
	s_and_saveexec_b64 s[54:55], vcc
	s_cbranch_execz .LBB6_3181
; %bb.3178:                             ;   in Loop: Header=BB6_3092 Depth=2
	v_and_b32_e32 v34, 0x7f, v5
	v_cmp_ne_u32_e32 vcc, s71, v34
	v_mov_b32_e32 v19, 0x7f800001
	s_and_saveexec_b64 s[56:57], vcc
	s_cbranch_execz .LBB6_3180
; %bb.3179:                             ;   in Loop: Header=BB6_3092 Depth=2
	v_and_b32_e32 v8, 7, v2
	v_ffbh_u32_e32 v6, v8
	v_min_u32_e32 v19, 32, v6
	v_subrev_u32_e32 v6, 28, v19
	v_lshlrev_b64 v[6:7], v6, v[2:3]
	v_lshrrev_b32_e32 v9, 3, v34
	v_sub_u32_e32 v2, 29, v19
	v_and_b32_e32 v6, 7, v6
	v_cmp_gt_u32_e32 vcc, 8, v34
	v_cndmask_b32_e32 v2, v9, v2, vcc
	v_cndmask_b32_e32 v6, v8, v6, vcc
	v_lshlrev_b32_e32 v5, 24, v5
	v_lshlrev_b32_e32 v6, 20, v6
	v_and_b32_e32 v5, 0x80000000, v5
	v_lshl_add_u32 v2, v2, 23, v29
	v_or3_b32 v19, v5, v2, v6
.LBB6_3180:                             ;   in Loop: Header=BB6_3092 Depth=2
	s_or_b64 exec, exec, s[56:57]
.LBB6_3181:                             ;   in Loop: Header=BB6_3092 Depth=2
	s_or_b64 exec, exec, s[54:55]
.LBB6_3182:                             ;   in Loop: Header=BB6_3092 Depth=2
	s_or_b64 exec, exec, s[18:19]
	v_and_b32_e32 v2, 0xff, v4
	v_cmp_ne_u16_e32 vcc, 0, v2
	s_and_saveexec_b64 s[18:19], vcc
	s_cbranch_execz .LBB6_3188
; %bb.3183:                             ;   in Loop: Header=BB6_3092 Depth=2
	v_cmp_ne_u16_e32 vcc, s69, v2
	v_bfrev_b32_e32 v3, 1
	s_and_saveexec_b64 s[54:55], vcc
	s_cbranch_execz .LBB6_3187
; %bb.3184:                             ;   in Loop: Header=BB6_3092 Depth=2
	v_and_b32_e32 v5, 0x7f, v4
	v_cmp_ne_u32_e32 vcc, s71, v5
	v_mov_b32_e32 v3, 0x7f800001
	s_and_saveexec_b64 s[56:57], vcc
	s_cbranch_execz .LBB6_3186
; %bb.3185:                             ;   in Loop: Header=BB6_3092 Depth=2
	v_and_b32_e32 v6, 7, v2
	v_ffbh_u32_e32 v3, v6
	v_min_u32_e32 v8, 32, v3
	v_subrev_u32_e32 v3, 28, v8
	v_lshlrev_b64 v[2:3], v3, v[2:3]
	v_lshrrev_b32_e32 v7, 3, v5
	v_sub_u32_e32 v3, 29, v8
	v_and_b32_e32 v2, 7, v2
	v_cmp_gt_u32_e32 vcc, 8, v5
	v_cndmask_b32_e32 v3, v7, v3, vcc
	v_cndmask_b32_e32 v2, v6, v2, vcc
	v_lshlrev_b32_e32 v4, 24, v4
	v_lshlrev_b32_e32 v2, 20, v2
	v_and_b32_e32 v4, 0x80000000, v4
	v_lshl_add_u32 v3, v3, 23, v29
	v_or3_b32 v3, v4, v3, v2
.LBB6_3186:                             ;   in Loop: Header=BB6_3092 Depth=2
	s_or_b64 exec, exec, s[56:57]
.LBB6_3187:                             ;   in Loop: Header=BB6_3092 Depth=2
	s_or_b64 exec, exec, s[54:55]
.LBB6_3188:                             ;   in Loop: Header=BB6_3092 Depth=2
	s_or_b64 exec, exec, s[18:19]
	v_add_f32_e32 v2, v19, v3
	v_and_b32_sdwa v4, v2, s69 dst_sel:DWORD dst_unused:UNUSED_PAD src0_sel:BYTE_3 src1_sel:DWORD
	v_and_b32_e32 v6, 0x7f800000, v2
	v_mov_b32_e32 v7, v53
	v_and_b32_e32 v52, 0x7fffff, v2
	v_or_b32_e32 v34, 0x7e, v4
	v_cmp_ne_u64_e32 vcc, s[38:39], v[6:7]
	s_and_saveexec_b64 s[18:19], vcc
	s_xor_b64 s[54:55], exec, s[18:19]
	s_cbranch_execz .LBB6_3202
; %bb.3189:                             ;   in Loop: Header=BB6_3092 Depth=2
	v_and_b32_e32 v6, 0x7fffffff, v2
	v_mov_b32_e32 v7, v53
	v_cmp_gt_u64_e32 vcc, s[40:41], v[6:7]
	s_and_saveexec_b64 s[18:19], vcc
	s_xor_b64 s[56:57], exec, s[18:19]
	s_cbranch_execz .LBB6_3201
; %bb.3190:                             ;   in Loop: Header=BB6_3092 Depth=2
	v_cmp_ne_u32_e32 vcc, 0, v2
	v_mov_b32_e32 v34, 0
	s_and_saveexec_b64 s[58:59], vcc
	s_cbranch_execz .LBB6_3200
; %bb.3191:                             ;   in Loop: Header=BB6_3092 Depth=2
	v_bfe_u32 v2, v2, 23, 8
	v_sub_u32_e32 v5, 0x79, v2
	v_cmp_gt_u32_e32 vcc, s72, v2
	v_cndmask_b32_e32 v5, 0, v5, vcc
	v_cmp_eq_u32_e32 vcc, 0, v2
	v_or_b32_e32 v6, 0x800000, v52
	v_cndmask_b32_e32 v5, v5, v38, vcc
	v_add_u32_e32 v3, 0xffffff81, v2
	v_cndmask_b32_e32 v52, v6, v52, vcc
	v_add_u32_e32 v2, 20, v5
	v_cndmask_b32_e32 v19, v3, v33, vcc
	v_lshlrev_b64 v[2:3], v2, -1
	v_lshrrev_b64 v[8:9], v5, v[52:53]
	v_not_b32_e32 v3, v3
	v_not_b32_e32 v2, v2
	v_add_u32_e32 v6, 19, v5
	v_lshrrev_b32_e32 v32, 23, v8
	v_and_b32_e32 v3, 0, v3
	v_and_b32_e32 v2, v52, v2
	v_lshlrev_b64 v[6:7], v6, 1
	v_add3_u32 v34, v5, v19, v32
	v_bfe_u32 v5, v8, 20, 1
	v_add_u32_e32 v5, -1, v5
	v_cmp_eq_u64_e32 vcc, v[2:3], v[6:7]
	v_cndmask_b32_e32 v2, 0, v5, vcc
	v_add_u32_e32 v2, v2, v8
	v_and_b32_e32 v2, 0xfffff, v2
	v_add_co_u32_e32 v2, vcc, v2, v8
	v_add_u32_e32 v19, 6, v34
	v_addc_co_u32_e32 v3, vcc, 0, v9, vcc
	v_cmp_ne_u32_e32 vcc, 0, v19
                                        ; implicit-def: $vgpr5
	s_and_saveexec_b64 s[18:19], vcc
	s_xor_b64 s[18:19], exec, s[18:19]
; %bb.3192:                             ;   in Loop: Header=BB6_3092 Depth=2
	v_cmp_lt_u64_e32 vcc, s[44:45], v[2:3]
	v_add_u32_e32 v5, 7, v34
	v_cndmask_b32_e64 v6, 0, 1, vcc
	v_cndmask_b32_e32 v5, v19, v5, vcc
	v_lshrrev_b64 v[2:3], v6, v[2:3]
; %bb.3193:                             ;   in Loop: Header=BB6_3092 Depth=2
	s_andn2_saveexec_b64 s[18:19], s[18:19]
; %bb.3194:                             ;   in Loop: Header=BB6_3092 Depth=2
	v_bfe_u32 v5, v2, 23, 1
; %bb.3195:                             ;   in Loop: Header=BB6_3092 Depth=2
	s_or_b64 exec, exec, s[18:19]
	v_lshrrev_b64 v[2:3], 20, v[2:3]
	v_cmp_gt_i32_e32 vcc, 16, v5
	v_cndmask_b32_e32 v3, 0, v3, vcc
	v_cndmask_b32_e32 v2, 7, v2, vcc
	v_cmp_ne_u32_e32 vcc, 0, v5
	v_cmp_ne_u64_e64 s[18:19], 0, v[2:3]
	s_or_b64 s[18:19], vcc, s[18:19]
                                        ; implicit-def: $vgpr34
	s_and_saveexec_b64 vcc, s[18:19]
	s_xor_b64 s[18:19], exec, vcc
; %bb.3196:                             ;   in Loop: Header=BB6_3092 Depth=2
	v_min_i32_e32 v3, 15, v5
	v_lshl_or_b32 v3, v3, 3, v4
	v_and_or_b32 v34, v2, 7, v3
                                        ; implicit-def: $vgpr4
; %bb.3197:                             ;   in Loop: Header=BB6_3092 Depth=2
	s_andn2_saveexec_b64 s[18:19], s[18:19]
; %bb.3198:                             ;   in Loop: Header=BB6_3092 Depth=2
	v_mov_b32_e32 v34, v4
; %bb.3199:                             ;   in Loop: Header=BB6_3092 Depth=2
	s_or_b64 exec, exec, s[18:19]
.LBB6_3200:                             ;   in Loop: Header=BB6_3092 Depth=2
	s_or_b64 exec, exec, s[58:59]
.LBB6_3201:                             ;   in Loop: Header=BB6_3092 Depth=2
	s_andn2_saveexec_b64 s[18:19], s[56:57]
	s_or_b64 exec, exec, s[18:19]
                                        ; implicit-def: $vgpr2
.LBB6_3202:                             ;   in Loop: Header=BB6_3092 Depth=2
	s_andn2_saveexec_b64 s[18:19], s[54:55]
; %bb.3203:                             ;   in Loop: Header=BB6_3092 Depth=2
	v_or_b32_sdwa v2, v2, s71 dst_sel:DWORD dst_unused:UNUSED_PAD src0_sel:BYTE_3 src1_sel:DWORD
	v_cmp_eq_u64_e32 vcc, 0, v[52:53]
	v_cndmask_b32_e32 v34, v2, v34, vcc
; %bb.3204:                             ;   in Loop: Header=BB6_3092 Depth=2
	s_or_b64 exec, exec, s[18:19]
	v_and_b32_e32 v2, 0xff, v55
	v_cmp_ne_u16_e32 vcc, 0, v2
	v_mov_b32_e32 v3, 0
	v_mov_b32_e32 v4, 0
	s_and_saveexec_b64 s[18:19], vcc
	s_cbranch_execz .LBB6_3210
; %bb.3205:                             ;   in Loop: Header=BB6_3092 Depth=2
	v_cmp_ne_u16_e32 vcc, s69, v2
	v_bfrev_b32_e32 v4, 1
	s_and_saveexec_b64 s[54:55], vcc
	s_cbranch_execz .LBB6_3209
; %bb.3206:                             ;   in Loop: Header=BB6_3092 Depth=2
	v_and_b32_e32 v5, 0x7f, v55
	v_cmp_ne_u32_e32 vcc, s71, v5
	v_mov_b32_e32 v4, 0x7f800001
	s_and_saveexec_b64 s[56:57], vcc
	s_cbranch_execz .LBB6_3208
; %bb.3207:                             ;   in Loop: Header=BB6_3092 Depth=2
	v_and_b32_e32 v4, 7, v2
	v_ffbh_u32_e32 v6, v4
	v_min_u32_e32 v9, 32, v6
	v_subrev_u32_e32 v6, 28, v9
	v_lshlrev_b64 v[6:7], v6, v[2:3]
	v_lshrrev_b32_e32 v8, 3, v5
	v_sub_u32_e32 v2, 29, v9
	v_and_b32_e32 v6, 7, v6
	v_cmp_gt_u32_e32 vcc, 8, v5
	v_cndmask_b32_e32 v2, v8, v2, vcc
	v_cndmask_b32_e32 v4, v4, v6, vcc
	v_lshlrev_b32_e32 v5, 24, v55
	v_lshlrev_b32_e32 v4, 20, v4
	v_and_b32_e32 v5, 0x80000000, v5
	v_lshl_add_u32 v2, v2, 23, v29
	v_or3_b32 v4, v5, v2, v4
.LBB6_3208:                             ;   in Loop: Header=BB6_3092 Depth=2
	s_or_b64 exec, exec, s[56:57]
.LBB6_3209:                             ;   in Loop: Header=BB6_3092 Depth=2
	s_or_b64 exec, exec, s[54:55]
.LBB6_3210:                             ;   in Loop: Header=BB6_3092 Depth=2
	s_or_b64 exec, exec, s[18:19]
	v_and_b32_e32 v2, 0xff, v54
	v_cmp_ne_u16_e32 vcc, 0, v2
	s_and_saveexec_b64 s[18:19], vcc
	s_cbranch_execz .LBB6_3216
; %bb.3211:                             ;   in Loop: Header=BB6_3092 Depth=2
	v_cmp_ne_u16_e32 vcc, s69, v2
	v_bfrev_b32_e32 v3, 1
	s_and_saveexec_b64 s[54:55], vcc
	s_cbranch_execz .LBB6_3215
; %bb.3212:                             ;   in Loop: Header=BB6_3092 Depth=2
	v_and_b32_e32 v5, 0x7f, v54
	v_cmp_ne_u32_e32 vcc, s71, v5
	v_mov_b32_e32 v3, 0x7f800001
	s_and_saveexec_b64 s[56:57], vcc
	s_cbranch_execz .LBB6_3214
; %bb.3213:                             ;   in Loop: Header=BB6_3092 Depth=2
	v_and_b32_e32 v6, 7, v2
	v_ffbh_u32_e32 v3, v6
	v_min_u32_e32 v8, 32, v3
	v_subrev_u32_e32 v3, 28, v8
	v_lshlrev_b64 v[2:3], v3, v[2:3]
	v_lshrrev_b32_e32 v7, 3, v5
	v_sub_u32_e32 v3, 29, v8
	v_and_b32_e32 v2, 7, v2
	v_cmp_gt_u32_e32 vcc, 8, v5
	v_cndmask_b32_e32 v3, v7, v3, vcc
	v_cndmask_b32_e32 v2, v6, v2, vcc
	v_lshlrev_b32_e32 v5, 24, v54
	v_lshlrev_b32_e32 v2, 20, v2
	v_and_b32_e32 v5, 0x80000000, v5
	v_lshl_add_u32 v3, v3, 23, v29
	v_or3_b32 v3, v5, v3, v2
.LBB6_3214:                             ;   in Loop: Header=BB6_3092 Depth=2
	s_or_b64 exec, exec, s[56:57]
.LBB6_3215:                             ;   in Loop: Header=BB6_3092 Depth=2
	s_or_b64 exec, exec, s[54:55]
.LBB6_3216:                             ;   in Loop: Header=BB6_3092 Depth=2
	s_or_b64 exec, exec, s[18:19]
	v_add_f32_e32 v2, v4, v3
	v_and_b32_sdwa v4, v2, s69 dst_sel:DWORD dst_unused:UNUSED_PAD src0_sel:BYTE_3 src1_sel:DWORD
	v_and_b32_e32 v6, 0x7f800000, v2
	v_mov_b32_e32 v7, v53
	v_and_b32_e32 v52, 0x7fffff, v2
	v_or_b32_e32 v55, 0x7e, v4
	v_cmp_ne_u64_e32 vcc, s[38:39], v[6:7]
	s_and_saveexec_b64 s[18:19], vcc
	s_xor_b64 s[54:55], exec, s[18:19]
	s_cbranch_execz .LBB6_3230
; %bb.3217:                             ;   in Loop: Header=BB6_3092 Depth=2
	v_and_b32_e32 v6, 0x7fffffff, v2
	v_mov_b32_e32 v7, v53
	v_cmp_gt_u64_e32 vcc, s[40:41], v[6:7]
	s_and_saveexec_b64 s[18:19], vcc
	s_xor_b64 s[56:57], exec, s[18:19]
	s_cbranch_execz .LBB6_3229
; %bb.3218:                             ;   in Loop: Header=BB6_3092 Depth=2
	v_cmp_ne_u32_e32 vcc, 0, v2
	v_mov_b32_e32 v55, 0
	s_and_saveexec_b64 s[58:59], vcc
	s_cbranch_execz .LBB6_3228
; %bb.3219:                             ;   in Loop: Header=BB6_3092 Depth=2
	v_bfe_u32 v2, v2, 23, 8
	v_sub_u32_e32 v5, 0x79, v2
	v_cmp_gt_u32_e32 vcc, s72, v2
	v_cndmask_b32_e32 v5, 0, v5, vcc
	v_cmp_eq_u32_e32 vcc, 0, v2
	v_or_b32_e32 v6, 0x800000, v52
	v_cndmask_b32_e32 v5, v5, v38, vcc
	v_add_u32_e32 v3, 0xffffff81, v2
	v_cndmask_b32_e32 v52, v6, v52, vcc
	v_add_u32_e32 v2, 20, v5
	v_cndmask_b32_e32 v19, v3, v33, vcc
	v_lshlrev_b64 v[2:3], v2, -1
	v_lshrrev_b64 v[8:9], v5, v[52:53]
	v_not_b32_e32 v3, v3
	v_not_b32_e32 v2, v2
	v_add_u32_e32 v6, 19, v5
	v_lshrrev_b32_e32 v32, 23, v8
	v_and_b32_e32 v3, 0, v3
	v_and_b32_e32 v2, v52, v2
	v_lshlrev_b64 v[6:7], v6, 1
	v_add3_u32 v38, v5, v19, v32
	v_bfe_u32 v5, v8, 20, 1
	v_add_u32_e32 v5, -1, v5
	v_cmp_eq_u64_e32 vcc, v[2:3], v[6:7]
	v_cndmask_b32_e32 v2, 0, v5, vcc
	v_add_u32_e32 v2, v2, v8
	v_and_b32_e32 v2, 0xfffff, v2
	v_add_co_u32_e32 v2, vcc, v2, v8
	v_add_u32_e32 v19, 6, v38
	v_addc_co_u32_e32 v3, vcc, 0, v9, vcc
	v_cmp_ne_u32_e32 vcc, 0, v19
                                        ; implicit-def: $vgpr5
	s_and_saveexec_b64 s[18:19], vcc
	s_xor_b64 s[18:19], exec, s[18:19]
; %bb.3220:                             ;   in Loop: Header=BB6_3092 Depth=2
	v_cmp_lt_u64_e32 vcc, s[44:45], v[2:3]
	v_add_u32_e32 v5, 7, v38
	v_cndmask_b32_e64 v6, 0, 1, vcc
	v_cndmask_b32_e32 v5, v19, v5, vcc
	v_lshrrev_b64 v[2:3], v6, v[2:3]
; %bb.3221:                             ;   in Loop: Header=BB6_3092 Depth=2
	s_andn2_saveexec_b64 s[18:19], s[18:19]
; %bb.3222:                             ;   in Loop: Header=BB6_3092 Depth=2
	v_bfe_u32 v5, v2, 23, 1
; %bb.3223:                             ;   in Loop: Header=BB6_3092 Depth=2
	s_or_b64 exec, exec, s[18:19]
	v_lshrrev_b64 v[2:3], 20, v[2:3]
	v_cmp_gt_i32_e32 vcc, 16, v5
	v_cndmask_b32_e32 v3, 0, v3, vcc
	v_cndmask_b32_e32 v2, 7, v2, vcc
	v_cmp_ne_u32_e32 vcc, 0, v5
	v_cmp_ne_u64_e64 s[18:19], 0, v[2:3]
	s_or_b64 s[18:19], vcc, s[18:19]
                                        ; implicit-def: $vgpr55
	s_mov_b64 vcc, exec
	s_and_b64 s[60:61], vcc, s[18:19]
	s_xor_b64 s[18:19], s[60:61], vcc
	v_mov_b32_e32 v38, 0x78
	s_mov_b64 exec, s[60:61]
; %bb.3224:                             ;   in Loop: Header=BB6_3092 Depth=2
	v_min_i32_e32 v3, 15, v5
	v_lshl_or_b32 v3, v3, 3, v4
	v_and_or_b32 v55, v2, 7, v3
                                        ; implicit-def: $vgpr4
; %bb.3225:                             ;   in Loop: Header=BB6_3092 Depth=2
	s_andn2_saveexec_b64 s[18:19], s[18:19]
; %bb.3226:                             ;   in Loop: Header=BB6_3092 Depth=2
	v_mov_b32_e32 v55, v4
; %bb.3227:                             ;   in Loop: Header=BB6_3092 Depth=2
	s_or_b64 exec, exec, s[18:19]
.LBB6_3228:                             ;   in Loop: Header=BB6_3092 Depth=2
	s_or_b64 exec, exec, s[58:59]
.LBB6_3229:                             ;   in Loop: Header=BB6_3092 Depth=2
	s_andn2_saveexec_b64 s[18:19], s[56:57]
	s_or_b64 exec, exec, s[18:19]
                                        ; implicit-def: $vgpr2
.LBB6_3230:                             ;   in Loop: Header=BB6_3092 Depth=2
	s_andn2_saveexec_b64 s[18:19], s[54:55]
; %bb.3231:                             ;   in Loop: Header=BB6_3092 Depth=2
	v_or_b32_sdwa v2, v2, s71 dst_sel:DWORD dst_unused:UNUSED_PAD src0_sel:BYTE_3 src1_sel:DWORD
	v_cmp_eq_u64_e32 vcc, 0, v[52:53]
	v_cndmask_b32_e32 v55, v2, v55, vcc
; %bb.3232:                             ;   in Loop: Header=BB6_3092 Depth=2
	s_or_b64 exec, exec, s[18:19]
	v_and_b32_e32 v2, 0xff, v18
	v_cmp_ne_u16_e32 vcc, 0, v2
	v_mov_b32_e32 v3, 0
	v_mov_b32_e32 v4, 0
	s_and_saveexec_b64 s[18:19], vcc
	s_cbranch_execz .LBB6_3238
; %bb.3233:                             ;   in Loop: Header=BB6_3092 Depth=2
	v_cmp_ne_u16_e32 vcc, s69, v2
	v_bfrev_b32_e32 v4, 1
	s_and_saveexec_b64 s[54:55], vcc
	s_cbranch_execz .LBB6_3237
; %bb.3234:                             ;   in Loop: Header=BB6_3092 Depth=2
	v_and_b32_e32 v5, 0x7f, v18
	v_cmp_ne_u32_e32 vcc, s71, v5
	v_mov_b32_e32 v4, 0x7f800001
	s_and_saveexec_b64 s[56:57], vcc
	s_cbranch_execz .LBB6_3236
; %bb.3235:                             ;   in Loop: Header=BB6_3092 Depth=2
	v_and_b32_e32 v4, 7, v2
	v_ffbh_u32_e32 v6, v4
	v_min_u32_e32 v9, 32, v6
	v_subrev_u32_e32 v6, 28, v9
	v_lshlrev_b64 v[6:7], v6, v[2:3]
	v_lshrrev_b32_e32 v8, 3, v5
	v_sub_u32_e32 v2, 29, v9
	v_and_b32_e32 v6, 7, v6
	v_cmp_gt_u32_e32 vcc, 8, v5
	v_cndmask_b32_e32 v2, v8, v2, vcc
	v_cndmask_b32_e32 v4, v4, v6, vcc
	v_lshlrev_b32_e32 v5, 24, v18
	v_lshlrev_b32_e32 v4, 20, v4
	v_and_b32_e32 v5, 0x80000000, v5
	v_lshl_add_u32 v2, v2, 23, v29
	v_or3_b32 v4, v5, v2, v4
.LBB6_3236:                             ;   in Loop: Header=BB6_3092 Depth=2
	s_or_b64 exec, exec, s[56:57]
.LBB6_3237:                             ;   in Loop: Header=BB6_3092 Depth=2
	s_or_b64 exec, exec, s[54:55]
.LBB6_3238:                             ;   in Loop: Header=BB6_3092 Depth=2
	s_or_b64 exec, exec, s[18:19]
	v_and_b32_e32 v2, 0xff, v30
	v_cmp_ne_u16_e32 vcc, 0, v2
	s_and_saveexec_b64 s[18:19], vcc
	s_cbranch_execz .LBB6_3244
; %bb.3239:                             ;   in Loop: Header=BB6_3092 Depth=2
	v_cmp_ne_u16_e32 vcc, s69, v2
	v_bfrev_b32_e32 v3, 1
	s_and_saveexec_b64 s[54:55], vcc
	s_cbranch_execz .LBB6_3243
; %bb.3240:                             ;   in Loop: Header=BB6_3092 Depth=2
	v_and_b32_e32 v5, 0x7f, v30
	v_cmp_ne_u32_e32 vcc, s71, v5
	v_mov_b32_e32 v3, 0x7f800001
	s_and_saveexec_b64 s[56:57], vcc
	s_cbranch_execz .LBB6_3242
; %bb.3241:                             ;   in Loop: Header=BB6_3092 Depth=2
	v_and_b32_e32 v6, 7, v2
	v_ffbh_u32_e32 v3, v6
	v_min_u32_e32 v8, 32, v3
	v_subrev_u32_e32 v3, 28, v8
	v_lshlrev_b64 v[2:3], v3, v[2:3]
	v_lshrrev_b32_e32 v7, 3, v5
	v_sub_u32_e32 v3, 29, v8
	v_and_b32_e32 v2, 7, v2
	v_cmp_gt_u32_e32 vcc, 8, v5
	v_cndmask_b32_e32 v3, v7, v3, vcc
	v_cndmask_b32_e32 v2, v6, v2, vcc
	v_lshlrev_b32_e32 v5, 24, v30
	v_lshlrev_b32_e32 v2, 20, v2
	v_and_b32_e32 v5, 0x80000000, v5
	v_lshl_add_u32 v3, v3, 23, v29
	v_or3_b32 v3, v5, v3, v2
.LBB6_3242:                             ;   in Loop: Header=BB6_3092 Depth=2
	s_or_b64 exec, exec, s[56:57]
.LBB6_3243:                             ;   in Loop: Header=BB6_3092 Depth=2
	s_or_b64 exec, exec, s[54:55]
.LBB6_3244:                             ;   in Loop: Header=BB6_3092 Depth=2
	s_or_b64 exec, exec, s[18:19]
	v_add_f32_e32 v2, v4, v3
	v_and_b32_sdwa v4, v2, s69 dst_sel:DWORD dst_unused:UNUSED_PAD src0_sel:BYTE_3 src1_sel:DWORD
	v_and_b32_e32 v6, 0x7f800000, v2
	v_mov_b32_e32 v7, v53
	v_and_b32_e32 v52, 0x7fffff, v2
	v_or_b32_e32 v30, 0x7e, v4
	v_cmp_ne_u64_e32 vcc, s[38:39], v[6:7]
	s_and_saveexec_b64 s[18:19], vcc
	s_xor_b64 s[54:55], exec, s[18:19]
	s_cbranch_execz .LBB6_3258
; %bb.3245:                             ;   in Loop: Header=BB6_3092 Depth=2
	v_and_b32_e32 v6, 0x7fffffff, v2
	v_mov_b32_e32 v7, v53
	v_cmp_gt_u64_e32 vcc, s[40:41], v[6:7]
	s_and_saveexec_b64 s[18:19], vcc
	s_xor_b64 s[56:57], exec, s[18:19]
	s_cbranch_execz .LBB6_3257
; %bb.3246:                             ;   in Loop: Header=BB6_3092 Depth=2
	v_cmp_ne_u32_e32 vcc, 0, v2
	v_mov_b32_e32 v30, 0
	s_and_saveexec_b64 s[58:59], vcc
	s_cbranch_execz .LBB6_3256
; %bb.3247:                             ;   in Loop: Header=BB6_3092 Depth=2
	v_bfe_u32 v2, v2, 23, 8
	v_sub_u32_e32 v5, 0x79, v2
	v_cmp_gt_u32_e32 vcc, s72, v2
	v_cndmask_b32_e32 v5, 0, v5, vcc
	v_cmp_eq_u32_e32 vcc, 0, v2
	v_or_b32_e32 v6, 0x800000, v52
	v_cndmask_b32_e32 v5, v5, v38, vcc
	v_add_u32_e32 v3, 0xffffff81, v2
	v_cndmask_b32_e32 v52, v6, v52, vcc
	v_add_u32_e32 v2, 20, v5
	v_cndmask_b32_e32 v18, v3, v33, vcc
	v_lshlrev_b64 v[2:3], v2, -1
	v_lshrrev_b64 v[8:9], v5, v[52:53]
	v_not_b32_e32 v3, v3
	v_not_b32_e32 v2, v2
	v_add_u32_e32 v6, 19, v5
	v_lshrrev_b32_e32 v19, 23, v8
	v_and_b32_e32 v3, 0, v3
	v_and_b32_e32 v2, v52, v2
	v_lshlrev_b64 v[6:7], v6, 1
	v_add3_u32 v19, v5, v18, v19
	v_bfe_u32 v5, v8, 20, 1
	v_add_u32_e32 v5, -1, v5
	v_cmp_eq_u64_e32 vcc, v[2:3], v[6:7]
	v_cndmask_b32_e32 v2, 0, v5, vcc
	v_add_u32_e32 v2, v2, v8
	v_and_b32_e32 v2, 0xfffff, v2
	v_add_co_u32_e32 v2, vcc, v2, v8
	v_add_u32_e32 v18, 6, v19
	v_addc_co_u32_e32 v3, vcc, 0, v9, vcc
	v_cmp_ne_u32_e32 vcc, 0, v18
                                        ; implicit-def: $vgpr5
	s_and_saveexec_b64 s[18:19], vcc
	s_xor_b64 s[18:19], exec, s[18:19]
; %bb.3248:                             ;   in Loop: Header=BB6_3092 Depth=2
	v_cmp_lt_u64_e32 vcc, s[44:45], v[2:3]
	v_add_u32_e32 v5, 7, v19
	v_cndmask_b32_e64 v6, 0, 1, vcc
	v_cndmask_b32_e32 v5, v18, v5, vcc
	v_lshrrev_b64 v[2:3], v6, v[2:3]
; %bb.3249:                             ;   in Loop: Header=BB6_3092 Depth=2
	s_andn2_saveexec_b64 s[18:19], s[18:19]
; %bb.3250:                             ;   in Loop: Header=BB6_3092 Depth=2
	v_bfe_u32 v5, v2, 23, 1
; %bb.3251:                             ;   in Loop: Header=BB6_3092 Depth=2
	s_or_b64 exec, exec, s[18:19]
	v_lshrrev_b64 v[2:3], 20, v[2:3]
	v_cmp_gt_i32_e32 vcc, 16, v5
	v_cndmask_b32_e32 v3, 0, v3, vcc
	v_cndmask_b32_e32 v2, 7, v2, vcc
	v_cmp_ne_u32_e32 vcc, 0, v5
	v_cmp_ne_u64_e64 s[18:19], 0, v[2:3]
	s_or_b64 s[18:19], vcc, s[18:19]
                                        ; implicit-def: $vgpr30
	s_and_saveexec_b64 vcc, s[18:19]
	s_xor_b64 s[18:19], exec, vcc
; %bb.3252:                             ;   in Loop: Header=BB6_3092 Depth=2
	v_min_i32_e32 v3, 15, v5
	v_lshl_or_b32 v3, v3, 3, v4
	v_and_or_b32 v30, v2, 7, v3
                                        ; implicit-def: $vgpr4
; %bb.3253:                             ;   in Loop: Header=BB6_3092 Depth=2
	s_andn2_saveexec_b64 s[18:19], s[18:19]
; %bb.3254:                             ;   in Loop: Header=BB6_3092 Depth=2
	v_mov_b32_e32 v30, v4
; %bb.3255:                             ;   in Loop: Header=BB6_3092 Depth=2
	s_or_b64 exec, exec, s[18:19]
.LBB6_3256:                             ;   in Loop: Header=BB6_3092 Depth=2
	s_or_b64 exec, exec, s[58:59]
.LBB6_3257:                             ;   in Loop: Header=BB6_3092 Depth=2
	s_andn2_saveexec_b64 s[18:19], s[56:57]
	s_or_b64 exec, exec, s[18:19]
                                        ; implicit-def: $vgpr2
.LBB6_3258:                             ;   in Loop: Header=BB6_3092 Depth=2
	s_andn2_saveexec_b64 s[18:19], s[54:55]
; %bb.3259:                             ;   in Loop: Header=BB6_3092 Depth=2
	v_or_b32_sdwa v2, v2, s71 dst_sel:DWORD dst_unused:UNUSED_PAD src0_sel:BYTE_3 src1_sel:DWORD
	v_cmp_eq_u64_e32 vcc, 0, v[52:53]
	v_cndmask_b32_e32 v30, v2, v30, vcc
; %bb.3260:                             ;   in Loop: Header=BB6_3092 Depth=2
	s_or_b64 exec, exec, s[18:19]
	v_and_b32_e32 v2, 0xff, v59
	v_cmp_ne_u16_e32 vcc, 0, v2
	v_mov_b32_e32 v3, 0
	v_mov_b32_e32 v4, 0
	s_and_saveexec_b64 s[18:19], vcc
	s_cbranch_execz .LBB6_3266
; %bb.3261:                             ;   in Loop: Header=BB6_3092 Depth=2
	v_cmp_ne_u16_e32 vcc, s69, v2
	v_bfrev_b32_e32 v4, 1
	s_and_saveexec_b64 s[54:55], vcc
	s_cbranch_execz .LBB6_3265
; %bb.3262:                             ;   in Loop: Header=BB6_3092 Depth=2
	v_and_b32_e32 v5, 0x7f, v59
	v_cmp_ne_u32_e32 vcc, s71, v5
	v_mov_b32_e32 v4, 0x7f800001
	s_and_saveexec_b64 s[56:57], vcc
	s_cbranch_execz .LBB6_3264
; %bb.3263:                             ;   in Loop: Header=BB6_3092 Depth=2
	v_and_b32_e32 v4, 7, v2
	v_ffbh_u32_e32 v6, v4
	v_min_u32_e32 v9, 32, v6
	v_subrev_u32_e32 v6, 28, v9
	v_lshlrev_b64 v[6:7], v6, v[2:3]
	v_lshrrev_b32_e32 v8, 3, v5
	v_sub_u32_e32 v2, 29, v9
	v_and_b32_e32 v6, 7, v6
	v_cmp_gt_u32_e32 vcc, 8, v5
	v_cndmask_b32_e32 v2, v8, v2, vcc
	v_cndmask_b32_e32 v4, v4, v6, vcc
	v_lshlrev_b32_e32 v5, 24, v59
	v_lshlrev_b32_e32 v4, 20, v4
	v_and_b32_e32 v5, 0x80000000, v5
	v_lshl_add_u32 v2, v2, 23, v29
	v_or3_b32 v4, v5, v2, v4
.LBB6_3264:                             ;   in Loop: Header=BB6_3092 Depth=2
	s_or_b64 exec, exec, s[56:57]
.LBB6_3265:                             ;   in Loop: Header=BB6_3092 Depth=2
	s_or_b64 exec, exec, s[54:55]
.LBB6_3266:                             ;   in Loop: Header=BB6_3092 Depth=2
	s_or_b64 exec, exec, s[18:19]
	v_and_b32_e32 v2, 0xff, v31
	v_cmp_ne_u16_e32 vcc, 0, v2
	s_and_saveexec_b64 s[18:19], vcc
	s_cbranch_execz .LBB6_3272
; %bb.3267:                             ;   in Loop: Header=BB6_3092 Depth=2
	v_cmp_ne_u16_e32 vcc, s69, v2
	v_bfrev_b32_e32 v3, 1
	s_and_saveexec_b64 s[54:55], vcc
	s_cbranch_execz .LBB6_3271
; %bb.3268:                             ;   in Loop: Header=BB6_3092 Depth=2
	v_and_b32_e32 v5, 0x7f, v31
	v_cmp_ne_u32_e32 vcc, s71, v5
	v_mov_b32_e32 v3, 0x7f800001
	s_and_saveexec_b64 s[56:57], vcc
	s_cbranch_execz .LBB6_3270
; %bb.3269:                             ;   in Loop: Header=BB6_3092 Depth=2
	v_and_b32_e32 v6, 7, v2
	v_ffbh_u32_e32 v3, v6
	v_min_u32_e32 v8, 32, v3
	v_subrev_u32_e32 v3, 28, v8
	v_lshlrev_b64 v[2:3], v3, v[2:3]
	v_lshrrev_b32_e32 v7, 3, v5
	v_sub_u32_e32 v3, 29, v8
	v_and_b32_e32 v2, 7, v2
	v_cmp_gt_u32_e32 vcc, 8, v5
	v_cndmask_b32_e32 v3, v7, v3, vcc
	v_cndmask_b32_e32 v2, v6, v2, vcc
	v_lshlrev_b32_e32 v5, 24, v31
	v_lshlrev_b32_e32 v2, 20, v2
	v_and_b32_e32 v5, 0x80000000, v5
	v_lshl_add_u32 v3, v3, 23, v29
	v_or3_b32 v3, v5, v3, v2
.LBB6_3270:                             ;   in Loop: Header=BB6_3092 Depth=2
	s_or_b64 exec, exec, s[56:57]
.LBB6_3271:                             ;   in Loop: Header=BB6_3092 Depth=2
	s_or_b64 exec, exec, s[54:55]
.LBB6_3272:                             ;   in Loop: Header=BB6_3092 Depth=2
	s_or_b64 exec, exec, s[18:19]
	v_add_f32_e32 v2, v4, v3
	v_and_b32_sdwa v4, v2, s69 dst_sel:DWORD dst_unused:UNUSED_PAD src0_sel:BYTE_3 src1_sel:DWORD
	v_and_b32_e32 v6, 0x7f800000, v2
	v_mov_b32_e32 v7, v53
	v_and_b32_e32 v52, 0x7fffff, v2
	v_or_b32_e32 v31, 0x7e, v4
	v_cmp_ne_u64_e32 vcc, s[38:39], v[6:7]
	s_and_saveexec_b64 s[18:19], vcc
	s_xor_b64 s[54:55], exec, s[18:19]
	s_cbranch_execz .LBB6_3286
; %bb.3273:                             ;   in Loop: Header=BB6_3092 Depth=2
	v_and_b32_e32 v6, 0x7fffffff, v2
	v_mov_b32_e32 v7, v53
	v_cmp_gt_u64_e32 vcc, s[40:41], v[6:7]
	s_and_saveexec_b64 s[18:19], vcc
	s_xor_b64 s[56:57], exec, s[18:19]
	s_cbranch_execz .LBB6_3285
; %bb.3274:                             ;   in Loop: Header=BB6_3092 Depth=2
	v_cmp_ne_u32_e32 vcc, 0, v2
	v_mov_b32_e32 v31, 0
	s_and_saveexec_b64 s[58:59], vcc
	s_cbranch_execz .LBB6_3284
; %bb.3275:                             ;   in Loop: Header=BB6_3092 Depth=2
	v_bfe_u32 v2, v2, 23, 8
	v_sub_u32_e32 v5, 0x79, v2
	v_cmp_gt_u32_e32 vcc, s72, v2
	v_cndmask_b32_e32 v5, 0, v5, vcc
	v_cmp_eq_u32_e32 vcc, 0, v2
	v_or_b32_e32 v6, 0x800000, v52
	v_cndmask_b32_e32 v5, v5, v38, vcc
	v_add_u32_e32 v3, 0xffffff81, v2
	v_cndmask_b32_e32 v52, v6, v52, vcc
	v_add_u32_e32 v2, 20, v5
	v_cndmask_b32_e32 v18, v3, v33, vcc
	v_lshlrev_b64 v[2:3], v2, -1
	v_lshrrev_b64 v[8:9], v5, v[52:53]
	v_not_b32_e32 v3, v3
	v_not_b32_e32 v2, v2
	v_add_u32_e32 v6, 19, v5
	v_lshrrev_b32_e32 v19, 23, v8
	v_and_b32_e32 v3, 0, v3
	v_and_b32_e32 v2, v52, v2
	v_lshlrev_b64 v[6:7], v6, 1
	v_add3_u32 v19, v5, v18, v19
	v_bfe_u32 v5, v8, 20, 1
	v_add_u32_e32 v5, -1, v5
	v_cmp_eq_u64_e32 vcc, v[2:3], v[6:7]
	v_cndmask_b32_e32 v2, 0, v5, vcc
	v_add_u32_e32 v2, v2, v8
	v_and_b32_e32 v2, 0xfffff, v2
	v_add_co_u32_e32 v2, vcc, v2, v8
	v_add_u32_e32 v18, 6, v19
	v_addc_co_u32_e32 v3, vcc, 0, v9, vcc
	v_cmp_ne_u32_e32 vcc, 0, v18
                                        ; implicit-def: $vgpr5
	s_and_saveexec_b64 s[18:19], vcc
	s_xor_b64 s[18:19], exec, s[18:19]
; %bb.3276:                             ;   in Loop: Header=BB6_3092 Depth=2
	v_cmp_lt_u64_e32 vcc, s[44:45], v[2:3]
	v_add_u32_e32 v5, 7, v19
	v_cndmask_b32_e64 v6, 0, 1, vcc
	v_cndmask_b32_e32 v5, v18, v5, vcc
	v_lshrrev_b64 v[2:3], v6, v[2:3]
; %bb.3277:                             ;   in Loop: Header=BB6_3092 Depth=2
	s_andn2_saveexec_b64 s[18:19], s[18:19]
; %bb.3278:                             ;   in Loop: Header=BB6_3092 Depth=2
	v_bfe_u32 v5, v2, 23, 1
; %bb.3279:                             ;   in Loop: Header=BB6_3092 Depth=2
	s_or_b64 exec, exec, s[18:19]
	v_lshrrev_b64 v[2:3], 20, v[2:3]
	v_cmp_gt_i32_e32 vcc, 16, v5
	v_cndmask_b32_e32 v3, 0, v3, vcc
	v_cndmask_b32_e32 v2, 7, v2, vcc
	v_cmp_ne_u32_e32 vcc, 0, v5
	v_cmp_ne_u64_e64 s[18:19], 0, v[2:3]
	s_or_b64 s[18:19], vcc, s[18:19]
                                        ; implicit-def: $vgpr31
	s_and_saveexec_b64 vcc, s[18:19]
	s_xor_b64 s[18:19], exec, vcc
; %bb.3280:                             ;   in Loop: Header=BB6_3092 Depth=2
	v_min_i32_e32 v3, 15, v5
	v_lshl_or_b32 v3, v3, 3, v4
	v_and_or_b32 v31, v2, 7, v3
                                        ; implicit-def: $vgpr4
; %bb.3281:                             ;   in Loop: Header=BB6_3092 Depth=2
	s_andn2_saveexec_b64 s[18:19], s[18:19]
; %bb.3282:                             ;   in Loop: Header=BB6_3092 Depth=2
	v_mov_b32_e32 v31, v4
; %bb.3283:                             ;   in Loop: Header=BB6_3092 Depth=2
	s_or_b64 exec, exec, s[18:19]
.LBB6_3284:                             ;   in Loop: Header=BB6_3092 Depth=2
	s_or_b64 exec, exec, s[58:59]
.LBB6_3285:                             ;   in Loop: Header=BB6_3092 Depth=2
	s_andn2_saveexec_b64 s[18:19], s[56:57]
	s_or_b64 exec, exec, s[18:19]
                                        ; implicit-def: $vgpr2
.LBB6_3286:                             ;   in Loop: Header=BB6_3092 Depth=2
	s_andn2_saveexec_b64 s[18:19], s[54:55]
; %bb.3287:                             ;   in Loop: Header=BB6_3092 Depth=2
	v_or_b32_sdwa v2, v2, s71 dst_sel:DWORD dst_unused:UNUSED_PAD src0_sel:BYTE_3 src1_sel:DWORD
	v_cmp_eq_u64_e32 vcc, 0, v[52:53]
	v_cndmask_b32_e32 v31, v2, v31, vcc
; %bb.3288:                             ;   in Loop: Header=BB6_3092 Depth=2
	s_or_b64 exec, exec, s[18:19]
	v_and_b32_e32 v2, 0xff, v56
	v_cmp_ne_u16_e32 vcc, 0, v2
	v_mov_b32_e32 v3, 0
	v_mov_b32_e32 v4, 0
	s_and_saveexec_b64 s[18:19], vcc
	s_cbranch_execz .LBB6_3294
; %bb.3289:                             ;   in Loop: Header=BB6_3092 Depth=2
	v_cmp_ne_u16_e32 vcc, s69, v2
	v_bfrev_b32_e32 v4, 1
	s_and_saveexec_b64 s[54:55], vcc
	s_cbranch_execz .LBB6_3293
; %bb.3290:                             ;   in Loop: Header=BB6_3092 Depth=2
	v_and_b32_e32 v5, 0x7f, v56
	v_cmp_ne_u32_e32 vcc, s71, v5
	v_mov_b32_e32 v4, 0x7f800001
	s_and_saveexec_b64 s[56:57], vcc
	s_cbranch_execz .LBB6_3292
; %bb.3291:                             ;   in Loop: Header=BB6_3092 Depth=2
	v_and_b32_e32 v4, 7, v2
	v_ffbh_u32_e32 v6, v4
	v_min_u32_e32 v9, 32, v6
	v_subrev_u32_e32 v6, 28, v9
	v_lshlrev_b64 v[6:7], v6, v[2:3]
	v_lshrrev_b32_e32 v8, 3, v5
	v_sub_u32_e32 v2, 29, v9
	v_and_b32_e32 v6, 7, v6
	v_cmp_gt_u32_e32 vcc, 8, v5
	v_cndmask_b32_e32 v2, v8, v2, vcc
	v_cndmask_b32_e32 v4, v4, v6, vcc
	v_lshlrev_b32_e32 v5, 24, v56
	v_lshlrev_b32_e32 v4, 20, v4
	v_and_b32_e32 v5, 0x80000000, v5
	v_lshl_add_u32 v2, v2, 23, v29
	v_or3_b32 v4, v5, v2, v4
.LBB6_3292:                             ;   in Loop: Header=BB6_3092 Depth=2
	s_or_b64 exec, exec, s[56:57]
.LBB6_3293:                             ;   in Loop: Header=BB6_3092 Depth=2
	s_or_b64 exec, exec, s[54:55]
.LBB6_3294:                             ;   in Loop: Header=BB6_3092 Depth=2
	s_or_b64 exec, exec, s[18:19]
	v_and_b32_e32 v2, 0xff, v51
	v_cmp_ne_u16_e32 vcc, 0, v2
	s_and_saveexec_b64 s[18:19], vcc
	s_cbranch_execz .LBB6_3300
; %bb.3295:                             ;   in Loop: Header=BB6_3092 Depth=2
	v_cmp_ne_u16_e32 vcc, s69, v2
	v_bfrev_b32_e32 v3, 1
	s_and_saveexec_b64 s[54:55], vcc
	s_cbranch_execz .LBB6_3299
; %bb.3296:                             ;   in Loop: Header=BB6_3092 Depth=2
	v_and_b32_e32 v5, 0x7f, v51
	v_cmp_ne_u32_e32 vcc, s71, v5
	v_mov_b32_e32 v3, 0x7f800001
	s_and_saveexec_b64 s[56:57], vcc
	s_cbranch_execz .LBB6_3298
; %bb.3297:                             ;   in Loop: Header=BB6_3092 Depth=2
	v_and_b32_e32 v6, 7, v2
	v_ffbh_u32_e32 v3, v6
	v_min_u32_e32 v8, 32, v3
	v_subrev_u32_e32 v3, 28, v8
	v_lshlrev_b64 v[2:3], v3, v[2:3]
	v_lshrrev_b32_e32 v7, 3, v5
	v_sub_u32_e32 v3, 29, v8
	v_and_b32_e32 v2, 7, v2
	v_cmp_gt_u32_e32 vcc, 8, v5
	v_cndmask_b32_e32 v3, v7, v3, vcc
	v_cndmask_b32_e32 v2, v6, v2, vcc
	v_lshlrev_b32_e32 v5, 24, v51
	v_lshlrev_b32_e32 v2, 20, v2
	v_and_b32_e32 v5, 0x80000000, v5
	v_lshl_add_u32 v3, v3, 23, v29
	v_or3_b32 v3, v5, v3, v2
.LBB6_3298:                             ;   in Loop: Header=BB6_3092 Depth=2
	s_or_b64 exec, exec, s[56:57]
.LBB6_3299:                             ;   in Loop: Header=BB6_3092 Depth=2
	s_or_b64 exec, exec, s[54:55]
.LBB6_3300:                             ;   in Loop: Header=BB6_3092 Depth=2
	s_or_b64 exec, exec, s[18:19]
	v_add_f32_e32 v2, v4, v3
	v_and_b32_sdwa v4, v2, s69 dst_sel:DWORD dst_unused:UNUSED_PAD src0_sel:BYTE_3 src1_sel:DWORD
	v_and_b32_e32 v6, 0x7f800000, v2
	v_mov_b32_e32 v7, v53
	v_and_b32_e32 v52, 0x7fffff, v2
	v_or_b32_e32 v56, 0x7e, v4
	v_cmp_ne_u64_e32 vcc, s[38:39], v[6:7]
	s_and_saveexec_b64 s[18:19], vcc
	s_xor_b64 s[54:55], exec, s[18:19]
	s_cbranch_execz .LBB6_3314
; %bb.3301:                             ;   in Loop: Header=BB6_3092 Depth=2
	v_and_b32_e32 v6, 0x7fffffff, v2
	v_mov_b32_e32 v7, v53
	v_cmp_gt_u64_e32 vcc, s[40:41], v[6:7]
	s_and_saveexec_b64 s[18:19], vcc
	s_xor_b64 s[56:57], exec, s[18:19]
	s_cbranch_execz .LBB6_3313
; %bb.3302:                             ;   in Loop: Header=BB6_3092 Depth=2
	v_cmp_ne_u32_e32 vcc, 0, v2
	v_mov_b32_e32 v56, 0
	s_and_saveexec_b64 s[58:59], vcc
	s_cbranch_execz .LBB6_3312
; %bb.3303:                             ;   in Loop: Header=BB6_3092 Depth=2
	v_bfe_u32 v2, v2, 23, 8
	v_sub_u32_e32 v5, 0x79, v2
	v_cmp_gt_u32_e32 vcc, s72, v2
	v_cndmask_b32_e32 v5, 0, v5, vcc
	v_cmp_eq_u32_e32 vcc, 0, v2
	v_or_b32_e32 v6, 0x800000, v52
	v_cndmask_b32_e32 v5, v5, v38, vcc
	v_add_u32_e32 v3, 0xffffff81, v2
	v_cndmask_b32_e32 v52, v6, v52, vcc
	v_add_u32_e32 v2, 20, v5
	v_cndmask_b32_e32 v18, v3, v33, vcc
	v_lshlrev_b64 v[2:3], v2, -1
	v_lshrrev_b64 v[8:9], v5, v[52:53]
	v_not_b32_e32 v3, v3
	v_not_b32_e32 v2, v2
	v_add_u32_e32 v6, 19, v5
	v_lshrrev_b32_e32 v19, 23, v8
	v_and_b32_e32 v3, 0, v3
	v_and_b32_e32 v2, v52, v2
	v_lshlrev_b64 v[6:7], v6, 1
	v_add3_u32 v19, v5, v18, v19
	v_bfe_u32 v5, v8, 20, 1
	v_add_u32_e32 v5, -1, v5
	v_cmp_eq_u64_e32 vcc, v[2:3], v[6:7]
	v_cndmask_b32_e32 v2, 0, v5, vcc
	v_add_u32_e32 v2, v2, v8
	v_and_b32_e32 v2, 0xfffff, v2
	v_add_co_u32_e32 v2, vcc, v2, v8
	v_add_u32_e32 v18, 6, v19
	v_addc_co_u32_e32 v3, vcc, 0, v9, vcc
	v_cmp_ne_u32_e32 vcc, 0, v18
                                        ; implicit-def: $vgpr5
	s_and_saveexec_b64 s[18:19], vcc
	s_xor_b64 s[18:19], exec, s[18:19]
; %bb.3304:                             ;   in Loop: Header=BB6_3092 Depth=2
	v_cmp_lt_u64_e32 vcc, s[44:45], v[2:3]
	v_add_u32_e32 v5, 7, v19
	v_cndmask_b32_e64 v6, 0, 1, vcc
	v_cndmask_b32_e32 v5, v18, v5, vcc
	v_lshrrev_b64 v[2:3], v6, v[2:3]
; %bb.3305:                             ;   in Loop: Header=BB6_3092 Depth=2
	s_andn2_saveexec_b64 s[18:19], s[18:19]
; %bb.3306:                             ;   in Loop: Header=BB6_3092 Depth=2
	v_bfe_u32 v5, v2, 23, 1
; %bb.3307:                             ;   in Loop: Header=BB6_3092 Depth=2
	s_or_b64 exec, exec, s[18:19]
	v_lshrrev_b64 v[2:3], 20, v[2:3]
	v_cmp_gt_i32_e32 vcc, 16, v5
	v_cndmask_b32_e32 v3, 0, v3, vcc
	v_cndmask_b32_e32 v2, 7, v2, vcc
	v_cmp_ne_u32_e32 vcc, 0, v5
	v_cmp_ne_u64_e64 s[18:19], 0, v[2:3]
	s_or_b64 s[18:19], vcc, s[18:19]
                                        ; implicit-def: $vgpr56
	s_and_saveexec_b64 vcc, s[18:19]
	s_xor_b64 s[18:19], exec, vcc
; %bb.3308:                             ;   in Loop: Header=BB6_3092 Depth=2
	v_min_i32_e32 v3, 15, v5
	v_lshl_or_b32 v3, v3, 3, v4
	v_and_or_b32 v56, v2, 7, v3
                                        ; implicit-def: $vgpr4
; %bb.3309:                             ;   in Loop: Header=BB6_3092 Depth=2
	s_andn2_saveexec_b64 s[18:19], s[18:19]
; %bb.3310:                             ;   in Loop: Header=BB6_3092 Depth=2
	v_mov_b32_e32 v56, v4
; %bb.3311:                             ;   in Loop: Header=BB6_3092 Depth=2
	s_or_b64 exec, exec, s[18:19]
.LBB6_3312:                             ;   in Loop: Header=BB6_3092 Depth=2
	s_or_b64 exec, exec, s[58:59]
.LBB6_3313:                             ;   in Loop: Header=BB6_3092 Depth=2
	s_andn2_saveexec_b64 s[18:19], s[56:57]
	s_or_b64 exec, exec, s[18:19]
                                        ; implicit-def: $vgpr2
.LBB6_3314:                             ;   in Loop: Header=BB6_3092 Depth=2
	s_andn2_saveexec_b64 s[18:19], s[54:55]
; %bb.3315:                             ;   in Loop: Header=BB6_3092 Depth=2
	v_or_b32_sdwa v2, v2, s71 dst_sel:DWORD dst_unused:UNUSED_PAD src0_sel:BYTE_3 src1_sel:DWORD
	v_cmp_eq_u64_e32 vcc, 0, v[52:53]
	v_cndmask_b32_e32 v56, v2, v56, vcc
; %bb.3316:                             ;   in Loop: Header=BB6_3092 Depth=2
	s_or_b64 exec, exec, s[18:19]
	v_and_b32_e32 v2, 0xff, v58
	v_cmp_ne_u16_e32 vcc, 0, v2
	v_mov_b32_e32 v3, 0
	v_mov_b32_e32 v4, 0
	s_and_saveexec_b64 s[18:19], vcc
	s_cbranch_execz .LBB6_3322
; %bb.3317:                             ;   in Loop: Header=BB6_3092 Depth=2
	v_cmp_ne_u16_e32 vcc, s69, v2
	v_bfrev_b32_e32 v4, 1
	s_and_saveexec_b64 s[54:55], vcc
	s_cbranch_execz .LBB6_3321
; %bb.3318:                             ;   in Loop: Header=BB6_3092 Depth=2
	v_and_b32_e32 v5, 0x7f, v58
	v_cmp_ne_u32_e32 vcc, s71, v5
	v_mov_b32_e32 v4, 0x7f800001
	s_and_saveexec_b64 s[56:57], vcc
	s_cbranch_execz .LBB6_3320
; %bb.3319:                             ;   in Loop: Header=BB6_3092 Depth=2
	v_and_b32_e32 v4, 7, v2
	v_ffbh_u32_e32 v6, v4
	v_min_u32_e32 v9, 32, v6
	v_subrev_u32_e32 v6, 28, v9
	v_lshlrev_b64 v[6:7], v6, v[2:3]
	v_lshrrev_b32_e32 v8, 3, v5
	v_sub_u32_e32 v2, 29, v9
	v_and_b32_e32 v6, 7, v6
	v_cmp_gt_u32_e32 vcc, 8, v5
	v_cndmask_b32_e32 v2, v8, v2, vcc
	v_cndmask_b32_e32 v4, v4, v6, vcc
	v_lshlrev_b32_e32 v5, 24, v58
	v_lshlrev_b32_e32 v4, 20, v4
	v_and_b32_e32 v5, 0x80000000, v5
	v_lshl_add_u32 v2, v2, 23, v29
	v_or3_b32 v4, v5, v2, v4
.LBB6_3320:                             ;   in Loop: Header=BB6_3092 Depth=2
	s_or_b64 exec, exec, s[56:57]
.LBB6_3321:                             ;   in Loop: Header=BB6_3092 Depth=2
	s_or_b64 exec, exec, s[54:55]
.LBB6_3322:                             ;   in Loop: Header=BB6_3092 Depth=2
	s_or_b64 exec, exec, s[18:19]
	v_and_b32_e32 v2, 0xff, v57
	v_cmp_ne_u16_e32 vcc, 0, v2
	s_and_saveexec_b64 s[18:19], vcc
	s_cbranch_execz .LBB6_3328
; %bb.3323:                             ;   in Loop: Header=BB6_3092 Depth=2
	v_cmp_ne_u16_e32 vcc, s69, v2
	v_bfrev_b32_e32 v3, 1
	s_and_saveexec_b64 s[54:55], vcc
	s_cbranch_execz .LBB6_3327
; %bb.3324:                             ;   in Loop: Header=BB6_3092 Depth=2
	v_and_b32_e32 v5, 0x7f, v57
	v_cmp_ne_u32_e32 vcc, s71, v5
	v_mov_b32_e32 v3, 0x7f800001
	s_and_saveexec_b64 s[56:57], vcc
	s_cbranch_execz .LBB6_3326
; %bb.3325:                             ;   in Loop: Header=BB6_3092 Depth=2
	v_and_b32_e32 v6, 7, v2
	v_ffbh_u32_e32 v3, v6
	v_min_u32_e32 v8, 32, v3
	v_subrev_u32_e32 v3, 28, v8
	v_lshlrev_b64 v[2:3], v3, v[2:3]
	v_lshrrev_b32_e32 v7, 3, v5
	v_sub_u32_e32 v3, 29, v8
	v_and_b32_e32 v2, 7, v2
	v_cmp_gt_u32_e32 vcc, 8, v5
	v_cndmask_b32_e32 v3, v7, v3, vcc
	v_cndmask_b32_e32 v2, v6, v2, vcc
	v_lshlrev_b32_e32 v5, 24, v57
	v_lshlrev_b32_e32 v2, 20, v2
	v_and_b32_e32 v5, 0x80000000, v5
	v_lshl_add_u32 v3, v3, 23, v29
	v_or3_b32 v3, v5, v3, v2
.LBB6_3326:                             ;   in Loop: Header=BB6_3092 Depth=2
	s_or_b64 exec, exec, s[56:57]
.LBB6_3327:                             ;   in Loop: Header=BB6_3092 Depth=2
	s_or_b64 exec, exec, s[54:55]
.LBB6_3328:                             ;   in Loop: Header=BB6_3092 Depth=2
	s_or_b64 exec, exec, s[18:19]
	v_add_f32_e32 v2, v4, v3
	v_and_b32_sdwa v4, v2, s69 dst_sel:DWORD dst_unused:UNUSED_PAD src0_sel:BYTE_3 src1_sel:DWORD
	v_and_b32_e32 v6, 0x7f800000, v2
	v_mov_b32_e32 v7, v53
	v_and_b32_e32 v52, 0x7fffff, v2
	v_or_b32_e32 v51, 0x7e, v4
	v_cmp_ne_u64_e32 vcc, s[38:39], v[6:7]
	s_and_saveexec_b64 s[18:19], vcc
	s_xor_b64 s[54:55], exec, s[18:19]
	s_cbranch_execz .LBB6_3342
; %bb.3329:                             ;   in Loop: Header=BB6_3092 Depth=2
	v_and_b32_e32 v6, 0x7fffffff, v2
	v_mov_b32_e32 v7, v53
	v_cmp_gt_u64_e32 vcc, s[40:41], v[6:7]
	s_and_saveexec_b64 s[18:19], vcc
	s_xor_b64 s[56:57], exec, s[18:19]
	s_cbranch_execz .LBB6_3341
; %bb.3330:                             ;   in Loop: Header=BB6_3092 Depth=2
	v_cmp_ne_u32_e32 vcc, 0, v2
	v_mov_b32_e32 v51, 0
	s_and_saveexec_b64 s[58:59], vcc
	s_cbranch_execz .LBB6_3340
; %bb.3331:                             ;   in Loop: Header=BB6_3092 Depth=2
	v_bfe_u32 v2, v2, 23, 8
	v_sub_u32_e32 v5, 0x79, v2
	v_cmp_gt_u32_e32 vcc, s72, v2
	v_cndmask_b32_e32 v5, 0, v5, vcc
	v_cmp_eq_u32_e32 vcc, 0, v2
	v_or_b32_e32 v6, 0x800000, v52
	v_cndmask_b32_e32 v5, v5, v38, vcc
	v_add_u32_e32 v3, 0xffffff81, v2
	v_cndmask_b32_e32 v52, v6, v52, vcc
	v_add_u32_e32 v2, 20, v5
	v_cndmask_b32_e32 v18, v3, v33, vcc
	v_lshlrev_b64 v[2:3], v2, -1
	v_lshrrev_b64 v[8:9], v5, v[52:53]
	v_not_b32_e32 v3, v3
	v_not_b32_e32 v2, v2
	v_add_u32_e32 v6, 19, v5
	v_lshrrev_b32_e32 v19, 23, v8
	v_and_b32_e32 v3, 0, v3
	v_and_b32_e32 v2, v52, v2
	v_lshlrev_b64 v[6:7], v6, 1
	v_add3_u32 v19, v5, v18, v19
	v_bfe_u32 v5, v8, 20, 1
	v_add_u32_e32 v5, -1, v5
	v_cmp_eq_u64_e32 vcc, v[2:3], v[6:7]
	v_cndmask_b32_e32 v2, 0, v5, vcc
	v_add_u32_e32 v2, v2, v8
	v_and_b32_e32 v2, 0xfffff, v2
	v_add_co_u32_e32 v2, vcc, v2, v8
	v_add_u32_e32 v18, 6, v19
	v_addc_co_u32_e32 v3, vcc, 0, v9, vcc
	v_cmp_ne_u32_e32 vcc, 0, v18
                                        ; implicit-def: $vgpr5
	s_and_saveexec_b64 s[18:19], vcc
	s_xor_b64 s[18:19], exec, s[18:19]
; %bb.3332:                             ;   in Loop: Header=BB6_3092 Depth=2
	v_cmp_lt_u64_e32 vcc, s[44:45], v[2:3]
	v_add_u32_e32 v5, 7, v19
	v_cndmask_b32_e64 v6, 0, 1, vcc
	v_cndmask_b32_e32 v5, v18, v5, vcc
	v_lshrrev_b64 v[2:3], v6, v[2:3]
; %bb.3333:                             ;   in Loop: Header=BB6_3092 Depth=2
	s_andn2_saveexec_b64 s[18:19], s[18:19]
; %bb.3334:                             ;   in Loop: Header=BB6_3092 Depth=2
	v_bfe_u32 v5, v2, 23, 1
; %bb.3335:                             ;   in Loop: Header=BB6_3092 Depth=2
	s_or_b64 exec, exec, s[18:19]
	v_lshrrev_b64 v[2:3], 20, v[2:3]
	v_cmp_gt_i32_e32 vcc, 16, v5
	v_cndmask_b32_e32 v3, 0, v3, vcc
	v_cndmask_b32_e32 v2, 7, v2, vcc
	v_cmp_ne_u32_e32 vcc, 0, v5
	v_cmp_ne_u64_e64 s[18:19], 0, v[2:3]
	s_or_b64 s[18:19], vcc, s[18:19]
                                        ; implicit-def: $vgpr51
	s_and_saveexec_b64 vcc, s[18:19]
	s_xor_b64 s[18:19], exec, vcc
; %bb.3336:                             ;   in Loop: Header=BB6_3092 Depth=2
	v_min_i32_e32 v3, 15, v5
	v_lshl_or_b32 v3, v3, 3, v4
	v_and_or_b32 v51, v2, 7, v3
                                        ; implicit-def: $vgpr4
; %bb.3337:                             ;   in Loop: Header=BB6_3092 Depth=2
	s_andn2_saveexec_b64 s[18:19], s[18:19]
; %bb.3338:                             ;   in Loop: Header=BB6_3092 Depth=2
	v_mov_b32_e32 v51, v4
; %bb.3339:                             ;   in Loop: Header=BB6_3092 Depth=2
	s_or_b64 exec, exec, s[18:19]
.LBB6_3340:                             ;   in Loop: Header=BB6_3092 Depth=2
	s_or_b64 exec, exec, s[58:59]
.LBB6_3341:                             ;   in Loop: Header=BB6_3092 Depth=2
	s_andn2_saveexec_b64 s[18:19], s[56:57]
	s_or_b64 exec, exec, s[18:19]
                                        ; implicit-def: $vgpr2
.LBB6_3342:                             ;   in Loop: Header=BB6_3092 Depth=2
	s_andn2_saveexec_b64 s[18:19], s[54:55]
; %bb.3343:                             ;   in Loop: Header=BB6_3092 Depth=2
	v_or_b32_sdwa v2, v2, s71 dst_sel:DWORD dst_unused:UNUSED_PAD src0_sel:BYTE_3 src1_sel:DWORD
	v_cmp_eq_u64_e32 vcc, 0, v[52:53]
	v_cndmask_b32_e32 v51, v2, v51, vcc
; %bb.3344:                             ;   in Loop: Header=BB6_3092 Depth=2
	s_or_b64 exec, exec, s[18:19]
	v_and_b32_e32 v2, 0xff, v47
	v_cmp_ne_u16_e32 vcc, 0, v2
	v_mov_b32_e32 v3, 0
	v_mov_b32_e32 v4, 0
	s_and_saveexec_b64 s[18:19], vcc
	s_cbranch_execz .LBB6_3350
; %bb.3345:                             ;   in Loop: Header=BB6_3092 Depth=2
	v_cmp_ne_u16_e32 vcc, s69, v2
	v_bfrev_b32_e32 v4, 1
	s_and_saveexec_b64 s[54:55], vcc
	s_cbranch_execz .LBB6_3349
; %bb.3346:                             ;   in Loop: Header=BB6_3092 Depth=2
	v_and_b32_e32 v5, 0x7f, v47
	v_cmp_ne_u32_e32 vcc, s71, v5
	v_mov_b32_e32 v4, 0x7f800001
	s_and_saveexec_b64 s[56:57], vcc
	s_cbranch_execz .LBB6_3348
; %bb.3347:                             ;   in Loop: Header=BB6_3092 Depth=2
	v_and_b32_e32 v4, 7, v2
	v_ffbh_u32_e32 v6, v4
	v_min_u32_e32 v9, 32, v6
	v_subrev_u32_e32 v6, 28, v9
	v_lshlrev_b64 v[6:7], v6, v[2:3]
	v_lshrrev_b32_e32 v8, 3, v5
	v_sub_u32_e32 v2, 29, v9
	v_and_b32_e32 v6, 7, v6
	v_cmp_gt_u32_e32 vcc, 8, v5
	v_cndmask_b32_e32 v2, v8, v2, vcc
	v_cndmask_b32_e32 v4, v4, v6, vcc
	v_lshlrev_b32_e32 v5, 24, v47
	v_lshlrev_b32_e32 v4, 20, v4
	v_and_b32_e32 v5, 0x80000000, v5
	v_lshl_add_u32 v2, v2, 23, v29
	v_or3_b32 v4, v5, v2, v4
.LBB6_3348:                             ;   in Loop: Header=BB6_3092 Depth=2
	s_or_b64 exec, exec, s[56:57]
.LBB6_3349:                             ;   in Loop: Header=BB6_3092 Depth=2
	s_or_b64 exec, exec, s[54:55]
.LBB6_3350:                             ;   in Loop: Header=BB6_3092 Depth=2
	s_or_b64 exec, exec, s[18:19]
	v_and_b32_e32 v2, 0xff, v46
	v_cmp_ne_u16_e32 vcc, 0, v2
	s_and_saveexec_b64 s[18:19], vcc
	s_cbranch_execz .LBB6_3356
; %bb.3351:                             ;   in Loop: Header=BB6_3092 Depth=2
	v_cmp_ne_u16_e32 vcc, s69, v2
	v_bfrev_b32_e32 v3, 1
	s_and_saveexec_b64 s[54:55], vcc
	s_cbranch_execz .LBB6_3355
; %bb.3352:                             ;   in Loop: Header=BB6_3092 Depth=2
	v_and_b32_e32 v5, 0x7f, v46
	v_cmp_ne_u32_e32 vcc, s71, v5
	v_mov_b32_e32 v3, 0x7f800001
	s_and_saveexec_b64 s[56:57], vcc
	s_cbranch_execz .LBB6_3354
; %bb.3353:                             ;   in Loop: Header=BB6_3092 Depth=2
	v_and_b32_e32 v6, 7, v2
	v_ffbh_u32_e32 v3, v6
	v_min_u32_e32 v8, 32, v3
	v_subrev_u32_e32 v3, 28, v8
	v_lshlrev_b64 v[2:3], v3, v[2:3]
	v_lshrrev_b32_e32 v7, 3, v5
	v_sub_u32_e32 v3, 29, v8
	v_and_b32_e32 v2, 7, v2
	v_cmp_gt_u32_e32 vcc, 8, v5
	v_cndmask_b32_e32 v3, v7, v3, vcc
	v_cndmask_b32_e32 v2, v6, v2, vcc
	v_lshlrev_b32_e32 v5, 24, v46
	v_lshlrev_b32_e32 v2, 20, v2
	v_and_b32_e32 v5, 0x80000000, v5
	v_lshl_add_u32 v3, v3, 23, v29
	v_or3_b32 v3, v5, v3, v2
.LBB6_3354:                             ;   in Loop: Header=BB6_3092 Depth=2
	s_or_b64 exec, exec, s[56:57]
.LBB6_3355:                             ;   in Loop: Header=BB6_3092 Depth=2
	s_or_b64 exec, exec, s[54:55]
.LBB6_3356:                             ;   in Loop: Header=BB6_3092 Depth=2
	s_or_b64 exec, exec, s[18:19]
	v_add_f32_e32 v2, v4, v3
	v_and_b32_sdwa v4, v2, s69 dst_sel:DWORD dst_unused:UNUSED_PAD src0_sel:BYTE_3 src1_sel:DWORD
	v_and_b32_e32 v6, 0x7f800000, v2
	v_mov_b32_e32 v7, v53
	v_and_b32_e32 v52, 0x7fffff, v2
	v_or_b32_e32 v46, 0x7e, v4
	v_cmp_ne_u64_e32 vcc, s[38:39], v[6:7]
	s_and_saveexec_b64 s[18:19], vcc
	s_xor_b64 s[54:55], exec, s[18:19]
	s_cbranch_execz .LBB6_3370
; %bb.3357:                             ;   in Loop: Header=BB6_3092 Depth=2
	v_and_b32_e32 v6, 0x7fffffff, v2
	v_mov_b32_e32 v7, v53
	v_cmp_gt_u64_e32 vcc, s[40:41], v[6:7]
	s_and_saveexec_b64 s[18:19], vcc
	s_xor_b64 s[56:57], exec, s[18:19]
	s_cbranch_execz .LBB6_3369
; %bb.3358:                             ;   in Loop: Header=BB6_3092 Depth=2
	v_cmp_ne_u32_e32 vcc, 0, v2
	v_mov_b32_e32 v46, 0
	s_and_saveexec_b64 s[58:59], vcc
	s_cbranch_execz .LBB6_3368
; %bb.3359:                             ;   in Loop: Header=BB6_3092 Depth=2
	v_bfe_u32 v2, v2, 23, 8
	v_sub_u32_e32 v5, 0x79, v2
	v_cmp_gt_u32_e32 vcc, s72, v2
	v_cndmask_b32_e32 v5, 0, v5, vcc
	v_cmp_eq_u32_e32 vcc, 0, v2
	v_or_b32_e32 v6, 0x800000, v52
	v_cndmask_b32_e32 v5, v5, v38, vcc
	v_add_u32_e32 v3, 0xffffff81, v2
	v_cndmask_b32_e32 v52, v6, v52, vcc
	v_add_u32_e32 v2, 20, v5
	v_cndmask_b32_e32 v18, v3, v33, vcc
	v_lshlrev_b64 v[2:3], v2, -1
	v_lshrrev_b64 v[8:9], v5, v[52:53]
	v_not_b32_e32 v3, v3
	v_not_b32_e32 v2, v2
	v_add_u32_e32 v6, 19, v5
	v_lshrrev_b32_e32 v19, 23, v8
	v_and_b32_e32 v3, 0, v3
	v_and_b32_e32 v2, v52, v2
	v_lshlrev_b64 v[6:7], v6, 1
	v_add3_u32 v19, v5, v18, v19
	v_bfe_u32 v5, v8, 20, 1
	v_add_u32_e32 v5, -1, v5
	v_cmp_eq_u64_e32 vcc, v[2:3], v[6:7]
	v_cndmask_b32_e32 v2, 0, v5, vcc
	v_add_u32_e32 v2, v2, v8
	v_and_b32_e32 v2, 0xfffff, v2
	v_add_co_u32_e32 v2, vcc, v2, v8
	v_add_u32_e32 v18, 6, v19
	v_addc_co_u32_e32 v3, vcc, 0, v9, vcc
	v_cmp_ne_u32_e32 vcc, 0, v18
                                        ; implicit-def: $vgpr5
	s_and_saveexec_b64 s[18:19], vcc
	s_xor_b64 s[18:19], exec, s[18:19]
; %bb.3360:                             ;   in Loop: Header=BB6_3092 Depth=2
	v_cmp_lt_u64_e32 vcc, s[44:45], v[2:3]
	v_add_u32_e32 v5, 7, v19
	v_cndmask_b32_e64 v6, 0, 1, vcc
	v_cndmask_b32_e32 v5, v18, v5, vcc
	v_lshrrev_b64 v[2:3], v6, v[2:3]
; %bb.3361:                             ;   in Loop: Header=BB6_3092 Depth=2
	s_andn2_saveexec_b64 s[18:19], s[18:19]
; %bb.3362:                             ;   in Loop: Header=BB6_3092 Depth=2
	v_bfe_u32 v5, v2, 23, 1
; %bb.3363:                             ;   in Loop: Header=BB6_3092 Depth=2
	s_or_b64 exec, exec, s[18:19]
	v_lshrrev_b64 v[2:3], 20, v[2:3]
	v_cmp_gt_i32_e32 vcc, 16, v5
	v_cndmask_b32_e32 v3, 0, v3, vcc
	v_cndmask_b32_e32 v2, 7, v2, vcc
	v_cmp_ne_u32_e32 vcc, 0, v5
	v_cmp_ne_u64_e64 s[18:19], 0, v[2:3]
	s_or_b64 s[18:19], vcc, s[18:19]
                                        ; implicit-def: $vgpr46
	s_and_saveexec_b64 vcc, s[18:19]
	s_xor_b64 s[18:19], exec, vcc
; %bb.3364:                             ;   in Loop: Header=BB6_3092 Depth=2
	v_min_i32_e32 v3, 15, v5
	v_lshl_or_b32 v3, v3, 3, v4
	v_and_or_b32 v46, v2, 7, v3
                                        ; implicit-def: $vgpr4
; %bb.3365:                             ;   in Loop: Header=BB6_3092 Depth=2
	s_andn2_saveexec_b64 s[18:19], s[18:19]
; %bb.3366:                             ;   in Loop: Header=BB6_3092 Depth=2
	v_mov_b32_e32 v46, v4
; %bb.3367:                             ;   in Loop: Header=BB6_3092 Depth=2
	s_or_b64 exec, exec, s[18:19]
.LBB6_3368:                             ;   in Loop: Header=BB6_3092 Depth=2
	s_or_b64 exec, exec, s[58:59]
.LBB6_3369:                             ;   in Loop: Header=BB6_3092 Depth=2
	s_andn2_saveexec_b64 s[18:19], s[56:57]
	s_or_b64 exec, exec, s[18:19]
                                        ; implicit-def: $vgpr2
.LBB6_3370:                             ;   in Loop: Header=BB6_3092 Depth=2
	s_andn2_saveexec_b64 s[18:19], s[54:55]
; %bb.3371:                             ;   in Loop: Header=BB6_3092 Depth=2
	v_or_b32_sdwa v2, v2, s71 dst_sel:DWORD dst_unused:UNUSED_PAD src0_sel:BYTE_3 src1_sel:DWORD
	v_cmp_eq_u64_e32 vcc, 0, v[52:53]
	v_cndmask_b32_e32 v46, v2, v46, vcc
; %bb.3372:                             ;   in Loop: Header=BB6_3092 Depth=2
	s_or_b64 exec, exec, s[18:19]
	v_and_b32_e32 v2, 0xff, v45
	v_cmp_ne_u16_e32 vcc, 0, v2
	v_mov_b32_e32 v3, 0
	v_mov_b32_e32 v4, 0
	s_and_saveexec_b64 s[18:19], vcc
	s_cbranch_execz .LBB6_3378
; %bb.3373:                             ;   in Loop: Header=BB6_3092 Depth=2
	v_cmp_ne_u16_e32 vcc, s69, v2
	v_bfrev_b32_e32 v4, 1
	s_and_saveexec_b64 s[54:55], vcc
	s_cbranch_execz .LBB6_3377
; %bb.3374:                             ;   in Loop: Header=BB6_3092 Depth=2
	v_and_b32_e32 v5, 0x7f, v45
	v_cmp_ne_u32_e32 vcc, s71, v5
	v_mov_b32_e32 v4, 0x7f800001
	s_and_saveexec_b64 s[56:57], vcc
	s_cbranch_execz .LBB6_3376
; %bb.3375:                             ;   in Loop: Header=BB6_3092 Depth=2
	v_and_b32_e32 v4, 7, v2
	v_ffbh_u32_e32 v6, v4
	v_min_u32_e32 v9, 32, v6
	v_subrev_u32_e32 v6, 28, v9
	v_lshlrev_b64 v[6:7], v6, v[2:3]
	v_lshrrev_b32_e32 v8, 3, v5
	v_sub_u32_e32 v2, 29, v9
	v_and_b32_e32 v6, 7, v6
	v_cmp_gt_u32_e32 vcc, 8, v5
	v_cndmask_b32_e32 v2, v8, v2, vcc
	v_cndmask_b32_e32 v4, v4, v6, vcc
	v_lshlrev_b32_e32 v5, 24, v45
	v_lshlrev_b32_e32 v4, 20, v4
	v_and_b32_e32 v5, 0x80000000, v5
	v_lshl_add_u32 v2, v2, 23, v29
	v_or3_b32 v4, v5, v2, v4
.LBB6_3376:                             ;   in Loop: Header=BB6_3092 Depth=2
	s_or_b64 exec, exec, s[56:57]
.LBB6_3377:                             ;   in Loop: Header=BB6_3092 Depth=2
	s_or_b64 exec, exec, s[54:55]
.LBB6_3378:                             ;   in Loop: Header=BB6_3092 Depth=2
	s_or_b64 exec, exec, s[18:19]
	v_and_b32_e32 v2, 0xff, v44
	v_cmp_ne_u16_e32 vcc, 0, v2
	s_and_saveexec_b64 s[18:19], vcc
	s_cbranch_execz .LBB6_3384
; %bb.3379:                             ;   in Loop: Header=BB6_3092 Depth=2
	v_cmp_ne_u16_e32 vcc, s69, v2
	v_bfrev_b32_e32 v3, 1
	s_and_saveexec_b64 s[54:55], vcc
	s_cbranch_execz .LBB6_3383
; %bb.3380:                             ;   in Loop: Header=BB6_3092 Depth=2
	v_and_b32_e32 v5, 0x7f, v44
	v_cmp_ne_u32_e32 vcc, s71, v5
	v_mov_b32_e32 v3, 0x7f800001
	s_and_saveexec_b64 s[56:57], vcc
	s_cbranch_execz .LBB6_3382
; %bb.3381:                             ;   in Loop: Header=BB6_3092 Depth=2
	v_and_b32_e32 v6, 7, v2
	v_ffbh_u32_e32 v3, v6
	v_min_u32_e32 v8, 32, v3
	v_subrev_u32_e32 v3, 28, v8
	v_lshlrev_b64 v[2:3], v3, v[2:3]
	v_lshrrev_b32_e32 v7, 3, v5
	v_sub_u32_e32 v3, 29, v8
	v_and_b32_e32 v2, 7, v2
	v_cmp_gt_u32_e32 vcc, 8, v5
	v_cndmask_b32_e32 v3, v7, v3, vcc
	v_cndmask_b32_e32 v2, v6, v2, vcc
	v_lshlrev_b32_e32 v5, 24, v44
	v_lshlrev_b32_e32 v2, 20, v2
	v_and_b32_e32 v5, 0x80000000, v5
	v_lshl_add_u32 v3, v3, 23, v29
	v_or3_b32 v3, v5, v3, v2
.LBB6_3382:                             ;   in Loop: Header=BB6_3092 Depth=2
	s_or_b64 exec, exec, s[56:57]
.LBB6_3383:                             ;   in Loop: Header=BB6_3092 Depth=2
	s_or_b64 exec, exec, s[54:55]
.LBB6_3384:                             ;   in Loop: Header=BB6_3092 Depth=2
	s_or_b64 exec, exec, s[18:19]
	v_add_f32_e32 v2, v4, v3
	v_and_b32_sdwa v4, v2, s69 dst_sel:DWORD dst_unused:UNUSED_PAD src0_sel:BYTE_3 src1_sel:DWORD
	v_and_b32_e32 v6, 0x7f800000, v2
	v_mov_b32_e32 v7, v53
	v_and_b32_e32 v52, 0x7fffff, v2
	v_or_b32_e32 v44, 0x7e, v4
	v_cmp_ne_u64_e32 vcc, s[38:39], v[6:7]
	s_and_saveexec_b64 s[18:19], vcc
	s_xor_b64 s[54:55], exec, s[18:19]
	s_cbranch_execz .LBB6_3398
; %bb.3385:                             ;   in Loop: Header=BB6_3092 Depth=2
	v_and_b32_e32 v6, 0x7fffffff, v2
	v_mov_b32_e32 v7, v53
	v_cmp_gt_u64_e32 vcc, s[40:41], v[6:7]
	s_and_saveexec_b64 s[18:19], vcc
	s_xor_b64 s[56:57], exec, s[18:19]
	s_cbranch_execz .LBB6_3397
; %bb.3386:                             ;   in Loop: Header=BB6_3092 Depth=2
	v_cmp_ne_u32_e32 vcc, 0, v2
	v_mov_b32_e32 v44, 0
	s_and_saveexec_b64 s[58:59], vcc
	s_cbranch_execz .LBB6_3396
; %bb.3387:                             ;   in Loop: Header=BB6_3092 Depth=2
	v_bfe_u32 v2, v2, 23, 8
	v_sub_u32_e32 v5, 0x79, v2
	v_cmp_gt_u32_e32 vcc, s72, v2
	v_cndmask_b32_e32 v5, 0, v5, vcc
	v_cmp_eq_u32_e32 vcc, 0, v2
	v_or_b32_e32 v6, 0x800000, v52
	v_cndmask_b32_e32 v5, v5, v38, vcc
	v_add_u32_e32 v3, 0xffffff81, v2
	v_cndmask_b32_e32 v52, v6, v52, vcc
	v_add_u32_e32 v2, 20, v5
	v_cndmask_b32_e32 v18, v3, v33, vcc
	v_lshlrev_b64 v[2:3], v2, -1
	v_lshrrev_b64 v[8:9], v5, v[52:53]
	v_not_b32_e32 v3, v3
	v_not_b32_e32 v2, v2
	v_add_u32_e32 v6, 19, v5
	v_lshrrev_b32_e32 v19, 23, v8
	v_and_b32_e32 v3, 0, v3
	v_and_b32_e32 v2, v52, v2
	v_lshlrev_b64 v[6:7], v6, 1
	v_add3_u32 v19, v5, v18, v19
	v_bfe_u32 v5, v8, 20, 1
	v_add_u32_e32 v5, -1, v5
	v_cmp_eq_u64_e32 vcc, v[2:3], v[6:7]
	v_cndmask_b32_e32 v2, 0, v5, vcc
	v_add_u32_e32 v2, v2, v8
	v_and_b32_e32 v2, 0xfffff, v2
	v_add_co_u32_e32 v2, vcc, v2, v8
	v_add_u32_e32 v18, 6, v19
	v_addc_co_u32_e32 v3, vcc, 0, v9, vcc
	v_cmp_ne_u32_e32 vcc, 0, v18
                                        ; implicit-def: $vgpr5
	s_and_saveexec_b64 s[18:19], vcc
	s_xor_b64 s[18:19], exec, s[18:19]
; %bb.3388:                             ;   in Loop: Header=BB6_3092 Depth=2
	v_cmp_lt_u64_e32 vcc, s[44:45], v[2:3]
	v_add_u32_e32 v5, 7, v19
	v_cndmask_b32_e64 v6, 0, 1, vcc
	v_cndmask_b32_e32 v5, v18, v5, vcc
	v_lshrrev_b64 v[2:3], v6, v[2:3]
; %bb.3389:                             ;   in Loop: Header=BB6_3092 Depth=2
	s_andn2_saveexec_b64 s[18:19], s[18:19]
; %bb.3390:                             ;   in Loop: Header=BB6_3092 Depth=2
	v_bfe_u32 v5, v2, 23, 1
; %bb.3391:                             ;   in Loop: Header=BB6_3092 Depth=2
	s_or_b64 exec, exec, s[18:19]
	v_lshrrev_b64 v[2:3], 20, v[2:3]
	v_cmp_gt_i32_e32 vcc, 16, v5
	v_cndmask_b32_e32 v3, 0, v3, vcc
	v_cndmask_b32_e32 v2, 7, v2, vcc
	v_cmp_ne_u32_e32 vcc, 0, v5
	v_cmp_ne_u64_e64 s[18:19], 0, v[2:3]
	s_or_b64 s[18:19], vcc, s[18:19]
                                        ; implicit-def: $vgpr44
	s_and_saveexec_b64 vcc, s[18:19]
	s_xor_b64 s[18:19], exec, vcc
; %bb.3392:                             ;   in Loop: Header=BB6_3092 Depth=2
	v_min_i32_e32 v3, 15, v5
	v_lshl_or_b32 v3, v3, 3, v4
	v_and_or_b32 v44, v2, 7, v3
                                        ; implicit-def: $vgpr4
; %bb.3393:                             ;   in Loop: Header=BB6_3092 Depth=2
	s_andn2_saveexec_b64 s[18:19], s[18:19]
; %bb.3394:                             ;   in Loop: Header=BB6_3092 Depth=2
	v_mov_b32_e32 v44, v4
; %bb.3395:                             ;   in Loop: Header=BB6_3092 Depth=2
	s_or_b64 exec, exec, s[18:19]
.LBB6_3396:                             ;   in Loop: Header=BB6_3092 Depth=2
	s_or_b64 exec, exec, s[58:59]
.LBB6_3397:                             ;   in Loop: Header=BB6_3092 Depth=2
	s_andn2_saveexec_b64 s[18:19], s[56:57]
	s_or_b64 exec, exec, s[18:19]
                                        ; implicit-def: $vgpr2
.LBB6_3398:                             ;   in Loop: Header=BB6_3092 Depth=2
	s_andn2_saveexec_b64 s[18:19], s[54:55]
; %bb.3399:                             ;   in Loop: Header=BB6_3092 Depth=2
	v_or_b32_sdwa v2, v2, s71 dst_sel:DWORD dst_unused:UNUSED_PAD src0_sel:BYTE_3 src1_sel:DWORD
	v_cmp_eq_u64_e32 vcc, 0, v[52:53]
	v_cndmask_b32_e32 v44, v2, v44, vcc
; %bb.3400:                             ;   in Loop: Header=BB6_3092 Depth=2
	s_or_b64 exec, exec, s[18:19]
	v_and_b32_e32 v2, 0xff, v41
	v_cmp_ne_u16_e32 vcc, 0, v2
	v_mov_b32_e32 v3, 0
	v_mov_b32_e32 v4, 0
	s_and_saveexec_b64 s[18:19], vcc
	s_cbranch_execz .LBB6_3406
; %bb.3401:                             ;   in Loop: Header=BB6_3092 Depth=2
	v_cmp_ne_u16_e32 vcc, s69, v2
	v_bfrev_b32_e32 v4, 1
	s_and_saveexec_b64 s[54:55], vcc
	s_cbranch_execz .LBB6_3405
; %bb.3402:                             ;   in Loop: Header=BB6_3092 Depth=2
	v_and_b32_e32 v5, 0x7f, v41
	v_cmp_ne_u32_e32 vcc, s71, v5
	v_mov_b32_e32 v4, 0x7f800001
	s_and_saveexec_b64 s[56:57], vcc
	s_cbranch_execz .LBB6_3404
; %bb.3403:                             ;   in Loop: Header=BB6_3092 Depth=2
	v_and_b32_e32 v4, 7, v2
	v_ffbh_u32_e32 v6, v4
	v_min_u32_e32 v9, 32, v6
	v_subrev_u32_e32 v6, 28, v9
	v_lshlrev_b64 v[6:7], v6, v[2:3]
	v_lshrrev_b32_e32 v8, 3, v5
	v_sub_u32_e32 v2, 29, v9
	v_and_b32_e32 v6, 7, v6
	v_cmp_gt_u32_e32 vcc, 8, v5
	v_cndmask_b32_e32 v2, v8, v2, vcc
	v_cndmask_b32_e32 v4, v4, v6, vcc
	v_lshlrev_b32_e32 v5, 24, v41
	v_lshlrev_b32_e32 v4, 20, v4
	v_and_b32_e32 v5, 0x80000000, v5
	v_lshl_add_u32 v2, v2, 23, v29
	v_or3_b32 v4, v5, v2, v4
.LBB6_3404:                             ;   in Loop: Header=BB6_3092 Depth=2
	s_or_b64 exec, exec, s[56:57]
.LBB6_3405:                             ;   in Loop: Header=BB6_3092 Depth=2
	s_or_b64 exec, exec, s[54:55]
.LBB6_3406:                             ;   in Loop: Header=BB6_3092 Depth=2
	s_or_b64 exec, exec, s[18:19]
	v_and_b32_e32 v2, 0xff, v40
	v_cmp_ne_u16_e32 vcc, 0, v2
	s_and_saveexec_b64 s[18:19], vcc
	s_cbranch_execz .LBB6_3412
; %bb.3407:                             ;   in Loop: Header=BB6_3092 Depth=2
	v_cmp_ne_u16_e32 vcc, s69, v2
	v_bfrev_b32_e32 v3, 1
	s_and_saveexec_b64 s[54:55], vcc
	s_cbranch_execz .LBB6_3411
; %bb.3408:                             ;   in Loop: Header=BB6_3092 Depth=2
	v_and_b32_e32 v5, 0x7f, v40
	v_cmp_ne_u32_e32 vcc, s71, v5
	v_mov_b32_e32 v3, 0x7f800001
	s_and_saveexec_b64 s[56:57], vcc
	s_cbranch_execz .LBB6_3410
; %bb.3409:                             ;   in Loop: Header=BB6_3092 Depth=2
	v_and_b32_e32 v6, 7, v2
	v_ffbh_u32_e32 v3, v6
	v_min_u32_e32 v8, 32, v3
	v_subrev_u32_e32 v3, 28, v8
	v_lshlrev_b64 v[2:3], v3, v[2:3]
	v_lshrrev_b32_e32 v7, 3, v5
	v_sub_u32_e32 v3, 29, v8
	v_and_b32_e32 v2, 7, v2
	v_cmp_gt_u32_e32 vcc, 8, v5
	v_cndmask_b32_e32 v3, v7, v3, vcc
	v_cndmask_b32_e32 v2, v6, v2, vcc
	v_lshlrev_b32_e32 v5, 24, v40
	v_lshlrev_b32_e32 v2, 20, v2
	v_and_b32_e32 v5, 0x80000000, v5
	v_lshl_add_u32 v3, v3, 23, v29
	v_or3_b32 v3, v5, v3, v2
.LBB6_3410:                             ;   in Loop: Header=BB6_3092 Depth=2
	s_or_b64 exec, exec, s[56:57]
.LBB6_3411:                             ;   in Loop: Header=BB6_3092 Depth=2
	s_or_b64 exec, exec, s[54:55]
.LBB6_3412:                             ;   in Loop: Header=BB6_3092 Depth=2
	s_or_b64 exec, exec, s[18:19]
	v_add_f32_e32 v2, v4, v3
	v_and_b32_sdwa v4, v2, s69 dst_sel:DWORD dst_unused:UNUSED_PAD src0_sel:BYTE_3 src1_sel:DWORD
	v_and_b32_e32 v6, 0x7f800000, v2
	v_mov_b32_e32 v7, v53
	v_and_b32_e32 v52, 0x7fffff, v2
	v_or_b32_e32 v18, 0x7e, v4
	v_cmp_ne_u64_e32 vcc, s[38:39], v[6:7]
	s_and_saveexec_b64 s[18:19], vcc
	s_xor_b64 s[54:55], exec, s[18:19]
	s_cbranch_execz .LBB6_3426
; %bb.3413:                             ;   in Loop: Header=BB6_3092 Depth=2
	v_and_b32_e32 v6, 0x7fffffff, v2
	v_mov_b32_e32 v7, v53
	v_cmp_gt_u64_e32 vcc, s[40:41], v[6:7]
	s_and_saveexec_b64 s[18:19], vcc
	s_xor_b64 s[56:57], exec, s[18:19]
	s_cbranch_execz .LBB6_3425
; %bb.3414:                             ;   in Loop: Header=BB6_3092 Depth=2
	v_cmp_ne_u32_e32 vcc, 0, v2
	v_mov_b32_e32 v18, 0
	s_and_saveexec_b64 s[58:59], vcc
	s_cbranch_execz .LBB6_3424
; %bb.3415:                             ;   in Loop: Header=BB6_3092 Depth=2
	v_bfe_u32 v2, v2, 23, 8
	v_sub_u32_e32 v5, 0x79, v2
	v_cmp_gt_u32_e32 vcc, s72, v2
	v_cndmask_b32_e32 v5, 0, v5, vcc
	v_cmp_eq_u32_e32 vcc, 0, v2
	v_or_b32_e32 v6, 0x800000, v52
	v_cndmask_b32_e32 v5, v5, v38, vcc
	v_add_u32_e32 v3, 0xffffff81, v2
	v_cndmask_b32_e32 v52, v6, v52, vcc
	v_add_u32_e32 v2, 20, v5
	v_cndmask_b32_e32 v18, v3, v33, vcc
	v_lshlrev_b64 v[2:3], v2, -1
	v_lshrrev_b64 v[8:9], v5, v[52:53]
	v_not_b32_e32 v3, v3
	v_not_b32_e32 v2, v2
	v_add_u32_e32 v6, 19, v5
	v_lshrrev_b32_e32 v19, 23, v8
	v_and_b32_e32 v3, 0, v3
	v_and_b32_e32 v2, v52, v2
	v_lshlrev_b64 v[6:7], v6, 1
	v_add3_u32 v19, v5, v18, v19
	v_bfe_u32 v5, v8, 20, 1
	v_add_u32_e32 v5, -1, v5
	v_cmp_eq_u64_e32 vcc, v[2:3], v[6:7]
	v_cndmask_b32_e32 v2, 0, v5, vcc
	v_add_u32_e32 v2, v2, v8
	v_and_b32_e32 v2, 0xfffff, v2
	v_add_co_u32_e32 v2, vcc, v2, v8
	v_add_u32_e32 v18, 6, v19
	v_addc_co_u32_e32 v3, vcc, 0, v9, vcc
	v_cmp_ne_u32_e32 vcc, 0, v18
                                        ; implicit-def: $vgpr5
	s_and_saveexec_b64 s[18:19], vcc
	s_xor_b64 s[18:19], exec, s[18:19]
; %bb.3416:                             ;   in Loop: Header=BB6_3092 Depth=2
	v_cmp_lt_u64_e32 vcc, s[44:45], v[2:3]
	v_add_u32_e32 v5, 7, v19
	v_cndmask_b32_e64 v6, 0, 1, vcc
	v_cndmask_b32_e32 v5, v18, v5, vcc
	v_lshrrev_b64 v[2:3], v6, v[2:3]
; %bb.3417:                             ;   in Loop: Header=BB6_3092 Depth=2
	s_andn2_saveexec_b64 s[18:19], s[18:19]
; %bb.3418:                             ;   in Loop: Header=BB6_3092 Depth=2
	v_bfe_u32 v5, v2, 23, 1
; %bb.3419:                             ;   in Loop: Header=BB6_3092 Depth=2
	s_or_b64 exec, exec, s[18:19]
	v_lshrrev_b64 v[2:3], 20, v[2:3]
	v_cmp_gt_i32_e32 vcc, 16, v5
	v_cndmask_b32_e32 v3, 0, v3, vcc
	v_cndmask_b32_e32 v2, 7, v2, vcc
	v_cmp_ne_u32_e32 vcc, 0, v5
	v_cmp_ne_u64_e64 s[18:19], 0, v[2:3]
	s_or_b64 s[18:19], vcc, s[18:19]
                                        ; implicit-def: $vgpr18
	s_and_saveexec_b64 vcc, s[18:19]
	s_xor_b64 s[18:19], exec, vcc
; %bb.3420:                             ;   in Loop: Header=BB6_3092 Depth=2
	v_min_i32_e32 v3, 15, v5
	v_lshl_or_b32 v3, v3, 3, v4
	v_and_or_b32 v18, v2, 7, v3
                                        ; implicit-def: $vgpr4
; %bb.3421:                             ;   in Loop: Header=BB6_3092 Depth=2
	s_andn2_saveexec_b64 s[18:19], s[18:19]
; %bb.3422:                             ;   in Loop: Header=BB6_3092 Depth=2
	v_mov_b32_e32 v18, v4
; %bb.3423:                             ;   in Loop: Header=BB6_3092 Depth=2
	s_or_b64 exec, exec, s[18:19]
.LBB6_3424:                             ;   in Loop: Header=BB6_3092 Depth=2
	s_or_b64 exec, exec, s[58:59]
.LBB6_3425:                             ;   in Loop: Header=BB6_3092 Depth=2
	s_andn2_saveexec_b64 s[18:19], s[56:57]
	s_or_b64 exec, exec, s[18:19]
                                        ; implicit-def: $vgpr2
.LBB6_3426:                             ;   in Loop: Header=BB6_3092 Depth=2
	s_andn2_saveexec_b64 s[18:19], s[54:55]
; %bb.3427:                             ;   in Loop: Header=BB6_3092 Depth=2
	v_or_b32_sdwa v2, v2, s71 dst_sel:DWORD dst_unused:UNUSED_PAD src0_sel:BYTE_3 src1_sel:DWORD
	v_cmp_eq_u64_e32 vcc, 0, v[52:53]
	v_cndmask_b32_e32 v18, v2, v18, vcc
; %bb.3428:                             ;   in Loop: Header=BB6_3092 Depth=2
	s_or_b64 exec, exec, s[18:19]
	v_and_b32_e32 v2, 0xff, v50
	v_cmp_ne_u16_e32 vcc, 0, v2
	v_mov_b32_e32 v3, 0
	v_mov_b32_e32 v4, 0
	s_and_saveexec_b64 s[18:19], vcc
	s_cbranch_execz .LBB6_3434
; %bb.3429:                             ;   in Loop: Header=BB6_3092 Depth=2
	v_cmp_ne_u16_e32 vcc, s69, v2
	v_bfrev_b32_e32 v4, 1
	s_and_saveexec_b64 s[54:55], vcc
	s_cbranch_execz .LBB6_3433
; %bb.3430:                             ;   in Loop: Header=BB6_3092 Depth=2
	v_and_b32_e32 v5, 0x7f, v50
	v_cmp_ne_u32_e32 vcc, s71, v5
	v_mov_b32_e32 v4, 0x7f800001
	s_and_saveexec_b64 s[56:57], vcc
	s_cbranch_execz .LBB6_3432
; %bb.3431:                             ;   in Loop: Header=BB6_3092 Depth=2
	v_and_b32_e32 v4, 7, v2
	v_ffbh_u32_e32 v6, v4
	v_min_u32_e32 v9, 32, v6
	v_subrev_u32_e32 v6, 28, v9
	v_lshlrev_b64 v[6:7], v6, v[2:3]
	v_lshrrev_b32_e32 v8, 3, v5
	v_sub_u32_e32 v2, 29, v9
	v_and_b32_e32 v6, 7, v6
	v_cmp_gt_u32_e32 vcc, 8, v5
	v_cndmask_b32_e32 v2, v8, v2, vcc
	v_cndmask_b32_e32 v4, v4, v6, vcc
	v_lshlrev_b32_e32 v5, 24, v50
	v_lshlrev_b32_e32 v4, 20, v4
	v_and_b32_e32 v5, 0x80000000, v5
	v_lshl_add_u32 v2, v2, 23, v29
	v_or3_b32 v4, v5, v2, v4
.LBB6_3432:                             ;   in Loop: Header=BB6_3092 Depth=2
	s_or_b64 exec, exec, s[56:57]
.LBB6_3433:                             ;   in Loop: Header=BB6_3092 Depth=2
	s_or_b64 exec, exec, s[54:55]
.LBB6_3434:                             ;   in Loop: Header=BB6_3092 Depth=2
	s_or_b64 exec, exec, s[18:19]
	v_and_b32_e32 v2, 0xff, v35
	v_cmp_ne_u16_e32 vcc, 0, v2
	s_and_saveexec_b64 s[18:19], vcc
	s_cbranch_execz .LBB6_3440
; %bb.3435:                             ;   in Loop: Header=BB6_3092 Depth=2
	v_cmp_ne_u16_e32 vcc, s69, v2
	v_bfrev_b32_e32 v3, 1
	s_and_saveexec_b64 s[54:55], vcc
	s_cbranch_execz .LBB6_3439
; %bb.3436:                             ;   in Loop: Header=BB6_3092 Depth=2
	v_and_b32_e32 v5, 0x7f, v35
	v_cmp_ne_u32_e32 vcc, s71, v5
	v_mov_b32_e32 v3, 0x7f800001
	s_and_saveexec_b64 s[56:57], vcc
	s_cbranch_execz .LBB6_3438
; %bb.3437:                             ;   in Loop: Header=BB6_3092 Depth=2
	v_and_b32_e32 v6, 7, v2
	v_ffbh_u32_e32 v3, v6
	v_min_u32_e32 v8, 32, v3
	v_subrev_u32_e32 v3, 28, v8
	v_lshlrev_b64 v[2:3], v3, v[2:3]
	v_lshrrev_b32_e32 v7, 3, v5
	v_sub_u32_e32 v3, 29, v8
	v_and_b32_e32 v2, 7, v2
	v_cmp_gt_u32_e32 vcc, 8, v5
	v_cndmask_b32_e32 v3, v7, v3, vcc
	v_cndmask_b32_e32 v2, v6, v2, vcc
	v_lshlrev_b32_e32 v5, 24, v35
	v_lshlrev_b32_e32 v2, 20, v2
	v_and_b32_e32 v5, 0x80000000, v5
	v_lshl_add_u32 v3, v3, 23, v29
	v_or3_b32 v3, v5, v3, v2
.LBB6_3438:                             ;   in Loop: Header=BB6_3092 Depth=2
	s_or_b64 exec, exec, s[56:57]
.LBB6_3439:                             ;   in Loop: Header=BB6_3092 Depth=2
	s_or_b64 exec, exec, s[54:55]
.LBB6_3440:                             ;   in Loop: Header=BB6_3092 Depth=2
	s_or_b64 exec, exec, s[18:19]
	v_add_f32_e32 v2, v4, v3
	v_and_b32_sdwa v5, v2, s69 dst_sel:DWORD dst_unused:UNUSED_PAD src0_sel:BYTE_3 src1_sel:DWORD
	v_and_b32_e32 v6, 0x7f800000, v2
	v_mov_b32_e32 v7, v53
	v_and_b32_e32 v52, 0x7fffff, v2
	v_or_b32_e32 v4, 0x7e, v5
	v_cmp_ne_u64_e32 vcc, s[38:39], v[6:7]
	s_and_saveexec_b64 s[18:19], vcc
	s_xor_b64 s[54:55], exec, s[18:19]
	s_cbranch_execz .LBB6_3454
; %bb.3441:                             ;   in Loop: Header=BB6_3092 Depth=2
	v_and_b32_e32 v6, 0x7fffffff, v2
	v_mov_b32_e32 v7, v53
	v_cmp_gt_u64_e32 vcc, s[40:41], v[6:7]
	s_and_saveexec_b64 s[18:19], vcc
	s_xor_b64 s[56:57], exec, s[18:19]
	s_cbranch_execz .LBB6_3453
; %bb.3442:                             ;   in Loop: Header=BB6_3092 Depth=2
	v_cmp_ne_u32_e32 vcc, 0, v2
	v_mov_b32_e32 v4, 0
	s_and_saveexec_b64 s[58:59], vcc
	s_cbranch_execz .LBB6_3452
; %bb.3443:                             ;   in Loop: Header=BB6_3092 Depth=2
	v_bfe_u32 v2, v2, 23, 8
	v_sub_u32_e32 v4, 0x79, v2
	v_cmp_gt_u32_e32 vcc, s72, v2
	v_cndmask_b32_e32 v4, 0, v4, vcc
	v_cmp_eq_u32_e32 vcc, 0, v2
	v_or_b32_e32 v6, 0x800000, v52
	v_cndmask_b32_e32 v4, v4, v38, vcc
	v_add_u32_e32 v3, 0xffffff81, v2
	v_cndmask_b32_e32 v52, v6, v52, vcc
	v_add_u32_e32 v2, 20, v4
	v_cndmask_b32_e32 v19, v3, v33, vcc
	v_lshlrev_b64 v[2:3], v2, -1
	v_lshrrev_b64 v[8:9], v4, v[52:53]
	v_not_b32_e32 v3, v3
	v_not_b32_e32 v2, v2
	v_add_u32_e32 v6, 19, v4
	v_lshrrev_b32_e32 v32, 23, v8
	v_and_b32_e32 v3, 0, v3
	v_and_b32_e32 v2, v52, v2
	v_lshlrev_b64 v[6:7], v6, 1
	v_add3_u32 v35, v4, v19, v32
	v_bfe_u32 v19, v8, 20, 1
	v_add_u32_e32 v19, -1, v19
	v_cmp_eq_u64_e32 vcc, v[2:3], v[6:7]
	v_cndmask_b32_e32 v2, 0, v19, vcc
	v_add_u32_e32 v2, v2, v8
	v_and_b32_e32 v2, 0xfffff, v2
	v_add_co_u32_e32 v2, vcc, v2, v8
	v_add_u32_e32 v4, 6, v35
	v_addc_co_u32_e32 v3, vcc, 0, v9, vcc
	v_cmp_ne_u32_e32 vcc, 0, v4
                                        ; implicit-def: $vgpr19
	s_and_saveexec_b64 s[18:19], vcc
	s_xor_b64 s[18:19], exec, s[18:19]
; %bb.3444:                             ;   in Loop: Header=BB6_3092 Depth=2
	v_add_u32_e32 v6, 7, v35
	v_cmp_lt_u64_e32 vcc, s[44:45], v[2:3]
	v_cndmask_b32_e32 v19, v4, v6, vcc
	v_cndmask_b32_e64 v4, 0, 1, vcc
	v_lshrrev_b64 v[2:3], v4, v[2:3]
; %bb.3445:                             ;   in Loop: Header=BB6_3092 Depth=2
	s_andn2_saveexec_b64 s[18:19], s[18:19]
; %bb.3446:                             ;   in Loop: Header=BB6_3092 Depth=2
	v_bfe_u32 v19, v2, 23, 1
; %bb.3447:                             ;   in Loop: Header=BB6_3092 Depth=2
	s_or_b64 exec, exec, s[18:19]
	v_lshrrev_b64 v[2:3], 20, v[2:3]
	v_cmp_gt_i32_e32 vcc, 16, v19
	v_cndmask_b32_e32 v3, 0, v3, vcc
	v_cndmask_b32_e32 v2, 7, v2, vcc
	v_cmp_ne_u32_e32 vcc, 0, v19
	v_cmp_ne_u64_e64 s[18:19], 0, v[2:3]
	s_or_b64 s[18:19], vcc, s[18:19]
                                        ; implicit-def: $vgpr4
	s_and_saveexec_b64 vcc, s[18:19]
	s_xor_b64 s[18:19], exec, vcc
; %bb.3448:                             ;   in Loop: Header=BB6_3092 Depth=2
	v_min_i32_e32 v3, 15, v19
	v_lshl_or_b32 v3, v3, 3, v5
	v_and_or_b32 v4, v2, 7, v3
                                        ; implicit-def: $vgpr5
; %bb.3449:                             ;   in Loop: Header=BB6_3092 Depth=2
	s_andn2_saveexec_b64 s[18:19], s[18:19]
; %bb.3450:                             ;   in Loop: Header=BB6_3092 Depth=2
	v_mov_b32_e32 v4, v5
; %bb.3451:                             ;   in Loop: Header=BB6_3092 Depth=2
	s_or_b64 exec, exec, s[18:19]
.LBB6_3452:                             ;   in Loop: Header=BB6_3092 Depth=2
	s_or_b64 exec, exec, s[58:59]
.LBB6_3453:                             ;   in Loop: Header=BB6_3092 Depth=2
	s_andn2_saveexec_b64 s[18:19], s[56:57]
	s_or_b64 exec, exec, s[18:19]
                                        ; implicit-def: $vgpr2
.LBB6_3454:                             ;   in Loop: Header=BB6_3092 Depth=2
	s_andn2_saveexec_b64 s[18:19], s[54:55]
; %bb.3455:                             ;   in Loop: Header=BB6_3092 Depth=2
	v_or_b32_sdwa v2, v2, s71 dst_sel:DWORD dst_unused:UNUSED_PAD src0_sel:BYTE_3 src1_sel:DWORD
	v_cmp_eq_u64_e32 vcc, 0, v[52:53]
	v_cndmask_b32_e32 v4, v2, v4, vcc
; %bb.3456:                             ;   in Loop: Header=BB6_3092 Depth=2
	s_or_b64 exec, exec, s[18:19]
	v_and_b32_e32 v2, 0xff, v28
	v_cmp_ne_u16_e32 vcc, 0, v2
	v_mov_b32_e32 v3, 0
	v_mov_b32_e32 v5, 0
	s_and_saveexec_b64 s[18:19], vcc
	s_cbranch_execz .LBB6_3462
; %bb.3457:                             ;   in Loop: Header=BB6_3092 Depth=2
	v_cmp_ne_u16_e32 vcc, s69, v2
	v_bfrev_b32_e32 v5, 1
	s_and_saveexec_b64 s[54:55], vcc
	s_cbranch_execz .LBB6_3461
; %bb.3458:                             ;   in Loop: Header=BB6_3092 Depth=2
	v_and_b32_e32 v19, 0x7f, v28
	v_cmp_ne_u32_e32 vcc, s71, v19
	v_mov_b32_e32 v5, 0x7f800001
	s_and_saveexec_b64 s[56:57], vcc
	s_cbranch_execz .LBB6_3460
; %bb.3459:                             ;   in Loop: Header=BB6_3092 Depth=2
	v_and_b32_e32 v5, 7, v2
	v_ffbh_u32_e32 v6, v5
	v_min_u32_e32 v9, 32, v6
	v_subrev_u32_e32 v6, 28, v9
	v_lshlrev_b64 v[6:7], v6, v[2:3]
	v_lshrrev_b32_e32 v8, 3, v19
	v_sub_u32_e32 v2, 29, v9
	v_and_b32_e32 v6, 7, v6
	v_cmp_gt_u32_e32 vcc, 8, v19
	v_cndmask_b32_e32 v2, v8, v2, vcc
	v_cndmask_b32_e32 v5, v5, v6, vcc
	v_lshlrev_b32_e32 v6, 24, v28
	v_lshlrev_b32_e32 v5, 20, v5
	v_and_b32_e32 v6, 0x80000000, v6
	v_lshl_add_u32 v2, v2, 23, v29
	v_or3_b32 v5, v6, v2, v5
.LBB6_3460:                             ;   in Loop: Header=BB6_3092 Depth=2
	s_or_b64 exec, exec, s[56:57]
.LBB6_3461:                             ;   in Loop: Header=BB6_3092 Depth=2
	s_or_b64 exec, exec, s[54:55]
.LBB6_3462:                             ;   in Loop: Header=BB6_3092 Depth=2
	s_or_b64 exec, exec, s[18:19]
	v_and_b32_e32 v2, 0xff, v27
	v_cmp_ne_u16_e32 vcc, 0, v2
	s_and_saveexec_b64 s[18:19], vcc
	s_cbranch_execz .LBB6_3468
; %bb.3463:                             ;   in Loop: Header=BB6_3092 Depth=2
	v_cmp_ne_u16_e32 vcc, s69, v2
	v_bfrev_b32_e32 v3, 1
	s_and_saveexec_b64 s[54:55], vcc
	s_cbranch_execz .LBB6_3467
; %bb.3464:                             ;   in Loop: Header=BB6_3092 Depth=2
	v_and_b32_e32 v19, 0x7f, v27
	v_cmp_ne_u32_e32 vcc, s71, v19
	v_mov_b32_e32 v3, 0x7f800001
	s_and_saveexec_b64 s[56:57], vcc
	s_cbranch_execz .LBB6_3466
; %bb.3465:                             ;   in Loop: Header=BB6_3092 Depth=2
	v_and_b32_e32 v6, 7, v2
	v_ffbh_u32_e32 v3, v6
	v_min_u32_e32 v8, 32, v3
	v_subrev_u32_e32 v3, 28, v8
	v_lshlrev_b64 v[2:3], v3, v[2:3]
	v_lshrrev_b32_e32 v7, 3, v19
	v_sub_u32_e32 v3, 29, v8
	v_and_b32_e32 v2, 7, v2
	v_cmp_gt_u32_e32 vcc, 8, v19
	v_cndmask_b32_e32 v3, v7, v3, vcc
	v_cndmask_b32_e32 v2, v6, v2, vcc
	v_lshlrev_b32_e32 v6, 24, v27
	v_lshlrev_b32_e32 v2, 20, v2
	v_and_b32_e32 v6, 0x80000000, v6
	v_lshl_add_u32 v3, v3, 23, v29
	v_or3_b32 v3, v6, v3, v2
.LBB6_3466:                             ;   in Loop: Header=BB6_3092 Depth=2
	s_or_b64 exec, exec, s[56:57]
.LBB6_3467:                             ;   in Loop: Header=BB6_3092 Depth=2
	s_or_b64 exec, exec, s[54:55]
.LBB6_3468:                             ;   in Loop: Header=BB6_3092 Depth=2
	s_or_b64 exec, exec, s[18:19]
	v_add_f32_e32 v2, v5, v3
	v_and_b32_sdwa v19, v2, s69 dst_sel:DWORD dst_unused:UNUSED_PAD src0_sel:BYTE_3 src1_sel:DWORD
	v_and_b32_e32 v6, 0x7f800000, v2
	v_mov_b32_e32 v7, v53
	v_and_b32_e32 v52, 0x7fffff, v2
	v_or_b32_e32 v5, 0x7e, v19
	v_cmp_ne_u64_e32 vcc, s[38:39], v[6:7]
	s_and_saveexec_b64 s[18:19], vcc
	s_xor_b64 s[54:55], exec, s[18:19]
	s_cbranch_execz .LBB6_3482
; %bb.3469:                             ;   in Loop: Header=BB6_3092 Depth=2
	v_and_b32_e32 v6, 0x7fffffff, v2
	v_mov_b32_e32 v7, v53
	v_cmp_gt_u64_e32 vcc, s[40:41], v[6:7]
	s_and_saveexec_b64 s[18:19], vcc
	s_xor_b64 s[56:57], exec, s[18:19]
	s_cbranch_execz .LBB6_3481
; %bb.3470:                             ;   in Loop: Header=BB6_3092 Depth=2
	v_cmp_ne_u32_e32 vcc, 0, v2
	v_mov_b32_e32 v5, 0
	s_and_saveexec_b64 s[58:59], vcc
	s_cbranch_execz .LBB6_3480
; %bb.3471:                             ;   in Loop: Header=BB6_3092 Depth=2
	v_bfe_u32 v2, v2, 23, 8
	v_sub_u32_e32 v5, 0x79, v2
	v_cmp_gt_u32_e32 vcc, s72, v2
	v_cndmask_b32_e32 v5, 0, v5, vcc
	v_cmp_eq_u32_e32 vcc, 0, v2
	v_or_b32_e32 v6, 0x800000, v52
	v_cndmask_b32_e32 v5, v5, v38, vcc
	v_add_u32_e32 v3, 0xffffff81, v2
	v_cndmask_b32_e32 v52, v6, v52, vcc
	v_add_u32_e32 v2, 20, v5
	v_cndmask_b32_e32 v27, v3, v33, vcc
	v_lshlrev_b64 v[2:3], v2, -1
	v_lshrrev_b64 v[8:9], v5, v[52:53]
	v_not_b32_e32 v3, v3
	v_not_b32_e32 v2, v2
	v_add_u32_e32 v6, 19, v5
	v_lshrrev_b32_e32 v28, 23, v8
	v_and_b32_e32 v3, 0, v3
	v_and_b32_e32 v2, v52, v2
	v_lshlrev_b64 v[6:7], v6, 1
	v_add3_u32 v28, v5, v27, v28
	v_bfe_u32 v27, v8, 20, 1
	v_add_u32_e32 v27, -1, v27
	v_cmp_eq_u64_e32 vcc, v[2:3], v[6:7]
	v_cndmask_b32_e32 v2, 0, v27, vcc
	v_add_u32_e32 v2, v2, v8
	v_and_b32_e32 v2, 0xfffff, v2
	v_add_co_u32_e32 v2, vcc, v2, v8
	v_add_u32_e32 v5, 6, v28
	v_addc_co_u32_e32 v3, vcc, 0, v9, vcc
	v_cmp_ne_u32_e32 vcc, 0, v5
                                        ; implicit-def: $vgpr27
	s_and_saveexec_b64 s[18:19], vcc
	s_xor_b64 s[18:19], exec, s[18:19]
; %bb.3472:                             ;   in Loop: Header=BB6_3092 Depth=2
	v_add_u32_e32 v6, 7, v28
	v_cmp_lt_u64_e32 vcc, s[44:45], v[2:3]
	v_cndmask_b32_e32 v27, v5, v6, vcc
	v_cndmask_b32_e64 v5, 0, 1, vcc
	v_lshrrev_b64 v[2:3], v5, v[2:3]
; %bb.3473:                             ;   in Loop: Header=BB6_3092 Depth=2
	s_andn2_saveexec_b64 s[18:19], s[18:19]
; %bb.3474:                             ;   in Loop: Header=BB6_3092 Depth=2
	v_bfe_u32 v27, v2, 23, 1
; %bb.3475:                             ;   in Loop: Header=BB6_3092 Depth=2
	s_or_b64 exec, exec, s[18:19]
	v_lshrrev_b64 v[2:3], 20, v[2:3]
	v_cmp_gt_i32_e32 vcc, 16, v27
	v_cndmask_b32_e32 v3, 0, v3, vcc
	v_cndmask_b32_e32 v2, 7, v2, vcc
	v_cmp_ne_u32_e32 vcc, 0, v27
	v_cmp_ne_u64_e64 s[18:19], 0, v[2:3]
	s_or_b64 s[18:19], vcc, s[18:19]
                                        ; implicit-def: $vgpr5
	s_and_saveexec_b64 vcc, s[18:19]
	s_xor_b64 s[18:19], exec, vcc
; %bb.3476:                             ;   in Loop: Header=BB6_3092 Depth=2
	v_min_i32_e32 v3, 15, v27
	v_lshl_or_b32 v3, v3, 3, v19
	v_and_or_b32 v5, v2, 7, v3
                                        ; implicit-def: $vgpr19
; %bb.3477:                             ;   in Loop: Header=BB6_3092 Depth=2
	s_andn2_saveexec_b64 s[18:19], s[18:19]
; %bb.3478:                             ;   in Loop: Header=BB6_3092 Depth=2
	v_mov_b32_e32 v5, v19
; %bb.3479:                             ;   in Loop: Header=BB6_3092 Depth=2
	s_or_b64 exec, exec, s[18:19]
.LBB6_3480:                             ;   in Loop: Header=BB6_3092 Depth=2
	s_or_b64 exec, exec, s[58:59]
.LBB6_3481:                             ;   in Loop: Header=BB6_3092 Depth=2
	s_andn2_saveexec_b64 s[18:19], s[56:57]
	s_or_b64 exec, exec, s[18:19]
                                        ; implicit-def: $vgpr2
.LBB6_3482:                             ;   in Loop: Header=BB6_3092 Depth=2
	s_andn2_saveexec_b64 s[18:19], s[54:55]
; %bb.3483:                             ;   in Loop: Header=BB6_3092 Depth=2
	v_or_b32_sdwa v2, v2, s71 dst_sel:DWORD dst_unused:UNUSED_PAD src0_sel:BYTE_3 src1_sel:DWORD
	v_cmp_eq_u64_e32 vcc, 0, v[52:53]
	v_cndmask_b32_e32 v5, v2, v5, vcc
; %bb.3484:                             ;   in Loop: Header=BB6_3092 Depth=2
	s_or_b64 exec, exec, s[18:19]
	v_and_b32_e32 v2, 0xff, v25
	v_cmp_ne_u16_e32 vcc, 0, v2
	v_mov_b32_e32 v3, 0
	v_mov_b32_e32 v19, 0
	s_and_saveexec_b64 s[18:19], vcc
	s_cbranch_execz .LBB6_3490
; %bb.3485:                             ;   in Loop: Header=BB6_3092 Depth=2
	v_cmp_ne_u16_e32 vcc, s69, v2
	v_bfrev_b32_e32 v19, 1
	s_and_saveexec_b64 s[54:55], vcc
	s_cbranch_execz .LBB6_3489
; %bb.3486:                             ;   in Loop: Header=BB6_3092 Depth=2
	v_and_b32_e32 v27, 0x7f, v25
	v_cmp_ne_u32_e32 vcc, s71, v27
	v_mov_b32_e32 v19, 0x7f800001
	s_and_saveexec_b64 s[56:57], vcc
	s_cbranch_execz .LBB6_3488
; %bb.3487:                             ;   in Loop: Header=BB6_3092 Depth=2
	v_and_b32_e32 v8, 7, v2
	v_ffbh_u32_e32 v6, v8
	v_min_u32_e32 v19, 32, v6
	v_subrev_u32_e32 v6, 28, v19
	v_lshlrev_b64 v[6:7], v6, v[2:3]
	v_lshrrev_b32_e32 v9, 3, v27
	v_sub_u32_e32 v2, 29, v19
	v_and_b32_e32 v6, 7, v6
	v_cmp_gt_u32_e32 vcc, 8, v27
	v_cndmask_b32_e32 v2, v9, v2, vcc
	v_cndmask_b32_e32 v6, v8, v6, vcc
	v_lshlrev_b32_e32 v7, 24, v25
	v_lshlrev_b32_e32 v6, 20, v6
	v_and_b32_e32 v7, 0x80000000, v7
	v_lshl_add_u32 v2, v2, 23, v29
	v_or3_b32 v19, v7, v2, v6
.LBB6_3488:                             ;   in Loop: Header=BB6_3092 Depth=2
	s_or_b64 exec, exec, s[56:57]
.LBB6_3489:                             ;   in Loop: Header=BB6_3092 Depth=2
	s_or_b64 exec, exec, s[54:55]
.LBB6_3490:                             ;   in Loop: Header=BB6_3092 Depth=2
	s_or_b64 exec, exec, s[18:19]
	v_and_b32_e32 v2, 0xff, v24
	v_cmp_ne_u16_e32 vcc, 0, v2
	s_and_saveexec_b64 s[18:19], vcc
	s_cbranch_execz .LBB6_3496
; %bb.3491:                             ;   in Loop: Header=BB6_3092 Depth=2
	v_cmp_ne_u16_e32 vcc, s69, v2
	v_bfrev_b32_e32 v3, 1
	s_and_saveexec_b64 s[54:55], vcc
	s_cbranch_execz .LBB6_3495
; %bb.3492:                             ;   in Loop: Header=BB6_3092 Depth=2
	v_and_b32_e32 v25, 0x7f, v24
	v_cmp_ne_u32_e32 vcc, s71, v25
	v_mov_b32_e32 v3, 0x7f800001
	s_and_saveexec_b64 s[56:57], vcc
	s_cbranch_execz .LBB6_3494
; %bb.3493:                             ;   in Loop: Header=BB6_3092 Depth=2
	v_and_b32_e32 v6, 7, v2
	v_ffbh_u32_e32 v3, v6
	v_min_u32_e32 v8, 32, v3
	v_subrev_u32_e32 v3, 28, v8
	v_lshlrev_b64 v[2:3], v3, v[2:3]
	v_lshrrev_b32_e32 v7, 3, v25
	v_sub_u32_e32 v3, 29, v8
	v_and_b32_e32 v2, 7, v2
	v_cmp_gt_u32_e32 vcc, 8, v25
	v_cndmask_b32_e32 v3, v7, v3, vcc
	v_cndmask_b32_e32 v2, v6, v2, vcc
	v_lshlrev_b32_e32 v6, 24, v24
	v_lshlrev_b32_e32 v2, 20, v2
	v_and_b32_e32 v6, 0x80000000, v6
	v_lshl_add_u32 v3, v3, 23, v29
	v_or3_b32 v3, v6, v3, v2
.LBB6_3494:                             ;   in Loop: Header=BB6_3092 Depth=2
	s_or_b64 exec, exec, s[56:57]
.LBB6_3495:                             ;   in Loop: Header=BB6_3092 Depth=2
	s_or_b64 exec, exec, s[54:55]
.LBB6_3496:                             ;   in Loop: Header=BB6_3092 Depth=2
	s_or_b64 exec, exec, s[18:19]
	v_add_f32_e32 v2, v19, v3
	v_and_b32_sdwa v19, v2, s69 dst_sel:DWORD dst_unused:UNUSED_PAD src0_sel:BYTE_3 src1_sel:DWORD
	v_and_b32_e32 v6, 0x7f800000, v2
	v_mov_b32_e32 v7, v53
	v_and_b32_e32 v52, 0x7fffff, v2
	v_or_b32_e32 v24, 0x7e, v19
	v_cmp_ne_u64_e32 vcc, s[38:39], v[6:7]
	s_and_saveexec_b64 s[18:19], vcc
	s_xor_b64 s[54:55], exec, s[18:19]
	s_cbranch_execz .LBB6_3510
; %bb.3497:                             ;   in Loop: Header=BB6_3092 Depth=2
	v_and_b32_e32 v6, 0x7fffffff, v2
	v_mov_b32_e32 v7, v53
	v_cmp_gt_u64_e32 vcc, s[40:41], v[6:7]
	s_and_saveexec_b64 s[18:19], vcc
	s_xor_b64 s[56:57], exec, s[18:19]
	s_cbranch_execz .LBB6_3509
; %bb.3498:                             ;   in Loop: Header=BB6_3092 Depth=2
	v_cmp_ne_u32_e32 vcc, 0, v2
	v_mov_b32_e32 v24, 0
	s_and_saveexec_b64 s[58:59], vcc
	s_cbranch_execz .LBB6_3508
; %bb.3499:                             ;   in Loop: Header=BB6_3092 Depth=2
	v_bfe_u32 v2, v2, 23, 8
	v_sub_u32_e32 v6, 0x79, v2
	v_cmp_gt_u32_e32 vcc, s72, v2
	v_cndmask_b32_e32 v6, 0, v6, vcc
	v_cmp_eq_u32_e32 vcc, 0, v2
	v_or_b32_e32 v7, 0x800000, v52
	v_cndmask_b32_e32 v25, v6, v38, vcc
	v_add_u32_e32 v3, 0xffffff81, v2
	v_cndmask_b32_e32 v52, v7, v52, vcc
	v_add_u32_e32 v2, 20, v25
	v_cndmask_b32_e32 v24, v3, v33, vcc
	v_lshlrev_b64 v[2:3], v2, -1
	v_lshrrev_b64 v[8:9], v25, v[52:53]
	v_not_b32_e32 v3, v3
	v_not_b32_e32 v2, v2
	v_add_u32_e32 v6, 19, v25
	v_lshrrev_b32_e32 v27, 23, v8
	v_and_b32_e32 v3, 0, v3
	v_and_b32_e32 v2, v52, v2
	v_lshlrev_b64 v[6:7], v6, 1
	v_add3_u32 v27, v25, v24, v27
	v_bfe_u32 v25, v8, 20, 1
	v_add_u32_e32 v25, -1, v25
	v_cmp_eq_u64_e32 vcc, v[2:3], v[6:7]
	v_cndmask_b32_e32 v2, 0, v25, vcc
	v_add_u32_e32 v2, v2, v8
	v_and_b32_e32 v2, 0xfffff, v2
	v_add_co_u32_e32 v2, vcc, v2, v8
	v_add_u32_e32 v24, 6, v27
	v_addc_co_u32_e32 v3, vcc, 0, v9, vcc
	v_cmp_ne_u32_e32 vcc, 0, v24
                                        ; implicit-def: $vgpr25
	s_and_saveexec_b64 s[18:19], vcc
	s_xor_b64 s[18:19], exec, s[18:19]
; %bb.3500:                             ;   in Loop: Header=BB6_3092 Depth=2
	v_add_u32_e32 v6, 7, v27
	v_cmp_lt_u64_e32 vcc, s[44:45], v[2:3]
	v_cndmask_b32_e32 v25, v24, v6, vcc
	v_cndmask_b32_e64 v6, 0, 1, vcc
	v_lshrrev_b64 v[2:3], v6, v[2:3]
; %bb.3501:                             ;   in Loop: Header=BB6_3092 Depth=2
	s_andn2_saveexec_b64 s[18:19], s[18:19]
; %bb.3502:                             ;   in Loop: Header=BB6_3092 Depth=2
	v_bfe_u32 v25, v2, 23, 1
; %bb.3503:                             ;   in Loop: Header=BB6_3092 Depth=2
	s_or_b64 exec, exec, s[18:19]
	v_lshrrev_b64 v[2:3], 20, v[2:3]
	v_cmp_gt_i32_e32 vcc, 16, v25
	v_cndmask_b32_e32 v3, 0, v3, vcc
	v_cndmask_b32_e32 v2, 7, v2, vcc
	v_cmp_ne_u32_e32 vcc, 0, v25
	v_cmp_ne_u64_e64 s[18:19], 0, v[2:3]
	s_or_b64 s[18:19], vcc, s[18:19]
                                        ; implicit-def: $vgpr24
	s_and_saveexec_b64 vcc, s[18:19]
	s_xor_b64 s[18:19], exec, vcc
; %bb.3504:                             ;   in Loop: Header=BB6_3092 Depth=2
	v_min_i32_e32 v3, 15, v25
	v_lshl_or_b32 v3, v3, 3, v19
	v_and_or_b32 v24, v2, 7, v3
                                        ; implicit-def: $vgpr19
; %bb.3505:                             ;   in Loop: Header=BB6_3092 Depth=2
	s_andn2_saveexec_b64 s[18:19], s[18:19]
; %bb.3506:                             ;   in Loop: Header=BB6_3092 Depth=2
	v_mov_b32_e32 v24, v19
; %bb.3507:                             ;   in Loop: Header=BB6_3092 Depth=2
	s_or_b64 exec, exec, s[18:19]
.LBB6_3508:                             ;   in Loop: Header=BB6_3092 Depth=2
	s_or_b64 exec, exec, s[58:59]
.LBB6_3509:                             ;   in Loop: Header=BB6_3092 Depth=2
	s_andn2_saveexec_b64 s[18:19], s[56:57]
	s_or_b64 exec, exec, s[18:19]
                                        ; implicit-def: $vgpr2
.LBB6_3510:                             ;   in Loop: Header=BB6_3092 Depth=2
	s_andn2_saveexec_b64 s[18:19], s[54:55]
; %bb.3511:                             ;   in Loop: Header=BB6_3092 Depth=2
	v_or_b32_sdwa v2, v2, s71 dst_sel:DWORD dst_unused:UNUSED_PAD src0_sel:BYTE_3 src1_sel:DWORD
	v_cmp_eq_u64_e32 vcc, 0, v[52:53]
	v_cndmask_b32_e32 v24, v2, v24, vcc
; %bb.3512:                             ;   in Loop: Header=BB6_3092 Depth=2
	s_or_b64 exec, exec, s[18:19]
	v_and_b32_e32 v2, 0xff, v22
	v_cmp_ne_u16_e32 vcc, 0, v2
	v_mov_b32_e32 v3, 0
	v_mov_b32_e32 v19, 0
	s_and_saveexec_b64 s[18:19], vcc
	s_cbranch_execz .LBB6_3518
; %bb.3513:                             ;   in Loop: Header=BB6_3092 Depth=2
	v_cmp_ne_u16_e32 vcc, s69, v2
	v_bfrev_b32_e32 v19, 1
	s_and_saveexec_b64 s[54:55], vcc
	s_cbranch_execz .LBB6_3517
; %bb.3514:                             ;   in Loop: Header=BB6_3092 Depth=2
	v_and_b32_e32 v25, 0x7f, v22
	v_cmp_ne_u32_e32 vcc, s71, v25
	v_mov_b32_e32 v19, 0x7f800001
	s_and_saveexec_b64 s[56:57], vcc
	s_cbranch_execz .LBB6_3516
; %bb.3515:                             ;   in Loop: Header=BB6_3092 Depth=2
	v_and_b32_e32 v8, 7, v2
	v_ffbh_u32_e32 v6, v8
	v_min_u32_e32 v19, 32, v6
	v_subrev_u32_e32 v6, 28, v19
	v_lshlrev_b64 v[6:7], v6, v[2:3]
	v_lshrrev_b32_e32 v9, 3, v25
	v_sub_u32_e32 v2, 29, v19
	v_and_b32_e32 v6, 7, v6
	v_cmp_gt_u32_e32 vcc, 8, v25
	v_cndmask_b32_e32 v2, v9, v2, vcc
	v_cndmask_b32_e32 v6, v8, v6, vcc
	v_lshlrev_b32_e32 v7, 24, v22
	v_lshlrev_b32_e32 v6, 20, v6
	v_and_b32_e32 v7, 0x80000000, v7
	v_lshl_add_u32 v2, v2, 23, v29
	v_or3_b32 v19, v7, v2, v6
.LBB6_3516:                             ;   in Loop: Header=BB6_3092 Depth=2
	s_or_b64 exec, exec, s[56:57]
.LBB6_3517:                             ;   in Loop: Header=BB6_3092 Depth=2
	s_or_b64 exec, exec, s[54:55]
.LBB6_3518:                             ;   in Loop: Header=BB6_3092 Depth=2
	s_or_b64 exec, exec, s[18:19]
	v_and_b32_e32 v2, 0xff, v21
	v_cmp_ne_u16_e32 vcc, 0, v2
	s_and_saveexec_b64 s[18:19], vcc
	s_cbranch_execz .LBB6_3524
; %bb.3519:                             ;   in Loop: Header=BB6_3092 Depth=2
	v_cmp_ne_u16_e32 vcc, s69, v2
	v_bfrev_b32_e32 v3, 1
	s_and_saveexec_b64 s[54:55], vcc
	s_cbranch_execz .LBB6_3523
; %bb.3520:                             ;   in Loop: Header=BB6_3092 Depth=2
	v_and_b32_e32 v22, 0x7f, v21
	v_cmp_ne_u32_e32 vcc, s71, v22
	v_mov_b32_e32 v3, 0x7f800001
	s_and_saveexec_b64 s[56:57], vcc
	s_cbranch_execz .LBB6_3522
; %bb.3521:                             ;   in Loop: Header=BB6_3092 Depth=2
	v_and_b32_e32 v6, 7, v2
	v_ffbh_u32_e32 v3, v6
	v_min_u32_e32 v8, 32, v3
	v_subrev_u32_e32 v3, 28, v8
	v_lshlrev_b64 v[2:3], v3, v[2:3]
	v_lshrrev_b32_e32 v7, 3, v22
	v_sub_u32_e32 v3, 29, v8
	v_and_b32_e32 v2, 7, v2
	v_cmp_gt_u32_e32 vcc, 8, v22
	v_cndmask_b32_e32 v3, v7, v3, vcc
	v_cndmask_b32_e32 v2, v6, v2, vcc
	v_lshlrev_b32_e32 v6, 24, v21
	v_lshlrev_b32_e32 v2, 20, v2
	v_and_b32_e32 v6, 0x80000000, v6
	v_lshl_add_u32 v3, v3, 23, v29
	v_or3_b32 v3, v6, v3, v2
.LBB6_3522:                             ;   in Loop: Header=BB6_3092 Depth=2
	s_or_b64 exec, exec, s[56:57]
.LBB6_3523:                             ;   in Loop: Header=BB6_3092 Depth=2
	s_or_b64 exec, exec, s[54:55]
.LBB6_3524:                             ;   in Loop: Header=BB6_3092 Depth=2
	s_or_b64 exec, exec, s[18:19]
	v_add_f32_e32 v2, v19, v3
	v_and_b32_sdwa v19, v2, s69 dst_sel:DWORD dst_unused:UNUSED_PAD src0_sel:BYTE_3 src1_sel:DWORD
	v_and_b32_e32 v6, 0x7f800000, v2
	v_mov_b32_e32 v7, v53
	v_and_b32_e32 v52, 0x7fffff, v2
	v_or_b32_e32 v3, 0x7e, v19
	v_cmp_ne_u64_e32 vcc, s[38:39], v[6:7]
	s_and_saveexec_b64 s[18:19], vcc
	s_xor_b64 s[54:55], exec, s[18:19]
	s_cbranch_execz .LBB6_3538
; %bb.3525:                             ;   in Loop: Header=BB6_3092 Depth=2
	v_and_b32_e32 v6, 0x7fffffff, v2
	v_mov_b32_e32 v7, v53
	v_cmp_gt_u64_e32 vcc, s[40:41], v[6:7]
	s_and_saveexec_b64 s[18:19], vcc
	s_xor_b64 s[56:57], exec, s[18:19]
	s_cbranch_execz .LBB6_3537
; %bb.3526:                             ;   in Loop: Header=BB6_3092 Depth=2
	v_cmp_ne_u32_e32 vcc, 0, v2
	v_mov_b32_e32 v3, 0
	s_and_saveexec_b64 s[58:59], vcc
	s_cbranch_execz .LBB6_3536
; %bb.3527:                             ;   in Loop: Header=BB6_3092 Depth=2
	v_bfe_u32 v2, v2, 23, 8
	v_sub_u32_e32 v6, 0x79, v2
	v_cmp_gt_u32_e32 vcc, s72, v2
	v_cndmask_b32_e32 v6, 0, v6, vcc
	v_cmp_eq_u32_e32 vcc, 0, v2
	v_or_b32_e32 v7, 0x800000, v52
	v_cndmask_b32_e32 v22, v6, v38, vcc
	v_add_u32_e32 v3, 0xffffff81, v2
	v_cndmask_b32_e32 v52, v7, v52, vcc
	v_add_u32_e32 v2, 20, v22
	v_cndmask_b32_e32 v21, v3, v33, vcc
	v_lshlrev_b64 v[2:3], v2, -1
	v_lshrrev_b64 v[8:9], v22, v[52:53]
	v_not_b32_e32 v3, v3
	v_not_b32_e32 v2, v2
	v_add_u32_e32 v6, 19, v22
	v_lshrrev_b32_e32 v25, 23, v8
	v_and_b32_e32 v3, 0, v3
	v_and_b32_e32 v2, v52, v2
	v_lshlrev_b64 v[6:7], v6, 1
	v_add3_u32 v25, v22, v21, v25
	v_bfe_u32 v21, v8, 20, 1
	v_add_u32_e32 v21, -1, v21
	v_cmp_eq_u64_e32 vcc, v[2:3], v[6:7]
	v_cndmask_b32_e32 v2, 0, v21, vcc
	v_add_u32_e32 v2, v2, v8
	v_and_b32_e32 v2, 0xfffff, v2
	v_add_co_u32_e32 v2, vcc, v2, v8
	v_add_u32_e32 v22, 6, v25
	v_addc_co_u32_e32 v3, vcc, 0, v9, vcc
	v_cmp_ne_u32_e32 vcc, 0, v22
                                        ; implicit-def: $vgpr21
	s_and_saveexec_b64 s[18:19], vcc
	s_xor_b64 s[18:19], exec, s[18:19]
; %bb.3528:                             ;   in Loop: Header=BB6_3092 Depth=2
	v_add_u32_e32 v6, 7, v25
	v_cmp_lt_u64_e32 vcc, s[44:45], v[2:3]
	v_cndmask_b32_e32 v21, v22, v6, vcc
	v_cndmask_b32_e64 v6, 0, 1, vcc
	v_lshrrev_b64 v[2:3], v6, v[2:3]
; %bb.3529:                             ;   in Loop: Header=BB6_3092 Depth=2
	s_andn2_saveexec_b64 s[18:19], s[18:19]
; %bb.3530:                             ;   in Loop: Header=BB6_3092 Depth=2
	v_bfe_u32 v21, v2, 23, 1
; %bb.3531:                             ;   in Loop: Header=BB6_3092 Depth=2
	s_or_b64 exec, exec, s[18:19]
	v_lshrrev_b64 v[2:3], 20, v[2:3]
	v_cmp_gt_i32_e32 vcc, 16, v21
	v_cndmask_b32_e32 v3, 0, v3, vcc
	v_cndmask_b32_e32 v2, 7, v2, vcc
	v_cmp_ne_u32_e32 vcc, 0, v21
	v_cmp_ne_u64_e64 s[18:19], 0, v[2:3]
	s_or_b64 s[18:19], vcc, s[18:19]
                                        ; implicit-def: $vgpr3
	s_and_saveexec_b64 vcc, s[18:19]
	s_xor_b64 s[18:19], exec, vcc
; %bb.3532:                             ;   in Loop: Header=BB6_3092 Depth=2
	v_min_i32_e32 v3, 15, v21
	v_lshl_or_b32 v3, v3, 3, v19
	v_and_or_b32 v3, v2, 7, v3
                                        ; implicit-def: $vgpr19
; %bb.3533:                             ;   in Loop: Header=BB6_3092 Depth=2
	s_andn2_saveexec_b64 s[18:19], s[18:19]
; %bb.3534:                             ;   in Loop: Header=BB6_3092 Depth=2
	v_mov_b32_e32 v3, v19
; %bb.3535:                             ;   in Loop: Header=BB6_3092 Depth=2
	s_or_b64 exec, exec, s[18:19]
.LBB6_3536:                             ;   in Loop: Header=BB6_3092 Depth=2
	s_or_b64 exec, exec, s[58:59]
.LBB6_3537:                             ;   in Loop: Header=BB6_3092 Depth=2
	s_andn2_saveexec_b64 s[18:19], s[56:57]
	s_or_b64 exec, exec, s[18:19]
                                        ; implicit-def: $vgpr2
.LBB6_3538:                             ;   in Loop: Header=BB6_3092 Depth=2
	s_andn2_saveexec_b64 s[18:19], s[54:55]
	s_cbranch_execz .LBB6_3091
; %bb.3539:                             ;   in Loop: Header=BB6_3092 Depth=2
	v_or_b32_sdwa v2, v2, s71 dst_sel:DWORD dst_unused:UNUSED_PAD src0_sel:BYTE_3 src1_sel:DWORD
	v_cmp_eq_u64_e32 vcc, 0, v[52:53]
	v_cndmask_b32_e32 v3, v2, v3, vcc
	s_branch .LBB6_3091
.LBB6_3540:                             ;   in Loop: Header=BB6_1854 Depth=1
	s_or_b64 exec, exec, s[52:53]
	v_accvgpr_read_b32 v46, a2
	v_accvgpr_read_b32 v54, a3
	;; [unrolled: 1-line block ×9, first 2 shown]
.LBB6_3541:                             ;   in Loop: Header=BB6_1854 Depth=1
	s_or_b64 exec, exec, s[50:51]
	v_lshlrev_b32_e32 v2, 10, v4
	v_cmp_ne_u32_e32 vcc, v1, v2
	s_and_b64 exec, exec, vcc
	s_cbranch_execz .LBB6_3573
; %bb.3542:                             ;   in Loop: Header=BB6_1854 Depth=1
	v_add_u32_e32 v3, v16, v3
	v_and_b32_e32 v3, 0xffffffc0, v3
	v_sub_u32_e32 v3, v16, v3
	v_lshlrev_b32_e32 v4, 6, v17
	v_sub_u32_e32 v3, v3, v4
	v_add_u32_e32 v2, v2, v3
	v_sub_u32_e32 v1, v1, v2
	v_cmp_lt_i32_e32 vcc, 0, v1
	s_and_b64 exec, exec, vcc
	s_cbranch_execz .LBB6_3573
; %bb.3543:                             ;   in Loop: Header=BB6_1854 Depth=1
	s_trap 2
	ds_read_b128 v[4:7], v0
	v_add_u32_e32 v0, v2, v0
	ds_read_b64 v[2:3], v0
	v_ashrrev_i32_e32 v8, 31, v0
	s_mov_b64 s[50:51], 0
	s_waitcnt lgkmcnt(0)
	v_add_co_u32_e32 v10, vcc, v4, v0
	v_addc_co_u32_e32 v11, vcc, v5, v8, vcc
	v_add_co_u32_e32 v12, vcc, v6, v0
	v_addc_co_u32_e32 v13, vcc, v7, v8, vcc
	;; [unrolled: 2-line block ×3, first 2 shown]
	s_branch .LBB6_3545
.LBB6_3544:                             ;   in Loop: Header=BB6_3545 Depth=2
	s_or_b64 exec, exec, s[18:19]
	v_add_co_u32_e32 v10, vcc, v10, v44
	v_addc_co_u32_e32 v11, vcc, v11, v45, vcc
	v_add_co_u32_e32 v12, vcc, v12, v44
	v_addc_co_u32_e32 v13, vcc, v13, v45, vcc
	v_sub_u32_e32 v1, v1, v44
	v_cmp_gt_i32_e32 vcc, 1, v1
	flat_store_byte v[14:15], v3 glc slc
	s_or_b64 s[50:51], vcc, s[50:51]
	v_add_co_u32_e32 v14, vcc, v14, v44
	v_addc_co_u32_e32 v15, vcc, v15, v45, vcc
	s_andn2_b64 exec, exec, s[50:51]
	s_cbranch_execz .LBB6_3573
.LBB6_3545:                             ;   Parent Loop BB6_1854 Depth=1
                                        ; =>  This Inner Loop Header: Depth=2
	flat_load_ubyte v5, v[10:11] glc slc
	flat_load_ubyte v3, v[12:13] glc slc
	v_mov_b32_e32 v0, 0
	v_mov_b32_e32 v4, 0
	s_waitcnt vmcnt(0) lgkmcnt(0)
	v_cmp_ne_u16_e32 vcc, 0, v5
	s_and_saveexec_b64 s[18:19], vcc
	s_cbranch_execz .LBB6_3551
; %bb.3546:                             ;   in Loop: Header=BB6_3545 Depth=2
	v_cmp_ne_u16_e32 vcc, s69, v5
	v_bfrev_b32_e32 v4, 1
	s_and_saveexec_b64 s[52:53], vcc
	s_cbranch_execz .LBB6_3550
; %bb.3547:                             ;   in Loop: Header=BB6_3545 Depth=2
	v_and_b32_e32 v2, 0xffff, v5
	v_and_b32_e32 v16, 0x7f, v2
	v_cmp_ne_u32_e32 vcc, s71, v16
	v_mov_b32_e32 v4, 0x7f800001
	s_and_saveexec_b64 s[54:55], vcc
	s_cbranch_execz .LBB6_3549
; %bb.3548:                             ;   in Loop: Header=BB6_3545 Depth=2
	v_and_b32_e32 v4, 7, v2
	v_ffbh_u32_e32 v6, v4
	v_min_u32_e32 v9, 32, v6
	v_subrev_u32_e32 v6, 28, v9
	v_lshlrev_b64 v[6:7], v6, v[2:3]
	v_lshrrev_b32_e32 v8, 3, v16
	v_sub_u32_e32 v2, 29, v9
	v_and_b32_e32 v6, 7, v6
	v_cmp_gt_u32_e32 vcc, 8, v16
	v_cndmask_b32_e32 v2, v8, v2, vcc
	v_cndmask_b32_e32 v4, v4, v6, vcc
	v_lshlrev_b32_e32 v5, 24, v5
	v_lshlrev_b32_e32 v4, 20, v4
	v_and_b32_e32 v5, 0x80000000, v5
	v_lshl_add_u32 v2, v2, 23, v29
	v_or3_b32 v4, v5, v2, v4
.LBB6_3549:                             ;   in Loop: Header=BB6_3545 Depth=2
	s_or_b64 exec, exec, s[54:55]
.LBB6_3550:                             ;   in Loop: Header=BB6_3545 Depth=2
	s_or_b64 exec, exec, s[52:53]
.LBB6_3551:                             ;   in Loop: Header=BB6_3545 Depth=2
	s_or_b64 exec, exec, s[18:19]
	v_and_b32_e32 v2, 0xff, v3
	v_cmp_ne_u16_e32 vcc, 0, v2
	s_and_saveexec_b64 s[18:19], vcc
	s_cbranch_execz .LBB6_3557
; %bb.3552:                             ;   in Loop: Header=BB6_3545 Depth=2
	v_cmp_ne_u16_e32 vcc, s69, v2
	v_bfrev_b32_e32 v0, 1
	s_and_saveexec_b64 s[52:53], vcc
	s_cbranch_execz .LBB6_3556
; %bb.3553:                             ;   in Loop: Header=BB6_3545 Depth=2
	v_and_b32_e32 v5, 0x7f, v3
	v_cmp_ne_u32_e32 vcc, s71, v5
	v_mov_b32_e32 v0, 0x7f800001
	s_and_saveexec_b64 s[54:55], vcc
	s_cbranch_execz .LBB6_3555
; %bb.3554:                             ;   in Loop: Header=BB6_3545 Depth=2
	v_and_b32_e32 v0, 7, v2
	v_lshlrev_b32_e32 v3, 24, v3
	v_and_b32_e32 v7, 0x80000000, v3
	v_ffbh_u32_e32 v3, v0
	v_min_u32_e32 v8, 32, v3
	v_subrev_u32_e32 v3, 28, v8
	v_lshlrev_b64 v[2:3], v3, v[2:3]
	v_lshrrev_b32_e32 v6, 3, v5
	v_sub_u32_e32 v3, 29, v8
	v_and_b32_e32 v2, 7, v2
	v_cmp_gt_u32_e32 vcc, 8, v5
	v_cndmask_b32_e32 v3, v6, v3, vcc
	v_cndmask_b32_e32 v0, v0, v2, vcc
	v_lshlrev_b32_e32 v0, 20, v0
	v_lshl_add_u32 v2, v3, 23, v29
	v_or3_b32 v0, v7, v2, v0
.LBB6_3555:                             ;   in Loop: Header=BB6_3545 Depth=2
	s_or_b64 exec, exec, s[54:55]
.LBB6_3556:                             ;   in Loop: Header=BB6_3545 Depth=2
	s_or_b64 exec, exec, s[52:53]
.LBB6_3557:                             ;   in Loop: Header=BB6_3545 Depth=2
	s_or_b64 exec, exec, s[18:19]
	v_add_f32_e32 v2, v4, v0
	v_and_b32_sdwa v0, v2, s69 dst_sel:DWORD dst_unused:UNUSED_PAD src0_sel:BYTE_3 src1_sel:DWORD
	v_and_b32_e32 v4, 0x7f800000, v2
	v_mov_b32_e32 v5, v53
	v_and_b32_e32 v52, 0x7fffff, v2
	v_or_b32_e32 v3, 0x7e, v0
	v_cmp_ne_u64_e32 vcc, s[38:39], v[4:5]
	s_and_saveexec_b64 s[18:19], vcc
	s_xor_b64 s[52:53], exec, s[18:19]
	s_cbranch_execz .LBB6_3571
; %bb.3558:                             ;   in Loop: Header=BB6_3545 Depth=2
	v_and_b32_e32 v4, 0x7fffffff, v2
	v_mov_b32_e32 v5, v53
	v_cmp_gt_u64_e32 vcc, s[40:41], v[4:5]
	s_and_saveexec_b64 s[18:19], vcc
	s_xor_b64 s[54:55], exec, s[18:19]
	s_cbranch_execz .LBB6_3570
; %bb.3559:                             ;   in Loop: Header=BB6_3545 Depth=2
	v_cmp_ne_u32_e32 vcc, 0, v2
	v_mov_b32_e32 v3, 0
	s_and_saveexec_b64 s[56:57], vcc
	s_cbranch_execz .LBB6_3569
; %bb.3560:                             ;   in Loop: Header=BB6_3545 Depth=2
	v_bfe_u32 v2, v2, 23, 8
	v_sub_u32_e32 v4, 0x79, v2
	v_cmp_gt_u32_e32 vcc, s72, v2
	v_cndmask_b32_e32 v4, 0, v4, vcc
	v_cmp_eq_u32_e32 vcc, 0, v2
	v_or_b32_e32 v5, 0x800000, v52
	v_cndmask_b32_e32 v4, v4, v38, vcc
	v_add_u32_e32 v3, 0xffffff81, v2
	v_cndmask_b32_e32 v52, v5, v52, vcc
	v_add_u32_e32 v2, 20, v4
	v_cndmask_b32_e32 v16, v3, v33, vcc
	v_lshlrev_b64 v[2:3], v2, -1
	v_add_u32_e32 v5, 19, v4
	v_lshrrev_b64 v[8:9], v4, v[52:53]
	v_not_b32_e32 v3, v3
	v_not_b32_e32 v2, v2
	v_lshlrev_b64 v[6:7], v5, 1
	v_lshrrev_b32_e32 v5, 23, v8
	v_and_b32_e32 v3, 0, v3
	v_and_b32_e32 v2, v52, v2
	v_add3_u32 v16, v4, v16, v5
	v_bfe_u32 v4, v8, 20, 1
	v_add_u32_e32 v4, -1, v4
	v_cmp_eq_u64_e32 vcc, v[2:3], v[6:7]
	v_cndmask_b32_e32 v2, 0, v4, vcc
	v_add_u32_e32 v2, v2, v8
	v_and_b32_e32 v2, 0xfffff, v2
	v_add_co_u32_e32 v2, vcc, v2, v8
	v_add_u32_e32 v5, 6, v16
	v_addc_co_u32_e32 v3, vcc, 0, v9, vcc
	v_cmp_ne_u32_e32 vcc, 0, v5
                                        ; implicit-def: $vgpr4
	s_and_saveexec_b64 s[18:19], vcc
	s_xor_b64 s[18:19], exec, s[18:19]
; %bb.3561:                             ;   in Loop: Header=BB6_3545 Depth=2
	v_add_u32_e32 v4, 7, v16
	v_cmp_lt_u64_e32 vcc, s[44:45], v[2:3]
	v_cndmask_b32_e32 v4, v5, v4, vcc
	v_cndmask_b32_e64 v5, 0, 1, vcc
	v_lshrrev_b64 v[2:3], v5, v[2:3]
; %bb.3562:                             ;   in Loop: Header=BB6_3545 Depth=2
	s_andn2_saveexec_b64 s[18:19], s[18:19]
; %bb.3563:                             ;   in Loop: Header=BB6_3545 Depth=2
	v_bfe_u32 v4, v2, 23, 1
; %bb.3564:                             ;   in Loop: Header=BB6_3545 Depth=2
	s_or_b64 exec, exec, s[18:19]
	v_lshrrev_b64 v[2:3], 20, v[2:3]
	v_cmp_gt_i32_e32 vcc, 16, v4
	v_cndmask_b32_e32 v3, 0, v3, vcc
	v_cndmask_b32_e32 v2, 7, v2, vcc
	v_cmp_ne_u32_e32 vcc, 0, v4
	v_cmp_ne_u64_e64 s[18:19], 0, v[2:3]
	s_or_b64 s[18:19], vcc, s[18:19]
                                        ; implicit-def: $vgpr3
	s_and_saveexec_b64 vcc, s[18:19]
	s_xor_b64 s[18:19], exec, vcc
; %bb.3565:                             ;   in Loop: Header=BB6_3545 Depth=2
	v_min_i32_e32 v3, 15, v4
	v_lshl_or_b32 v0, v3, 3, v0
	v_and_or_b32 v3, v2, 7, v0
                                        ; implicit-def: $vgpr0
; %bb.3566:                             ;   in Loop: Header=BB6_3545 Depth=2
	s_andn2_saveexec_b64 s[18:19], s[18:19]
; %bb.3567:                             ;   in Loop: Header=BB6_3545 Depth=2
	v_mov_b32_e32 v3, v0
; %bb.3568:                             ;   in Loop: Header=BB6_3545 Depth=2
	s_or_b64 exec, exec, s[18:19]
.LBB6_3569:                             ;   in Loop: Header=BB6_3545 Depth=2
	s_or_b64 exec, exec, s[56:57]
.LBB6_3570:                             ;   in Loop: Header=BB6_3545 Depth=2
	s_andn2_saveexec_b64 s[18:19], s[54:55]
	s_or_b64 exec, exec, s[18:19]
                                        ; implicit-def: $vgpr2
.LBB6_3571:                             ;   in Loop: Header=BB6_3545 Depth=2
	s_andn2_saveexec_b64 s[18:19], s[52:53]
	s_cbranch_execz .LBB6_3544
; %bb.3572:                             ;   in Loop: Header=BB6_3545 Depth=2
	v_or_b32_sdwa v0, v2, s71 dst_sel:DWORD dst_unused:UNUSED_PAD src0_sel:BYTE_3 src1_sel:DWORD
	v_cmp_eq_u64_e32 vcc, 0, v[52:53]
	v_cndmask_b32_e32 v3, v0, v3, vcc
	s_branch .LBB6_3544
.LBB6_3573:                             ;   in Loop: Header=BB6_1854 Depth=1
	s_or_b64 exec, exec, s[20:21]
	v_cmp_ne_u32_e64 s[18:19], 0, v56
.LBB6_3574:                             ;   in Loop: Header=BB6_1854 Depth=1
	s_and_saveexec_b64 s[20:21], s[10:11]
	s_cbranch_execz .LBB6_3593
; %bb.3575:                             ;   in Loop: Header=BB6_1854 Depth=1
	s_and_saveexec_b64 vcc, s[30:31]
	s_xor_b64 s[50:51], exec, vcc
	s_cbranch_execz .LBB6_3590
; %bb.3576:                             ;   in Loop: Header=BB6_1854 Depth=1
	s_and_saveexec_b64 s[52:53], s[12:13]
	s_cbranch_execz .LBB6_3589
; %bb.3577:                             ;   in Loop: Header=BB6_1854 Depth=1
	s_mov_b64 s[56:57], exec
	v_mbcnt_lo_u32_b32 v0, s56, 0
	v_mbcnt_hi_u32_b32 v0, s57, v0
	v_cmp_eq_u32_e32 vcc, 0, v0
	s_waitcnt vmcnt(0) lgkmcnt(0)
	buffer_wbinvl1_vol
	s_and_saveexec_b64 s[54:55], vcc
	s_cbranch_execz .LBB6_3579
; %bb.3578:                             ;   in Loop: Header=BB6_1854 Depth=1
	s_bcnt1_i32_b64 vcc_lo, s[56:57]
	v_mov_b32_e32 v52, vcc_lo
	ds_add_u64 v0, v[52:53]
	s_trap 2
.LBB6_3579:                             ;   in Loop: Header=BB6_1854 Depth=1
	s_or_b64 exec, exec, s[54:55]
	s_trap 2
	ds_read_b64 v[0:1], v0
	v_accvgpr_read_b32 v2, a22
	v_accvgpr_read_b32 v4, a26
	;; [unrolled: 1-line block ×3, first 2 shown]
	v_add_co_u32_e32 v2, vcc, v2, v4
	v_addc_co_u32_e32 v3, vcc, 0, v3, vcc
	v_accvgpr_write_b32 a23, v3
	v_accvgpr_write_b32 a22, v2
	s_waitcnt lgkmcnt(0)
	v_cmp_lt_u64_e32 vcc, v[0:1], v[2:3]
	s_and_saveexec_b64 s[54:55], vcc
	s_cbranch_execz .LBB6_3588
; %bb.3580:                             ;   in Loop: Header=BB6_1854 Depth=1
	s_mov_b32 s74, 0
	s_mov_b64 s[56:57], 0
                                        ; implicit-def: $sgpr58_sgpr59
                                        ; implicit-def: $sgpr60_sgpr61
	s_branch .LBB6_3582
.LBB6_3581:                             ;   in Loop: Header=BB6_3582 Depth=2
	s_or_b64 exec, exec, s[64:65]
	s_and_b64 vcc, exec, vcc
	s_or_b64 s[56:57], vcc, s[56:57]
	s_andn2_b64 vcc, s[58:59], exec
	s_and_b64 s[58:59], s[60:61], exec
	s_or_b64 s[58:59], vcc, s[58:59]
	s_andn2_b64 exec, exec, s[56:57]
	s_cbranch_execz .LBB6_3586
.LBB6_3582:                             ;   Parent Loop BB6_1854 Depth=1
                                        ; =>  This Inner Loop Header: Depth=2
	s_add_i32 s74, s74, 1
	s_cmpk_lg_i32 s74, 0x2710
	s_cselect_b64 s[62:63], -1, 0
	s_and_b64 vcc, exec, s[62:63]
                                        ; implicit-def: $sgpr64_sgpr65
	s_cbranch_vccnz .LBB6_3584
; %bb.3583:                             ;   in Loop: Header=BB6_3582 Depth=2
	s_trap 2
	ds_read_b64 v[0:1], v0
	s_andn2_b64 s[62:63], s[62:63], exec
	s_mov_b32 s74, 0
	s_mov_b64 s[64:65], -1
	s_waitcnt lgkmcnt(0)
	flat_load_dword v0, v[0:1] glc
	s_waitcnt vmcnt(0) lgkmcnt(0)
	buffer_invl2
	buffer_wbinvl1_vol
	v_cmp_eq_u32_e32 vcc, 0, v0
	s_and_b64 vcc, vcc, exec
	s_or_b64 s[62:63], s[62:63], vcc
.LBB6_3584:                             ;   in Loop: Header=BB6_3582 Depth=2
	s_andn2_b64 s[60:61], s[60:61], exec
	s_and_b64 s[64:65], s[64:65], exec
	s_mov_b64 vcc, -1
	s_or_b64 s[60:61], s[60:61], s[64:65]
	s_and_saveexec_b64 s[64:65], s[62:63]
	s_cbranch_execz .LBB6_3581
; %bb.3585:                             ;   in Loop: Header=BB6_3582 Depth=2
	s_sleep 1
	s_trap 2
	ds_read_b64 v[0:1], v0
	v_accvgpr_read_b32 v2, a22
	v_accvgpr_read_b32 v3, a23
	s_andn2_b64 s[60:61], s[60:61], exec
	s_waitcnt lgkmcnt(0)
	v_cmp_ge_u64_e32 vcc, v[0:1], v[2:3]
	s_orn2_b64 vcc, vcc, exec
	s_branch .LBB6_3581
.LBB6_3586:                             ;   in Loop: Header=BB6_1854 Depth=1
	s_or_b64 exec, exec, s[56:57]
	s_and_saveexec_b64 vcc, s[58:59]
	s_xor_b64 vcc, exec, vcc
	s_cbranch_execz .LBB6_3588
; %bb.3587:                             ;   in Loop: Header=BB6_1854 Depth=1
	v_mov_b32_e32 v0, 1
	ds_write_b32 v0, v0
	s_trap 2
.LBB6_3588:                             ;   in Loop: Header=BB6_1854 Depth=1
	s_or_b64 exec, exec, s[54:55]
	;;#ASMSTART
	s_wakeup
	;;#ASMEND
.LBB6_3589:                             ;   in Loop: Header=BB6_1854 Depth=1
	s_or_b64 exec, exec, s[52:53]
.LBB6_3590:                             ;   in Loop: Header=BB6_1854 Depth=1
	s_andn2_saveexec_b64 vcc, s[50:51]
	s_cbranch_execz .LBB6_3592
; %bb.3591:                             ;   in Loop: Header=BB6_1854 Depth=1
	s_waitcnt vmcnt(0) lgkmcnt(0)
	buffer_wbinvl1_vol
	s_barrier
.LBB6_3592:                             ;   in Loop: Header=BB6_1854 Depth=1
	s_or_b64 exec, exec, vcc
.LBB6_3593:                             ;   in Loop: Header=BB6_1854 Depth=1
	s_or_b64 exec, exec, s[20:21]
	v_and_b32_e32 v0, 16, v62
	v_cmp_ne_u32_e32 vcc, 0, v0
	s_and_b64 s[20:21], vcc, s[18:19]
	s_and_saveexec_b64 s[18:19], s[20:21]
	s_cbranch_execz .LBB6_3595
; %bb.3594:                             ;   in Loop: Header=BB6_1854 Depth=1
	s_waitcnt vmcnt(0) lgkmcnt(0)
	buffer_wbinvl1_vol
.LBB6_3595:                             ;   in Loop: Header=BB6_1854 Depth=1
	s_or_b64 exec, exec, s[18:19]
	v_and_b32_e32 v0, 32, v62
	v_cmp_ne_u32_e32 vcc, 0, v0
	s_and_saveexec_b64 s[18:19], vcc
	s_cbranch_execz .LBB6_3597
; %bb.3596:                             ;   in Loop: Header=BB6_1854 Depth=1
	v_accvgpr_read_b32 v0, a12
	v_accvgpr_read_b32 v2, a14
	v_accvgpr_read_b32 v3, a15
	v_add_co_u32_e32 v2, vcc, 1, v2
	v_addc_co_u32_e32 v3, vcc, 0, v3, vcc
	v_accvgpr_read_b32 v1, a13
	v_accvgpr_write_b32 a15, v3
	v_accvgpr_write_b32 a14, v2
	;; [unrolled: 1-line block ×4, first 2 shown]
	v_accvgpr_read_b32 v0, a16
	v_accvgpr_read_b32 v1, a17
	flat_store_dwordx2 v[0:1], v[2:3]
.LBB6_3597:                             ;   in Loop: Header=BB6_1854 Depth=1
	s_or_b64 exec, exec, s[18:19]
	v_mov_b32_e32 v0, v47
.LBB6_3598:                             ;   in Loop: Header=BB6_1854 Depth=1
	s_or_b64 exec, exec, s[48:49]
	s_and_saveexec_b64 s[20:21], s[46:47]
	s_cbranch_execz .LBB6_1853
; %bb.3599:                             ;   in Loop: Header=BB6_1854 Depth=1
	v_and_b32_e32 v1, 4, v62
	v_cmp_ne_u32_e32 vcc, 0, v1
	s_mov_b64 s[46:47], -1
	s_and_saveexec_b64 s[18:19], vcc
	s_cbranch_execnz .LBB6_3602
; %bb.3600:                             ;   in Loop: Header=BB6_1854 Depth=1
	s_or_b64 exec, exec, s[18:19]
	s_xor_b64 s[18:19], s[46:47], -1
	s_and_saveexec_b64 s[46:47], s[18:19]
	s_cbranch_execnz .LBB6_3613
.LBB6_3601:                             ;   in Loop: Header=BB6_1854 Depth=1
	s_or_b64 exec, exec, s[46:47]
	s_and_saveexec_b64 s[18:19], s[10:11]
	s_cbranch_execnz .LBB6_3622
	s_branch .LBB6_3640
.LBB6_3602:                             ;   in Loop: Header=BB6_1854 Depth=1
	v_accvgpr_read_b32 v2, a12
	v_accvgpr_read_b32 v4, a14
	;; [unrolled: 1-line block ×3, first 2 shown]
	v_add_co_u32_e32 v10, vcc, 1, v4
	v_addc_co_u32_e32 v11, vcc, 0, v5, vcc
	v_cmp_lt_u64_e32 vcc, v[36:37], v[10:11]
	v_mov_b32_e32 v1, 1
	v_accvgpr_read_b32 v3, a13
	s_and_saveexec_b64 s[46:47], vcc
	s_cbranch_execz .LBB6_3612
; %bb.3603:                             ;   in Loop: Header=BB6_1854 Depth=1
	s_mov_b64 s[48:49], 0
	v_mov_b32_e32 v1, 0
                                        ; implicit-def: $sgpr50_sgpr51
	s_branch .LBB6_3607
.LBB6_3604:                             ;   in Loop: Header=BB6_3607 Depth=2
	s_or_b64 exec, exec, s[58:59]
	v_mov_b32_e32 v2, 0
	s_orn2_b64 s[56:57], s[56:57], exec
.LBB6_3605:                             ;   in Loop: Header=BB6_3607 Depth=2
	s_or_b64 exec, exec, s[54:55]
	s_andn2_b64 vcc, s[50:51], exec
	s_and_b64 s[50:51], s[56:57], exec
	s_or_b64 s[50:51], vcc, s[50:51]
	v_mov_b32_e32 v1, v2
.LBB6_3606:                             ;   in Loop: Header=BB6_3607 Depth=2
	s_or_b64 exec, exec, s[52:53]
	s_waitcnt vmcnt(0) lgkmcnt(0)
	v_cmp_ge_u64_e32 vcc, v[36:37], v[10:11]
	s_xor_b64 s[52:53], s[50:51], -1
	s_or_b64 vcc, s[52:53], vcc
	s_and_b64 vcc, exec, vcc
	s_or_b64 s[48:49], vcc, s[48:49]
	s_andn2_b64 exec, exec, s[48:49]
	s_cbranch_execz .LBB6_3611
.LBB6_3607:                             ;   Parent Loop BB6_1854 Depth=1
                                        ; =>  This Inner Loop Header: Depth=2
	v_accvgpr_read_b32 v2, a16
	v_accvgpr_read_b32 v3, a17
	s_sleep 1
	flat_load_dwordx2 v[36:37], v[2:3] glc
	v_and_b32_e32 v2, 64, v62
	v_cmp_eq_u32_e32 vcc, 0, v2
	s_andn2_b64 s[50:51], s[50:51], exec
	s_and_saveexec_b64 s[52:53], vcc
	s_cbranch_execz .LBB6_3606
; %bb.3608:                             ;   in Loop: Header=BB6_3607 Depth=2
	v_add_u32_e32 v2, 1, v1
	v_cmp_lt_i32_e32 vcc, s68, v1
	s_mov_b64 s[56:57], -1
	s_and_saveexec_b64 s[54:55], vcc
	s_cbranch_execz .LBB6_3605
; %bb.3609:                             ;   in Loop: Header=BB6_3607 Depth=2
	s_trap 2
	ds_read_b64 v[2:3], v0
	s_waitcnt vmcnt(0) lgkmcnt(0)
	flat_load_dword v1, v[2:3] glc
	s_waitcnt vmcnt(0) lgkmcnt(0)
	buffer_invl2
	buffer_wbinvl1_vol
	v_cmp_ne_u32_e32 vcc, 0, v1
	s_and_saveexec_b64 s[58:59], vcc
	s_cbranch_execz .LBB6_3604
; %bb.3610:                             ;   in Loop: Header=BB6_3607 Depth=2
	v_or_b32_e32 v62, 64, v62
	s_xor_b64 s[56:57], exec, -1
	ds_write_b32 v0, v1
	s_trap 2
	s_branch .LBB6_3604
.LBB6_3611:                             ;   in Loop: Header=BB6_1854 Depth=1
	s_or_b64 exec, exec, s[48:49]
	v_and_b32_e32 v1, 4, v62
.LBB6_3612:                             ;   in Loop: Header=BB6_1854 Depth=1
	s_or_b64 exec, exec, s[46:47]
	v_cmp_eq_u32_e32 vcc, 0, v1
	s_orn2_b64 s[46:47], vcc, exec
	;;#ASMSTART
	s_wakeup
	;;#ASMEND
	s_or_b64 exec, exec, s[18:19]
	s_xor_b64 s[18:19], s[46:47], -1
	s_and_saveexec_b64 s[46:47], s[18:19]
	s_cbranch_execz .LBB6_3601
.LBB6_3613:                             ;   in Loop: Header=BB6_1854 Depth=1
	v_accvgpr_read_b32 v2, a12
	v_and_b32_e32 v1, 0x100, v62
	v_accvgpr_read_b32 v4, a14
	v_cmp_ne_u32_e32 vcc, 0, v1
	v_accvgpr_read_b32 v3, a13
	v_and_b32_e32 v1, 7, v4
	s_mov_b64 s[18:19], -1
	v_accvgpr_read_b32 v5, a15
                                        ; implicit-def: $vgpr2_vgpr3
	s_and_saveexec_b64 s[48:49], vcc
	s_cbranch_execz .LBB6_3617
; %bb.3614:                             ;   in Loop: Header=BB6_1854 Depth=1
	v_accvgpr_read_b32 v2, a12
	v_accvgpr_read_b32 v3, a13
	v_mad_u64_u32 v[10:11], s[18:19], v1, 24, v[2:3]
	flat_load_dword v2, v[10:11]
	v_accvgpr_read_b32 v4, a14
	v_accvgpr_read_b32 v5, a15
	s_waitcnt vmcnt(0) lgkmcnt(0)
	v_cmp_ne_u32_e32 vcc, 1, v2
	v_cmp_eq_u32_e64 s[18:19], 1, v2
                                        ; implicit-def: $vgpr2_vgpr3
	s_and_saveexec_b64 s[50:51], s[18:19]
	s_cbranch_execz .LBB6_3616
; %bb.3615:                             ;   in Loop: Header=BB6_1854 Depth=1
	flat_load_dword v2, v[10:11] offset:4 glc
	s_waitcnt vmcnt(0) lgkmcnt(0)
	v_ashrrev_i32_e32 v3, 31, v2
.LBB6_3616:                             ;   in Loop: Header=BB6_1854 Depth=1
	s_or_b64 exec, exec, s[50:51]
	s_orn2_b64 s[18:19], vcc, exec
.LBB6_3617:                             ;   in Loop: Header=BB6_1854 Depth=1
	s_or_b64 exec, exec, s[48:49]
	s_and_saveexec_b64 vcc, s[18:19]
; %bb.3618:                             ;   in Loop: Header=BB6_1854 Depth=1
	v_accvgpr_read_b32 v2, a18
	v_mad_i64_i32 v[2:3], s[18:19], v1, v2, 0
; %bb.3619:                             ;   in Loop: Header=BB6_1854 Depth=1
	s_or_b64 exec, exec, vcc
	v_accvgpr_read_b32 v4, a20
	v_accvgpr_read_b32 v5, a21
	v_add_co_u32_e32 v2, vcc, v4, v2
	v_addc_co_u32_e32 v3, vcc, v5, v3, vcc
	v_and_b32_e32 v1, 0x2000, v62
	v_cmp_ne_u32_e32 vcc, 0, v1
	ds_write_b64 v0, v[2:3] offset:728
	s_and_saveexec_b64 s[18:19], vcc
	s_cbranch_execz .LBB6_3621
; %bb.3620:                             ;   in Loop: Header=BB6_1854 Depth=1
	ds_read_b64 v[2:3], v0 offset:584
	s_waitcnt lgkmcnt(0)
	v_add_co_u32_e32 v2, vcc, 1, v2
	v_addc_co_u32_e32 v3, vcc, 0, v3, vcc
	ds_write_b64 v0, v[2:3] offset:584
.LBB6_3621:                             ;   in Loop: Header=BB6_1854 Depth=1
	s_or_b64 exec, exec, s[18:19]
	v_accvgpr_read_b32 v2, a12
	v_accvgpr_read_b32 v4, a14
	;; [unrolled: 1-line block ×3, first 2 shown]
	v_add_co_u32_e32 v4, vcc, 1, v4
	v_addc_co_u32_e32 v5, vcc, 0, v5, vcc
	v_accvgpr_read_b32 v3, a13
	v_accvgpr_write_b32 a15, v5
	v_accvgpr_write_b32 a14, v4
	v_accvgpr_write_b32 a13, v3
	v_accvgpr_write_b32 a12, v2
	s_or_b64 exec, exec, s[46:47]
	s_and_saveexec_b64 s[18:19], s[10:11]
	s_cbranch_execz .LBB6_3640
.LBB6_3622:                             ;   in Loop: Header=BB6_1854 Depth=1
	s_and_saveexec_b64 vcc, s[30:31]
	s_xor_b64 s[46:47], exec, vcc
	s_cbranch_execz .LBB6_3637
; %bb.3623:                             ;   in Loop: Header=BB6_1854 Depth=1
	s_and_saveexec_b64 s[48:49], s[12:13]
	s_cbranch_execz .LBB6_3636
; %bb.3624:                             ;   in Loop: Header=BB6_1854 Depth=1
	s_mov_b64 s[52:53], exec
	v_mbcnt_lo_u32_b32 v1, s52, 0
	v_mbcnt_hi_u32_b32 v1, s53, v1
	v_cmp_eq_u32_e32 vcc, 0, v1
	s_waitcnt vmcnt(0) lgkmcnt(0)
	buffer_wbinvl1_vol
	s_and_saveexec_b64 s[50:51], vcc
	s_cbranch_execz .LBB6_3626
; %bb.3625:                             ;   in Loop: Header=BB6_1854 Depth=1
	s_bcnt1_i32_b64 vcc_lo, s[52:53]
	v_mov_b32_e32 v52, vcc_lo
	ds_add_u64 v0, v[52:53]
	s_trap 2
.LBB6_3626:                             ;   in Loop: Header=BB6_1854 Depth=1
	s_or_b64 exec, exec, s[50:51]
	s_trap 2
	ds_read_b64 v[2:3], v0
	v_accvgpr_read_b32 v4, a22
	v_accvgpr_read_b32 v6, a26
	;; [unrolled: 1-line block ×3, first 2 shown]
	v_add_co_u32_e32 v4, vcc, v4, v6
	v_addc_co_u32_e32 v5, vcc, 0, v5, vcc
	v_accvgpr_write_b32 a23, v5
	v_accvgpr_write_b32 a22, v4
	s_waitcnt lgkmcnt(0)
	v_cmp_lt_u64_e32 vcc, v[2:3], v[4:5]
	s_and_saveexec_b64 s[50:51], vcc
	s_cbranch_execz .LBB6_3635
; %bb.3627:                             ;   in Loop: Header=BB6_1854 Depth=1
	s_mov_b32 s62, 0
	s_mov_b64 s[52:53], 0
                                        ; implicit-def: $sgpr54_sgpr55
                                        ; implicit-def: $sgpr56_sgpr57
	s_branch .LBB6_3629
.LBB6_3628:                             ;   in Loop: Header=BB6_3629 Depth=2
	s_or_b64 exec, exec, s[60:61]
	s_and_b64 vcc, exec, vcc
	s_or_b64 s[52:53], vcc, s[52:53]
	s_andn2_b64 vcc, s[54:55], exec
	s_and_b64 s[54:55], s[56:57], exec
	s_or_b64 s[54:55], vcc, s[54:55]
	s_andn2_b64 exec, exec, s[52:53]
	s_cbranch_execz .LBB6_3633
.LBB6_3629:                             ;   Parent Loop BB6_1854 Depth=1
                                        ; =>  This Inner Loop Header: Depth=2
	s_add_i32 s62, s62, 1
	s_cmpk_lg_i32 s62, 0x2710
	s_cselect_b64 s[58:59], -1, 0
	s_and_b64 vcc, exec, s[58:59]
                                        ; implicit-def: $sgpr60_sgpr61
	s_cbranch_vccnz .LBB6_3631
; %bb.3630:                             ;   in Loop: Header=BB6_3629 Depth=2
	s_trap 2
	ds_read_b64 v[2:3], v0
	s_andn2_b64 s[58:59], s[58:59], exec
	s_mov_b32 s62, 0
	s_mov_b64 s[60:61], -1
	s_waitcnt lgkmcnt(0)
	flat_load_dword v1, v[2:3] glc
	s_waitcnt vmcnt(0) lgkmcnt(0)
	buffer_invl2
	buffer_wbinvl1_vol
	v_cmp_eq_u32_e32 vcc, 0, v1
	s_and_b64 vcc, vcc, exec
	s_or_b64 s[58:59], s[58:59], vcc
.LBB6_3631:                             ;   in Loop: Header=BB6_3629 Depth=2
	s_andn2_b64 s[56:57], s[56:57], exec
	s_and_b64 s[60:61], s[60:61], exec
	s_mov_b64 vcc, -1
	s_or_b64 s[56:57], s[56:57], s[60:61]
	s_and_saveexec_b64 s[60:61], s[58:59]
	s_cbranch_execz .LBB6_3628
; %bb.3632:                             ;   in Loop: Header=BB6_3629 Depth=2
	s_sleep 1
	s_trap 2
	ds_read_b64 v[2:3], v0
	v_accvgpr_read_b32 v4, a22
	v_accvgpr_read_b32 v5, a23
	s_andn2_b64 s[56:57], s[56:57], exec
	s_waitcnt lgkmcnt(0)
	v_cmp_ge_u64_e32 vcc, v[2:3], v[4:5]
	s_orn2_b64 vcc, vcc, exec
	s_branch .LBB6_3628
.LBB6_3633:                             ;   in Loop: Header=BB6_1854 Depth=1
	s_or_b64 exec, exec, s[52:53]
	s_and_saveexec_b64 vcc, s[54:55]
	s_xor_b64 vcc, exec, vcc
	s_cbranch_execz .LBB6_3635
; %bb.3634:                             ;   in Loop: Header=BB6_1854 Depth=1
	v_mov_b32_e32 v1, 1
	ds_write_b32 v0, v1
	s_trap 2
.LBB6_3635:                             ;   in Loop: Header=BB6_1854 Depth=1
	s_or_b64 exec, exec, s[50:51]
	;;#ASMSTART
	s_wakeup
	;;#ASMEND
.LBB6_3636:                             ;   in Loop: Header=BB6_1854 Depth=1
	s_or_b64 exec, exec, s[48:49]
.LBB6_3637:                             ;   in Loop: Header=BB6_1854 Depth=1
	s_andn2_saveexec_b64 vcc, s[46:47]
	s_cbranch_execz .LBB6_3639
; %bb.3638:                             ;   in Loop: Header=BB6_1854 Depth=1
	s_waitcnt vmcnt(0) lgkmcnt(0)
	buffer_wbinvl1_vol
	s_barrier
.LBB6_3639:                             ;   in Loop: Header=BB6_1854 Depth=1
	s_or_b64 exec, exec, vcc
.LBB6_3640:                             ;   in Loop: Header=BB6_1854 Depth=1
	s_or_b64 exec, exec, s[18:19]
	s_trap 2
	ds_read_b32 v1, v0
	v_sub_u32_e32 v0, v40, v0
	v_min_i32_e32 v0, v47, v0
	v_cmp_lt_i32_e32 vcc, 0, v0
	v_and_b32_e32 v0, 16, v62
	s_waitcnt lgkmcnt(0)
	v_readfirstlane_b32 s18, v1
	s_cmp_eq_u32 s18, 0
	s_cselect_b64 s[18:19], -1, 0
	s_and_b64 s[18:19], vcc, s[18:19]
	v_cmp_ne_u32_e32 vcc, 0, v0
	s_and_b64 vcc, vcc, s[18:19]
	s_and_saveexec_b64 s[18:19], vcc
	s_cbranch_execz .LBB6_3642
; %bb.3641:                             ;   in Loop: Header=BB6_1854 Depth=1
	s_waitcnt vmcnt(0)
	buffer_wbinvl1_vol
.LBB6_3642:                             ;   in Loop: Header=BB6_1854 Depth=1
	s_or_b64 exec, exec, s[18:19]
	v_and_b32_e32 v0, 32, v62
	v_cmp_ne_u32_e32 vcc, 0, v0
	s_and_saveexec_b64 s[18:19], vcc
	s_cbranch_execz .LBB6_1852
; %bb.3643:                             ;   in Loop: Header=BB6_1854 Depth=1
	v_accvgpr_read_b32 v0, a12
	v_accvgpr_read_b32 v2, a14
	;; [unrolled: 1-line block ×3, first 2 shown]
	v_add_co_u32_e32 v2, vcc, 1, v2
	v_addc_co_u32_e32 v3, vcc, 0, v3, vcc
	v_accvgpr_read_b32 v1, a13
	v_accvgpr_write_b32 a15, v3
	v_accvgpr_write_b32 a14, v2
	;; [unrolled: 1-line block ×4, first 2 shown]
	v_accvgpr_read_b32 v0, a16
	v_accvgpr_read_b32 v1, a17
	flat_store_dwordx2 v[0:1], v[2:3]
	s_branch .LBB6_1852
.LBB6_3644:
	s_or_b64 exec, exec, s[34:35]
	v_accvgpr_read_b32 v29, a11
	v_accvgpr_read_b32 v45, a15
	v_mov_b32_e32 v27, v39
	v_accvgpr_read_b32 v31, a0
	v_accvgpr_read_b32 v8, a1
	;; [unrolled: 1-line block ×6, first 2 shown]
.LBB6_3645:
	s_or_b64 exec, exec, s[24:25]
.LBB6_3646:
	s_or_b64 exec, exec, s[22:23]
                                        ; implicit-def: $vgpr58_vgpr59
                                        ; implicit-def: $vgpr40_vgpr41
                                        ; implicit-def: $agpr26_agpr27
                                        ; implicit-def: $agpr18
                                        ; implicit-def: $vgpr36_vgpr37
                                        ; implicit-def: $agpr20_agpr21
                                        ; implicit-def: $vgpr60_vgpr61
                                        ; implicit-def: $vgpr46
                                        ; implicit-def: $vgpr1
                                        ; implicit-def: $vgpr32_vgpr33
.LBB6_3647:
	s_andn2_saveexec_b64 s[22:23], s[28:29]
	s_cbranch_execz .LBB6_3820
; %bb.3648:
	v_pk_mov_b32 v[2:3], 0, 0
	v_accvgpr_write_b32 a23, v3
	s_mov_b64 s[28:29], 0
	v_cmp_ne_u64_e32 vcc, 0, v[40:41]
	v_accvgpr_write_b32 a22, v2
	s_and_saveexec_b64 s[24:25], vcc
	s_cbranch_execz .LBB6_3819
; %bb.3649:
	v_and_b32_e32 v0, 63, v31
	v_cmp_eq_u32_e64 s[12:13], 0, v0
	v_ashrrev_i32_e32 v0, 31, v46
	v_lshrrev_b32_e32 v0, 26, v0
	v_add_u32_e32 v2, v46, v0
	v_and_b32_e32 v0, 0xffffffc0, v2
	v_ashrrev_i32_e32 v9, 6, v2
	v_sub_u32_e32 v0, v46, v0
	v_lshlrev_b32_e32 v2, 12, v9
	s_waitcnt vmcnt(0)
	v_lshrrev_b32_e32 v10, 6, v27
	v_lshl_add_u32 v14, v0, 4, v2
	v_mov_b32_e32 v2, 0xfffff000
	v_lshl_add_u32 v2, v10, 12, v2
	s_movk_i32 s18, 0x1000
	v_ashrrev_i32_e32 v3, 31, v2
	v_add_co_u32_e64 v25, s[18:19], s18, v2
	v_cmp_gt_i32_e64 s[14:15], 1, v0
	v_cmp_lt_i32_e64 s[16:17], v0, v1
	v_accvgpr_write_b32 a3, v0
	v_addc_co_u32_e64 v26, s[18:19], 0, v3, s[18:19]
	v_lshlrev_b32_e32 v0, 10, v10
	v_add_u32_e32 v2, 0xfffffc00, v0
	s_movk_i32 s18, 0x400
	v_ashrrev_i32_e32 v3, 31, v2
	v_add_co_u32_e64 v15, s[18:19], s18, v2
	v_addc_co_u32_e64 v47, s[18:19], 0, v3, s[18:19]
	v_mov_b32_e32 v2, 0xfffff800
	s_ashr_i32 s6, s70, 31
	v_lshl_add_u32 v2, v10, 11, v2
	s_movk_i32 s18, 0x800
	s_lshr_b32 s6, s6, 24
	v_accvgpr_write_b32 a28, v0
	v_ashrrev_i32_e32 v3, 31, v2
	v_add_co_u32_e64 v30, s[18:19], s18, v2
	v_and_b32_e32 v56, 0xffffffc0, v27
	s_waitcnt lgkmcnt(0)
	v_accvgpr_read_b32 v0, a26
	v_pk_mov_b32 v[18:19], 0, 0
	s_add_i32 s70, s70, s6
	v_cmp_eq_u32_e32 vcc, 64, v27
	v_addc_co_u32_e64 v16, s[18:19], 0, v3, s[18:19]
	v_ashrrev_i32_e32 v39, 31, v56
	v_accvgpr_read_b32 v1, a27
	v_accvgpr_write_b32 a23, v19
	v_accvgpr_write_b32 a4, v40
	;; [unrolled: 1-line block ×3, first 2 shown]
	s_ashr_i32 s58, s70, 8
	v_cmp_ge_i32_e64 s[6:7], v46, v27
	v_cmp_ne_u32_e64 s[10:11], 64, v27
	v_cmp_ne_u32_sdwa s[30:31], v8, v27 src0_sel:WORD_0 src1_sel:DWORD
	v_mov_b32_e32 v13, 0
	v_ashrrev_i32_e32 v11, 31, v14
	v_cmp_ne_u64_e64 s[18:19], 0, v[0:1]
	s_movk_i32 s59, 0x270e
	v_mov_b32_e32 v57, 1
	s_xor_b64 s[34:35], vcc, -1
	v_accvgpr_write_b32 a22, v18
	v_accvgpr_write_b32 a5, v41
	;; [unrolled: 1-line block ×4, first 2 shown]
	s_trap 2
	s_branch .LBB6_3653
.LBB6_3650:                             ;   in Loop: Header=BB6_3653 Depth=1
	s_or_b64 exec, exec, vcc
	v_add_co_u32_e32 v44, vcc, 1, v44
	v_addc_co_u32_e32 v45, vcc, 0, v45, vcc
	flat_store_dwordx2 v[60:61], v[44:45]
.LBB6_3651:                             ;   in Loop: Header=BB6_3653 Depth=1
	s_or_b64 exec, exec, s[20:21]
.LBB6_3652:                             ;   in Loop: Header=BB6_3653 Depth=1
	s_or_b64 exec, exec, s[38:39]
	v_add_co_u32_e32 v18, vcc, v18, v32
	v_addc_co_u32_e32 v19, vcc, 0, v19, vcc
	v_cmp_ge_u64_e32 vcc, v[18:19], v[40:41]
	s_or_b64 s[28:29], vcc, s[28:29]
	s_andn2_b64 exec, exec, s[28:29]
	s_cbranch_execz .LBB6_3818
.LBB6_3653:                             ; =>This Loop Header: Depth=1
                                        ;     Child Loop BB6_3662 Depth 2
                                        ;     Child Loop BB6_3686 Depth 2
	;; [unrolled: 1-line block ×10, first 2 shown]
	v_sub_co_u32_e32 v2, vcc, v40, v18
	v_subb_co_u32_e32 v3, vcc, v41, v19, vcc
	v_cmp_lt_u64_e32 vcc, v[32:33], v[2:3]
	v_cndmask_b32_e64 v21, v3, 0, vcc
	v_cndmask_b32_e32 v20, v2, v32, vcc
	v_add_u32_e32 v2, 15, v20
	v_cmp_eq_u64_e32 vcc, 0, v[20:21]
	v_and_b32_e32 v2, 0x7ffffff0, v2
	s_or_b64 s[36:37], s[6:7], vcc
	v_max_i32_e32 v12, s58, v2
	s_xor_b64 s[20:21], s[36:37], -1
	v_mov_b32_e32 v2, 0
	s_and_saveexec_b64 s[38:39], s[20:21]
	s_cbranch_execz .LBB6_3771
; %bb.3654:                             ;   in Loop: Header=BB6_3653 Depth=1
	s_and_saveexec_b64 s[20:21], s[4:5]
	s_cbranch_execz .LBB6_3656
; %bb.3655:                             ;   in Loop: Header=BB6_3653 Depth=1
	s_trap 2
	ds_read_b64 v[2:3], v0
	s_waitcnt lgkmcnt(0)
	v_add_co_u32_e32 v2, vcc, v2, v58
	v_addc_co_u32_e32 v3, vcc, v3, v59, vcc
	v_add_co_u32_e32 v2, vcc, v2, v18
	v_addc_co_u32_e32 v3, vcc, v3, v19, vcc
	ds_write_b64 v0, v[2:3]
	v_mov_b32_e32 v2, v13
	v_mov_b32_e32 v3, v13
	ds_write_b64 v0, v[2:3]
.LBB6_3656:                             ;   in Loop: Header=BB6_3653 Depth=1
	s_or_b64 exec, exec, s[20:21]
	v_and_b32_e32 v2, 8, v62
	v_cmp_ne_u32_e32 vcc, 0, v2
	s_mov_b64 s[40:41], -1
	s_and_saveexec_b64 s[20:21], vcc
	s_cbranch_execz .LBB6_3668
; %bb.3657:                             ;   in Loop: Header=BB6_3653 Depth=1
	v_add_co_u32_e32 v2, vcc, 8, v36
	v_addc_co_u32_e32 v3, vcc, 0, v37, vcc
	v_add_co_u32_e32 v22, vcc, 1, v44
	v_addc_co_u32_e32 v23, vcc, 0, v45, vcc
	v_cmp_lt_u64_e32 vcc, v[2:3], v[22:23]
	v_mov_b32_e32 v2, 1
	s_and_saveexec_b64 s[40:41], vcc
	s_cbranch_execz .LBB6_3667
; %bb.3658:                             ;   in Loop: Header=BB6_3653 Depth=1
	s_mov_b64 s[42:43], 0
	v_mov_b32_e32 v2, 0
                                        ; implicit-def: $sgpr44_sgpr45
	s_branch .LBB6_3662
.LBB6_3659:                             ;   in Loop: Header=BB6_3662 Depth=2
	s_or_b64 exec, exec, s[52:53]
	v_mov_b32_e32 v3, 0
	s_orn2_b64 s[50:51], s[50:51], exec
.LBB6_3660:                             ;   in Loop: Header=BB6_3662 Depth=2
	s_or_b64 exec, exec, s[48:49]
	s_andn2_b64 vcc, s[44:45], exec
	s_and_b64 s[44:45], s[50:51], exec
	s_or_b64 s[44:45], vcc, s[44:45]
	v_mov_b32_e32 v2, v3
.LBB6_3661:                             ;   in Loop: Header=BB6_3662 Depth=2
	s_or_b64 exec, exec, s[46:47]
	s_waitcnt vmcnt(0) lgkmcnt(0)
	v_add_co_u32_e32 v4, vcc, 8, v36
	v_addc_co_u32_e32 v5, vcc, 0, v37, vcc
	v_cmp_ge_u64_e32 vcc, v[4:5], v[22:23]
	s_xor_b64 s[46:47], s[44:45], -1
	s_or_b64 vcc, s[46:47], vcc
	s_and_b64 vcc, exec, vcc
	s_or_b64 s[42:43], vcc, s[42:43]
	s_andn2_b64 exec, exec, s[42:43]
	s_cbranch_execz .LBB6_3666
.LBB6_3662:                             ;   Parent Loop BB6_3653 Depth=1
                                        ; =>  This Inner Loop Header: Depth=2
	s_sleep 1
	flat_load_dwordx2 v[36:37], v[60:61] glc
	v_and_b32_e32 v3, 64, v62
	v_cmp_eq_u32_e32 vcc, 0, v3
	s_andn2_b64 s[44:45], s[44:45], exec
	s_and_saveexec_b64 s[46:47], vcc
	s_cbranch_execz .LBB6_3661
; %bb.3663:                             ;   in Loop: Header=BB6_3662 Depth=2
	v_add_u32_e32 v3, 1, v2
	v_cmp_lt_i32_e32 vcc, s59, v2
	s_mov_b64 s[50:51], -1
	s_and_saveexec_b64 s[48:49], vcc
	s_cbranch_execz .LBB6_3660
; %bb.3664:                             ;   in Loop: Header=BB6_3662 Depth=2
	s_trap 2
	ds_read_b64 v[2:3], v0
	s_waitcnt vmcnt(0) lgkmcnt(0)
	flat_load_dword v2, v[2:3] glc
	s_waitcnt vmcnt(0) lgkmcnt(0)
	buffer_invl2
	buffer_wbinvl1_vol
	v_cmp_ne_u32_e32 vcc, 0, v2
	s_and_saveexec_b64 s[52:53], vcc
	s_cbranch_execz .LBB6_3659
; %bb.3665:                             ;   in Loop: Header=BB6_3662 Depth=2
	v_or_b32_e32 v62, 64, v62
	s_xor_b64 s[50:51], exec, -1
	ds_write_b32 v0, v2
	s_trap 2
	s_branch .LBB6_3659
.LBB6_3666:                             ;   in Loop: Header=BB6_3653 Depth=1
	s_or_b64 exec, exec, s[42:43]
	v_and_b32_e32 v2, 8, v62
.LBB6_3667:                             ;   in Loop: Header=BB6_3653 Depth=1
	s_or_b64 exec, exec, s[40:41]
	v_cmp_eq_u32_e32 vcc, 0, v2
	s_orn2_b64 s[40:41], vcc, exec
	;;#ASMSTART
	s_wakeup
	;;#ASMEND
.LBB6_3668:                             ;   in Loop: Header=BB6_3653 Depth=1
	s_or_b64 exec, exec, s[20:21]
	s_xor_b64 s[20:21], s[40:41], -1
	v_min_u32_e32 v12, v12, v20
	s_and_saveexec_b64 s[40:41], s[20:21]
	s_cbranch_execz .LBB6_3678
; %bb.3669:                             ;   in Loop: Header=BB6_3653 Depth=1
	v_and_b32_e32 v2, 0x100, v62
	v_cmp_ne_u32_e32 vcc, 0, v2
	v_and_b32_e32 v4, 7, v44
	s_mov_b64 s[20:21], -1
                                        ; implicit-def: $vgpr2_vgpr3
	s_and_saveexec_b64 s[42:43], vcc
	s_cbranch_execz .LBB6_3673
; %bb.3670:                             ;   in Loop: Header=BB6_3653 Depth=1
	v_mad_u64_u32 v[22:23], s[20:21], v4, 24, v[42:43]
	flat_load_dword v2, v[22:23]
	s_waitcnt vmcnt(0) lgkmcnt(0)
	v_cmp_ne_u32_e32 vcc, 1, v2
	v_cmp_eq_u32_e64 s[20:21], 1, v2
	flat_store_dwordx2 v[22:23], v[12:13] offset:8
                                        ; implicit-def: $vgpr2_vgpr3
	s_and_saveexec_b64 s[44:45], s[20:21]
	s_cbranch_execz .LBB6_3672
; %bb.3671:                             ;   in Loop: Header=BB6_3653 Depth=1
	flat_load_dword v2, v[22:23] offset:4 glc
	s_waitcnt vmcnt(0) lgkmcnt(0)
	v_ashrrev_i32_e32 v3, 31, v2
.LBB6_3672:                             ;   in Loop: Header=BB6_3653 Depth=1
	s_or_b64 exec, exec, s[44:45]
	s_orn2_b64 s[20:21], vcc, exec
.LBB6_3673:                             ;   in Loop: Header=BB6_3653 Depth=1
	s_or_b64 exec, exec, s[42:43]
	s_and_saveexec_b64 vcc, s[20:21]
; %bb.3674:                             ;   in Loop: Header=BB6_3653 Depth=1
	v_accvgpr_read_b32 v0, a18
	v_mad_i64_i32 v[2:3], s[20:21], v4, v0, 0
; %bb.3675:                             ;   in Loop: Header=BB6_3653 Depth=1
	s_or_b64 exec, exec, vcc
	v_accvgpr_read_b32 v0, a20
	v_accvgpr_read_b32 v1, a21
	v_add_co_u32_e32 v2, vcc, v0, v2
	v_addc_co_u32_e32 v3, vcc, v1, v3, vcc
	ds_write_b64 v0, v[2:3] offset:784
	v_and_b32_e32 v2, 0x2000, v62
	v_cmp_ne_u32_e32 vcc, 0, v2
	s_and_saveexec_b64 s[20:21], vcc
	s_cbranch_execz .LBB6_3677
; %bb.3676:                             ;   in Loop: Header=BB6_3653 Depth=1
	ds_read_b64 v[2:3], v0 offset:584
	s_waitcnt lgkmcnt(0)
	v_add_co_u32_e32 v2, vcc, 1, v2
	v_addc_co_u32_e32 v3, vcc, 0, v3, vcc
	ds_write_b64 v0, v[2:3] offset:584
.LBB6_3677:                             ;   in Loop: Header=BB6_3653 Depth=1
	s_or_b64 exec, exec, s[20:21]
	v_add_co_u32_e32 v44, vcc, 1, v44
	v_addc_co_u32_e32 v45, vcc, 0, v45, vcc
.LBB6_3678:                             ;   in Loop: Header=BB6_3653 Depth=1
	s_or_b64 exec, exec, s[40:41]
	s_and_saveexec_b64 s[20:21], s[10:11]
	s_cbranch_execz .LBB6_3697
; %bb.3679:                             ;   in Loop: Header=BB6_3653 Depth=1
	s_and_saveexec_b64 vcc, s[30:31]
	s_xor_b64 s[40:41], exec, vcc
	s_cbranch_execz .LBB6_3694
; %bb.3680:                             ;   in Loop: Header=BB6_3653 Depth=1
	s_and_saveexec_b64 s[42:43], s[12:13]
	s_cbranch_execz .LBB6_3693
; %bb.3681:                             ;   in Loop: Header=BB6_3653 Depth=1
	s_mov_b64 s[46:47], exec
	v_mbcnt_lo_u32_b32 v2, s46, 0
	v_mbcnt_hi_u32_b32 v2, s47, v2
	v_cmp_eq_u32_e32 vcc, 0, v2
	s_waitcnt vmcnt(0) lgkmcnt(0)
	buffer_wbinvl1_vol
	s_and_saveexec_b64 s[44:45], vcc
	s_cbranch_execz .LBB6_3683
; %bb.3682:                             ;   in Loop: Header=BB6_3653 Depth=1
	s_bcnt1_i32_b64 vcc_lo, s[46:47]
	v_mov_b32_e32 v2, vcc_lo
	v_mov_b32_e32 v3, v13
	ds_add_u64 v0, v[2:3]
	s_trap 2
.LBB6_3683:                             ;   in Loop: Header=BB6_3653 Depth=1
	s_or_b64 exec, exec, s[44:45]
	s_trap 2
	ds_read_b64 v[2:3], v0
	v_accvgpr_read_b32 v0, a22
	v_accvgpr_read_b32 v1, a23
	v_add_co_u32_e32 v0, vcc, v0, v10
	v_addc_co_u32_e32 v1, vcc, 0, v1, vcc
	v_accvgpr_write_b32 a23, v1
	v_accvgpr_write_b32 a22, v0
	s_waitcnt lgkmcnt(0)
	v_cmp_lt_u64_e32 vcc, v[2:3], v[0:1]
	s_and_saveexec_b64 s[44:45], vcc
	s_cbranch_execz .LBB6_3692
; %bb.3684:                             ;   in Loop: Header=BB6_3653 Depth=1
	s_mov_b32 s56, 0
	s_mov_b64 s[46:47], 0
                                        ; implicit-def: $sgpr48_sgpr49
                                        ; implicit-def: $sgpr50_sgpr51
	s_branch .LBB6_3686
.LBB6_3685:                             ;   in Loop: Header=BB6_3686 Depth=2
	s_or_b64 exec, exec, s[54:55]
	s_and_b64 vcc, exec, vcc
	s_or_b64 s[46:47], vcc, s[46:47]
	s_andn2_b64 vcc, s[48:49], exec
	s_and_b64 s[48:49], s[50:51], exec
	s_or_b64 s[48:49], vcc, s[48:49]
	s_andn2_b64 exec, exec, s[46:47]
	s_cbranch_execz .LBB6_3690
.LBB6_3686:                             ;   Parent Loop BB6_3653 Depth=1
                                        ; =>  This Inner Loop Header: Depth=2
	s_add_i32 s56, s56, 1
	s_cmpk_lg_i32 s56, 0x2710
	s_cselect_b64 s[52:53], -1, 0
	s_and_b64 vcc, exec, s[52:53]
                                        ; implicit-def: $sgpr54_sgpr55
	s_cbranch_vccnz .LBB6_3688
; %bb.3687:                             ;   in Loop: Header=BB6_3686 Depth=2
	s_trap 2
	ds_read_b64 v[2:3], v0
	s_andn2_b64 s[52:53], s[52:53], exec
	s_mov_b32 s56, 0
	s_mov_b64 s[54:55], -1
	s_waitcnt lgkmcnt(0)
	flat_load_dword v2, v[2:3] glc
	s_waitcnt vmcnt(0) lgkmcnt(0)
	buffer_invl2
	buffer_wbinvl1_vol
	v_cmp_eq_u32_e32 vcc, 0, v2
	s_and_b64 vcc, vcc, exec
	s_or_b64 s[52:53], s[52:53], vcc
.LBB6_3688:                             ;   in Loop: Header=BB6_3686 Depth=2
	s_andn2_b64 s[50:51], s[50:51], exec
	s_and_b64 s[54:55], s[54:55], exec
	s_mov_b64 vcc, -1
	s_or_b64 s[50:51], s[50:51], s[54:55]
	s_and_saveexec_b64 s[54:55], s[52:53]
	s_cbranch_execz .LBB6_3685
; %bb.3689:                             ;   in Loop: Header=BB6_3686 Depth=2
	s_sleep 1
	s_trap 2
	ds_read_b64 v[2:3], v0
	v_accvgpr_read_b32 v0, a22
	v_accvgpr_read_b32 v1, a23
	s_andn2_b64 s[50:51], s[50:51], exec
	s_waitcnt lgkmcnt(0)
	v_cmp_ge_u64_e32 vcc, v[2:3], v[0:1]
	s_orn2_b64 vcc, vcc, exec
	s_branch .LBB6_3685
.LBB6_3690:                             ;   in Loop: Header=BB6_3653 Depth=1
	s_or_b64 exec, exec, s[46:47]
	s_and_saveexec_b64 vcc, s[48:49]
	s_xor_b64 vcc, exec, vcc
	s_cbranch_execz .LBB6_3692
; %bb.3691:                             ;   in Loop: Header=BB6_3653 Depth=1
	ds_write_b32 v0, v57
	s_trap 2
.LBB6_3692:                             ;   in Loop: Header=BB6_3653 Depth=1
	s_or_b64 exec, exec, s[44:45]
	;;#ASMSTART
	s_wakeup
	;;#ASMEND
.LBB6_3693:                             ;   in Loop: Header=BB6_3653 Depth=1
	s_or_b64 exec, exec, s[42:43]
.LBB6_3694:                             ;   in Loop: Header=BB6_3653 Depth=1
	s_andn2_saveexec_b64 vcc, s[40:41]
	s_cbranch_execz .LBB6_3696
; %bb.3695:                             ;   in Loop: Header=BB6_3653 Depth=1
	s_waitcnt vmcnt(0) lgkmcnt(0)
	buffer_wbinvl1_vol
	s_barrier
.LBB6_3696:                             ;   in Loop: Header=BB6_3653 Depth=1
	s_or_b64 exec, exec, vcc
.LBB6_3697:                             ;   in Loop: Header=BB6_3653 Depth=1
	s_or_b64 exec, exec, s[20:21]
	s_trap 2
	ds_read_b32 v2, v0
	v_and_b32_e32 v3, 0x4000, v62
	v_cmp_ne_u32_e32 vcc, 0, v3
	s_and_b64 vcc, s[34:35], vcc
	s_and_saveexec_b64 s[20:21], vcc
	s_cbranch_execz .LBB6_3716
; %bb.3698:                             ;   in Loop: Header=BB6_3653 Depth=1
	s_and_saveexec_b64 vcc, s[30:31]
	s_xor_b64 s[40:41], exec, vcc
	s_cbranch_execz .LBB6_3713
; %bb.3699:                             ;   in Loop: Header=BB6_3653 Depth=1
	s_and_saveexec_b64 s[42:43], s[12:13]
	s_cbranch_execz .LBB6_3712
; %bb.3700:                             ;   in Loop: Header=BB6_3653 Depth=1
	s_mov_b64 s[46:47], exec
	v_mbcnt_lo_u32_b32 v3, s46, 0
	v_mbcnt_hi_u32_b32 v3, s47, v3
	v_cmp_eq_u32_e32 vcc, 0, v3
	s_waitcnt vmcnt(0) lgkmcnt(0)
	buffer_wbinvl1_vol
	s_and_saveexec_b64 s[44:45], vcc
	s_cbranch_execz .LBB6_3702
; %bb.3701:                             ;   in Loop: Header=BB6_3653 Depth=1
	s_bcnt1_i32_b64 vcc_lo, s[46:47]
	v_mov_b32_e32 v4, vcc_lo
	v_mov_b32_e32 v5, v13
	ds_add_u64 v0, v[4:5]
	s_trap 2
.LBB6_3702:                             ;   in Loop: Header=BB6_3653 Depth=1
	s_or_b64 exec, exec, s[44:45]
	s_trap 2
	ds_read_b64 v[4:5], v0
	v_accvgpr_read_b32 v0, a22
	v_accvgpr_read_b32 v1, a23
	v_add_co_u32_e32 v0, vcc, v0, v10
	v_addc_co_u32_e32 v1, vcc, 0, v1, vcc
	v_accvgpr_write_b32 a23, v1
	v_accvgpr_write_b32 a22, v0
	s_waitcnt lgkmcnt(0)
	v_cmp_lt_u64_e32 vcc, v[4:5], v[0:1]
	s_and_saveexec_b64 s[44:45], vcc
	s_cbranch_execz .LBB6_3711
; %bb.3703:                             ;   in Loop: Header=BB6_3653 Depth=1
	s_mov_b32 s56, 0
	s_mov_b64 s[46:47], 0
                                        ; implicit-def: $sgpr48_sgpr49
                                        ; implicit-def: $sgpr50_sgpr51
	s_branch .LBB6_3705
.LBB6_3704:                             ;   in Loop: Header=BB6_3705 Depth=2
	s_or_b64 exec, exec, s[54:55]
	s_and_b64 vcc, exec, vcc
	s_or_b64 s[46:47], vcc, s[46:47]
	s_andn2_b64 vcc, s[48:49], exec
	s_and_b64 s[48:49], s[50:51], exec
	s_or_b64 s[48:49], vcc, s[48:49]
	s_andn2_b64 exec, exec, s[46:47]
	s_cbranch_execz .LBB6_3709
.LBB6_3705:                             ;   Parent Loop BB6_3653 Depth=1
                                        ; =>  This Inner Loop Header: Depth=2
	s_add_i32 s56, s56, 1
	s_cmpk_lg_i32 s56, 0x2710
	s_cselect_b64 s[52:53], -1, 0
	s_and_b64 vcc, exec, s[52:53]
                                        ; implicit-def: $sgpr54_sgpr55
	s_cbranch_vccnz .LBB6_3707
; %bb.3706:                             ;   in Loop: Header=BB6_3705 Depth=2
	s_trap 2
	ds_read_b64 v[4:5], v0
	s_andn2_b64 s[52:53], s[52:53], exec
	s_mov_b32 s56, 0
	s_mov_b64 s[54:55], -1
	s_waitcnt lgkmcnt(0)
	flat_load_dword v3, v[4:5] glc
	s_waitcnt vmcnt(0) lgkmcnt(0)
	buffer_invl2
	buffer_wbinvl1_vol
	v_cmp_eq_u32_e32 vcc, 0, v3
	s_and_b64 vcc, vcc, exec
	s_or_b64 s[52:53], s[52:53], vcc
.LBB6_3707:                             ;   in Loop: Header=BB6_3705 Depth=2
	s_andn2_b64 s[50:51], s[50:51], exec
	s_and_b64 s[54:55], s[54:55], exec
	s_mov_b64 vcc, -1
	s_or_b64 s[50:51], s[50:51], s[54:55]
	s_and_saveexec_b64 s[54:55], s[52:53]
	s_cbranch_execz .LBB6_3704
; %bb.3708:                             ;   in Loop: Header=BB6_3705 Depth=2
	s_sleep 1
	s_trap 2
	ds_read_b64 v[4:5], v0
	v_accvgpr_read_b32 v0, a22
	v_accvgpr_read_b32 v1, a23
	s_andn2_b64 s[50:51], s[50:51], exec
	s_waitcnt lgkmcnt(0)
	v_cmp_ge_u64_e32 vcc, v[4:5], v[0:1]
	s_orn2_b64 vcc, vcc, exec
	s_branch .LBB6_3704
.LBB6_3709:                             ;   in Loop: Header=BB6_3653 Depth=1
	s_or_b64 exec, exec, s[46:47]
	s_and_saveexec_b64 vcc, s[48:49]
	s_xor_b64 vcc, exec, vcc
	s_cbranch_execz .LBB6_3711
; %bb.3710:                             ;   in Loop: Header=BB6_3653 Depth=1
	ds_write_b32 v0, v57
	s_trap 2
.LBB6_3711:                             ;   in Loop: Header=BB6_3653 Depth=1
	s_or_b64 exec, exec, s[44:45]
	;;#ASMSTART
	s_wakeup
	;;#ASMEND
.LBB6_3712:                             ;   in Loop: Header=BB6_3653 Depth=1
	s_or_b64 exec, exec, s[42:43]
.LBB6_3713:                             ;   in Loop: Header=BB6_3653 Depth=1
	s_andn2_saveexec_b64 vcc, s[40:41]
	s_cbranch_execz .LBB6_3715
; %bb.3714:                             ;   in Loop: Header=BB6_3653 Depth=1
	s_waitcnt vmcnt(0) lgkmcnt(0)
	buffer_wbinvl1_vol
	s_barrier
.LBB6_3715:                             ;   in Loop: Header=BB6_3653 Depth=1
	s_or_b64 exec, exec, vcc
.LBB6_3716:                             ;   in Loop: Header=BB6_3653 Depth=1
	s_or_b64 exec, exec, s[20:21]
	s_trap 2
	ds_read_b64 v[4:5], v0
	s_waitcnt lgkmcnt(0)
	v_readfirstlane_b32 s20, v4
	v_readfirstlane_b32 s21, v5
	s_cmp_eq_u64 s[20:21], 0
	s_cselect_b64 s[20:21], -1, 0
	s_or_b64 vcc, s[20:21], s[20:21]
	s_mov_b64 s[20:21], 0
	s_and_b64 vcc, exec, vcc
	s_cbranch_vccnz .LBB6_3745
; %bb.3717:                             ;   in Loop: Header=BB6_3653 Depth=1
	s_mov_b64 s[20:21], -1
	s_and_saveexec_b64 s[40:41], s[14:15]
	s_cbranch_execz .LBB6_3719
; %bb.3718:                             ;   in Loop: Header=BB6_3653 Depth=1
	ds_read_b32 v3, v0 offset:720
	s_waitcnt lgkmcnt(0)
	v_and_b32_e32 v3, 15, v3
	v_cmp_eq_u32_e32 vcc, 0, v3
	s_orn2_b64 s[20:21], vcc, exec
.LBB6_3719:                             ;   in Loop: Header=BB6_3653 Depth=1
	s_or_b64 exec, exec, s[40:41]
	s_and_saveexec_b64 s[40:41], s[16:17]
	s_cbranch_execz .LBB6_3721
; %bb.3720:                             ;   in Loop: Header=BB6_3653 Depth=1
	ds_read_b32 v3, v0 offset:784
	s_waitcnt lgkmcnt(0)
	v_and_b32_e32 v3, 15, v3
	v_cmp_eq_u32_e32 vcc, 0, v3
	s_and_b64 vcc, s[20:21], vcc
	s_andn2_b64 s[20:21], s[20:21], exec
	s_and_b64 vcc, vcc, exec
	s_or_b64 s[20:21], s[20:21], vcc
.LBB6_3721:                             ;   in Loop: Header=BB6_3653 Depth=1
	s_or_b64 exec, exec, s[40:41]
	s_xor_b64 s[20:21], s[20:21], -1
	v_cmp_eq_u32_e32 vcc, 0, v2
	v_cndmask_b32_e64 v2, 0, 1, s[20:21]
	v_cndmask_b32_e32 v4, 0, v12, vcc
	;;#ASMSTART
	;;#ASMEND
	v_mov_b32_e32 v5, 0
	s_mov_b64 s[42:43], -1
	v_cmp_ne_u32_e32 vcc, 0, v2
	v_mov_b32_e32 v21, v4
	v_mov_b32_e32 v35, v46
	;; [unrolled: 1-line block ×3, first 2 shown]
	s_cbranch_vccz .LBB6_3723
; %bb.3722:                             ;   in Loop: Header=BB6_3653 Depth=1
	s_and_saveexec_b64 s[20:21], s[42:43]
	s_cbranch_execnz .LBB6_3736
	s_branch .LBB6_3744
.LBB6_3723:                             ;   in Loop: Header=BB6_3653 Depth=1
	v_lshrrev_b32_e32 v2, 12, v4
	v_sub_u32_e32 v17, v2, v9
	v_cmp_lt_i32_e32 vcc, 0, v17
	s_and_saveexec_b64 s[20:21], vcc
	s_cbranch_execz .LBB6_3727
; %bb.3724:                             ;   in Loop: Header=BB6_3653 Depth=1
	s_trap 2
	ds_read_b64 v[2:3], v0
	v_pk_mov_b32 v[32:33], v[42:43], v[42:43] op_sel:[0,1]
	v_pk_mov_b32 v[34:35], v[44:45], v[44:45] op_sel:[0,1]
	s_mov_b64 s[40:41], 0
	s_waitcnt lgkmcnt(0)
	v_pk_mov_b32 v[22:23], v[2:3], v[2:3] op_sel:[0,1]
.LBB6_3725:                             ;   Parent Loop BB6_3653 Depth=1
                                        ; =>  This Inner Loop Header: Depth=2
	v_add_co_u32_e32 v6, vcc, v14, v22
	v_addc_co_u32_e32 v7, vcc, v11, v23, vcc
	global_load_dwordx4 v[48:51], v[6:7], off glc slc
	global_load_dwordx4 v[52:55], v[6:7], off offset:1024 glc slc
	global_load_dwordx4 v[38:41], v[6:7], off offset:2048 glc slc
	;; [unrolled: 1-line block ×3, first 2 shown]
	v_add_co_u32_e32 v6, vcc, v14, v2
	v_addc_co_u32_e32 v7, vcc, v11, v3, vcc
	v_add_co_u32_e32 v22, vcc, v22, v25
	v_addc_co_u32_e32 v23, vcc, v23, v26, vcc
	v_add_co_u32_e32 v2, vcc, v2, v25
	v_sub_u32_e32 v17, v17, v10
	v_addc_co_u32_e32 v3, vcc, v3, v26, vcc
	v_cmp_gt_i32_e32 vcc, 1, v17
	s_or_b64 s[40:41], vcc, s[40:41]
	s_waitcnt vmcnt(0)
	global_store_dwordx4 v[6:7], v[48:51], off glc slc
	global_store_dwordx4 v[6:7], v[52:55], off offset:1024 glc slc
	global_store_dwordx4 v[6:7], v[38:41], off offset:2048 glc slc
	global_store_dwordx4 v[6:7], v[42:45], off offset:3072 glc slc
	s_andn2_b64 exec, exec, s[40:41]
	s_cbranch_execnz .LBB6_3725
; %bb.3726:                             ;   in Loop: Header=BB6_3653 Depth=1
	s_or_b64 exec, exec, s[40:41]
	v_pk_mov_b32 v[44:45], v[34:35], v[34:35] op_sel:[0,1]
	v_accvgpr_read_b32 v41, a5
	v_pk_mov_b32 v[42:43], v[32:33], v[32:33] op_sel:[0,1]
	v_accvgpr_read_b32 v33, a25
	v_accvgpr_read_b32 v40, a4
	;; [unrolled: 1-line block ×4, first 2 shown]
.LBB6_3727:                             ;   in Loop: Header=BB6_3653 Depth=1
	s_or_b64 exec, exec, s[20:21]
	v_and_b32_e32 v22, 0x3ffff000, v4
	v_cmp_ne_u32_e32 vcc, v22, v4
	s_mov_b64 s[42:43], 0
	v_mov_b32_e32 v5, 0
                                        ; implicit-def: $vgpr21
                                        ; implicit-def: $vgpr35
                                        ; implicit-def: $vgpr2
	s_and_saveexec_b64 s[40:41], vcc
	s_cbranch_execz .LBB6_3735
; %bb.3728:                             ;   in Loop: Header=BB6_3653 Depth=1
	v_lshlrev_b32_e32 v3, 6, v17
	v_accvgpr_read_b32 v0, a3
	v_sub_u32_e32 v3, v0, v3
	v_ashrrev_i32_e32 v5, 31, v3
	v_lshrrev_b32_e32 v5, 26, v5
	v_add_u32_e32 v5, v3, v5
	v_ashrrev_i32_e32 v6, 6, v5
	v_and_b32_e32 v5, 0xffffffc0, v5
	v_and_b32_e32 v2, 0xfff, v4
	v_sub_u32_e32 v23, v3, v5
	v_and_b32_e32 v7, 0xc00, v4
	v_lshlrev_b32_e32 v3, 4, v23
	v_sub_u32_e32 v48, v2, v7
	v_lshl_add_u32 v17, v6, 10, v3
	v_bfe_u32 v3, v4, 10, 2
	v_cmp_lt_i32_e32 vcc, 15, v48
	v_sub_u32_e32 v5, v2, v17
	v_addc_co_u32_e64 v2, s[20:21], 0, v3, vcc
	v_sub_u32_e32 v24, v2, v6
	v_cmp_lt_i32_e64 s[20:21], 15, v5
	s_mov_b64 s[42:43], exec
	s_and_b64 s[20:21], s[42:43], s[20:21]
	v_accvgpr_read_b32 v0, a28
	s_mov_b64 exec, s[20:21]
	s_cbranch_execz .LBB6_3732
; %bb.3729:                             ;   in Loop: Header=BB6_3653 Depth=1
	s_trap 2
	ds_read_b64 v[2:3], v0
	v_add_u32_e32 v22, v17, v22
	v_ashrrev_i32_e32 v17, 31, v22
	s_mov_b64 s[44:45], 0
.LBB6_3730:                             ;   Parent Loop BB6_3653 Depth=1
                                        ; =>  This Inner Loop Header: Depth=2
	s_waitcnt lgkmcnt(0)
	v_add_co_u32_e64 v6, s[20:21], v2, v22
	v_addc_co_u32_e64 v7, s[20:21], v3, v17, s[20:21]
	global_load_dwordx4 v[50:53], v[6:7], off glc slc
	v_add_co_u32_e64 v22, s[20:21], v22, v15
	v_sub_u32_e32 v5, v5, v0
	v_addc_co_u32_e64 v17, s[20:21], v17, v47, s[20:21]
	v_cmp_gt_i32_e64 s[20:21], 16, v5
	v_sub_u32_e32 v24, v24, v10
	s_or_b64 s[44:45], s[20:21], s[44:45]
	s_waitcnt vmcnt(0)
	global_store_dwordx4 v[6:7], v[50:53], off glc slc
	s_andn2_b64 exec, exec, s[44:45]
	s_cbranch_execnz .LBB6_3730
; %bb.3731:                             ;   in Loop: Header=BB6_3653 Depth=1
	s_or_b64 exec, exec, s[44:45]
.LBB6_3732:                             ;   in Loop: Header=BB6_3653 Depth=1
	s_or_b64 exec, exec, s[42:43]
	v_and_b32_e32 v3, 15, v4
	v_cndmask_b32_e32 v21, v48, v3, vcc
	v_cmp_ne_u32_e64 s[20:21], 0, v21
	s_mov_b64 s[42:43], 0
	v_mov_b32_e32 v5, 0
                                        ; implicit-def: $vgpr35
                                        ; implicit-def: $vgpr2
	s_and_saveexec_b64 s[44:45], s[20:21]
	s_cbranch_execz .LBB6_3734
; %bb.3733:                             ;   in Loop: Header=BB6_3653 Depth=1
	v_sub_u32_e32 v3, v48, v3
	v_and_b32_e32 v2, 0x3ffffc00, v4
	v_cndmask_b32_e32 v3, 0, v3, vcc
	v_cmp_lt_i32_e32 vcc, 0, v24
	v_add_u32_e32 v5, v3, v2
	v_cndmask_b32_e32 v2, 0, v10, vcc
	v_sub_u32_e32 v2, v2, v24
	v_lshl_add_u32 v35, v2, 6, v23
	v_ashrrev_i32_e32 v2, 31, v35
	v_lshrrev_b32_e32 v2, 26, v2
	v_add_u32_e32 v2, v35, v2
	s_mov_b64 s[42:43], exec
	v_ashrrev_i32_e32 v2, 6, v2
.LBB6_3734:                             ;   in Loop: Header=BB6_3653 Depth=1
	s_or_b64 exec, exec, s[44:45]
	s_and_b64 s[42:43], s[42:43], exec
.LBB6_3735:                             ;   in Loop: Header=BB6_3653 Depth=1
	s_or_b64 exec, exec, s[40:41]
	s_and_saveexec_b64 s[20:21], s[42:43]
	s_cbranch_execz .LBB6_3744
.LBB6_3736:                             ;   in Loop: Header=BB6_3653 Depth=1
	v_ashrrev_i32_e32 v3, 31, v21
	v_lshrrev_b32_e32 v3, 21, v3
	v_add_u32_e32 v3, v21, v3
	v_ashrrev_i32_e32 v50, 11, v3
	v_sub_u32_e32 v48, v50, v2
	v_ashrrev_i32_e32 v3, 31, v35
	v_cmp_lt_i32_e32 vcc, 0, v48
	v_lshrrev_b32_e32 v49, 26, v3
	s_and_saveexec_b64 s[40:41], vcc
	s_cbranch_execz .LBB6_3740
; %bb.3737:                             ;   in Loop: Header=BB6_3653 Depth=1
	s_trap 2
	ds_read_b64 v[22:23], v0
	v_add_u32_e32 v3, v35, v49
	v_and_b32_e32 v3, 0xffffffc0, v3
	v_sub_u32_e32 v3, v35, v3
	v_lshlrev_b32_e32 v2, 11, v2
	v_accvgpr_write_b32 a16, v60
	v_accvgpr_write_b32 a12, v42
	;; [unrolled: 1-line block ×4, first 2 shown]
	v_add3_u32 v24, v5, v3, v2
	v_accvgpr_write_b32 a32, v56
	v_accvgpr_write_b32 a30, v47
	;; [unrolled: 1-line block ×13, first 2 shown]
	v_ashrrev_i32_e32 v17, 31, v24
	s_mov_b64 s[42:43], 0
	s_waitcnt lgkmcnt(0)
	v_pk_mov_b32 v[52:53], v[22:23], v[22:23] op_sel:[0,1]
.LBB6_3738:                             ;   Parent Loop BB6_3653 Depth=1
                                        ; =>  This Inner Loop Header: Depth=2
	v_add_co_u32_e32 v2, vcc, v24, v52
	v_addc_co_u32_e32 v3, vcc, v17, v53, vcc
	flat_load_ubyte v6, v[2:3] glc slc
	flat_load_ubyte v7, v[2:3] offset:64 glc slc
	flat_load_ubyte v8, v[2:3] offset:128 glc slc
	;; [unrolled: 1-line block ×31, first 2 shown]
	v_add_co_u32_e32 v2, vcc, v24, v22
	v_addc_co_u32_e32 v3, vcc, v17, v23, vcc
	v_add_co_u32_e32 v52, vcc, v52, v30
	v_addc_co_u32_e32 v53, vcc, v53, v16, vcc
	v_add_co_u32_e32 v22, vcc, v22, v30
	v_sub_u32_e32 v48, v48, v10
	v_addc_co_u32_e32 v23, vcc, v23, v16, vcc
	v_cmp_gt_i32_e32 vcc, 1, v48
	s_or_b64 s[42:43], vcc, s[42:43]
	s_waitcnt vmcnt(0) lgkmcnt(0)
	flat_store_byte v[2:3], v6 glc slc
	flat_store_byte v[2:3], v7 offset:64 glc slc
	flat_store_byte v[2:3], v8 offset:128 glc slc
	;; [unrolled: 1-line block ×31, first 2 shown]
	s_andn2_b64 exec, exec, s[42:43]
	s_cbranch_execnz .LBB6_3738
; %bb.3739:                             ;   in Loop: Header=BB6_3653 Depth=1
	s_or_b64 exec, exec, s[42:43]
	v_accvgpr_read_b32 v41, a5
	v_accvgpr_read_b32 v59, a7
	;; [unrolled: 1-line block ×22, first 2 shown]
	v_mov_b32_e32 v57, 1
.LBB6_3740:                             ;   in Loop: Header=BB6_3653 Depth=1
	s_or_b64 exec, exec, s[40:41]
	v_lshlrev_b32_e32 v2, 11, v50
	v_cmp_ne_u32_e32 vcc, v21, v2
	s_and_b64 exec, exec, vcc
	s_cbranch_execz .LBB6_3744
; %bb.3741:                             ;   in Loop: Header=BB6_3653 Depth=1
	v_add_u32_e32 v0, v35, v49
	v_and_b32_e32 v0, 0xffffffc0, v0
	v_sub_u32_e32 v0, v35, v0
	v_lshlrev_b32_e32 v1, 6, v48
	v_sub_u32_e32 v0, v0, v1
	v_add_u32_e32 v17, v2, v0
	v_sub_u32_e32 v21, v21, v17
	v_cmp_lt_i32_e32 vcc, 0, v21
	s_and_b64 exec, exec, vcc
	s_cbranch_execz .LBB6_3744
; %bb.3742:                             ;   in Loop: Header=BB6_3653 Depth=1
	s_trap 2
	ds_read_b64 v[2:3], v0
	v_add_u32_e32 v22, v17, v5
	v_ashrrev_i32_e32 v17, 31, v22
	s_mov_b64 s[40:41], 0
.LBB6_3743:                             ;   Parent Loop BB6_3653 Depth=1
                                        ; =>  This Inner Loop Header: Depth=2
	s_waitcnt lgkmcnt(0)
	v_add_co_u32_e32 v6, vcc, v2, v22
	v_addc_co_u32_e32 v7, vcc, v3, v17, vcc
	flat_load_ubyte v0, v[6:7] glc slc
	v_add_co_u32_e32 v22, vcc, v22, v56
	v_sub_u32_e32 v21, v21, v56
	v_addc_co_u32_e32 v17, vcc, v17, v39, vcc
	v_cmp_gt_i32_e32 vcc, 1, v21
	s_or_b64 s[40:41], vcc, s[40:41]
	s_waitcnt vmcnt(0) lgkmcnt(0)
	flat_store_byte v[6:7], v0 glc slc
	s_andn2_b64 exec, exec, s[40:41]
	s_cbranch_execnz .LBB6_3743
.LBB6_3744:                             ;   in Loop: Header=BB6_3653 Depth=1
	s_or_b64 exec, exec, s[20:21]
	v_cmp_ne_u32_e64 s[20:21], 0, v4
.LBB6_3745:                             ;   in Loop: Header=BB6_3653 Depth=1
	s_and_saveexec_b64 s[40:41], s[10:11]
	s_cbranch_execz .LBB6_3764
; %bb.3746:                             ;   in Loop: Header=BB6_3653 Depth=1
	s_and_saveexec_b64 vcc, s[30:31]
	s_xor_b64 s[42:43], exec, vcc
	s_cbranch_execz .LBB6_3761
; %bb.3747:                             ;   in Loop: Header=BB6_3653 Depth=1
	s_and_saveexec_b64 s[44:45], s[12:13]
	s_cbranch_execz .LBB6_3760
; %bb.3748:                             ;   in Loop: Header=BB6_3653 Depth=1
	s_mov_b64 s[48:49], exec
	v_mbcnt_lo_u32_b32 v0, s48, 0
	v_mbcnt_hi_u32_b32 v0, s49, v0
	v_cmp_eq_u32_e32 vcc, 0, v0
	s_waitcnt vmcnt(0) lgkmcnt(0)
	buffer_wbinvl1_vol
	s_and_saveexec_b64 s[46:47], vcc
	s_cbranch_execz .LBB6_3750
; %bb.3749:                             ;   in Loop: Header=BB6_3653 Depth=1
	s_bcnt1_i32_b64 vcc_lo, s[48:49]
	v_mov_b32_e32 v2, vcc_lo
	v_mov_b32_e32 v3, v13
	ds_add_u64 v0, v[2:3]
	s_trap 2
.LBB6_3750:                             ;   in Loop: Header=BB6_3653 Depth=1
	s_or_b64 exec, exec, s[46:47]
	s_trap 2
	ds_read_b64 v[2:3], v0
	v_accvgpr_read_b32 v0, a22
	v_accvgpr_read_b32 v1, a23
	v_add_co_u32_e32 v0, vcc, v0, v10
	v_addc_co_u32_e32 v1, vcc, 0, v1, vcc
	v_accvgpr_write_b32 a23, v1
	v_accvgpr_write_b32 a22, v0
	s_waitcnt lgkmcnt(0)
	v_cmp_lt_u64_e32 vcc, v[2:3], v[0:1]
	s_and_saveexec_b64 s[46:47], vcc
	s_cbranch_execz .LBB6_3759
; %bb.3751:                             ;   in Loop: Header=BB6_3653 Depth=1
	s_mov_b32 s60, 0
	s_mov_b64 s[48:49], 0
                                        ; implicit-def: $sgpr50_sgpr51
                                        ; implicit-def: $sgpr52_sgpr53
	s_branch .LBB6_3753
.LBB6_3752:                             ;   in Loop: Header=BB6_3753 Depth=2
	s_or_b64 exec, exec, s[56:57]
	s_and_b64 vcc, exec, vcc
	s_or_b64 s[48:49], vcc, s[48:49]
	s_andn2_b64 vcc, s[50:51], exec
	s_and_b64 s[50:51], s[52:53], exec
	s_or_b64 s[50:51], vcc, s[50:51]
	s_andn2_b64 exec, exec, s[48:49]
	s_cbranch_execz .LBB6_3757
.LBB6_3753:                             ;   Parent Loop BB6_3653 Depth=1
                                        ; =>  This Inner Loop Header: Depth=2
	s_add_i32 s60, s60, 1
	s_cmpk_lg_i32 s60, 0x2710
	s_cselect_b64 s[54:55], -1, 0
	s_and_b64 vcc, exec, s[54:55]
                                        ; implicit-def: $sgpr56_sgpr57
	s_cbranch_vccnz .LBB6_3755
; %bb.3754:                             ;   in Loop: Header=BB6_3753 Depth=2
	s_trap 2
	ds_read_b64 v[2:3], v0
	s_andn2_b64 s[54:55], s[54:55], exec
	s_mov_b32 s60, 0
	s_mov_b64 s[56:57], -1
	s_waitcnt lgkmcnt(0)
	flat_load_dword v0, v[2:3] glc
	s_waitcnt vmcnt(0) lgkmcnt(0)
	buffer_invl2
	buffer_wbinvl1_vol
	v_cmp_eq_u32_e32 vcc, 0, v0
	s_and_b64 vcc, vcc, exec
	s_or_b64 s[54:55], s[54:55], vcc
.LBB6_3755:                             ;   in Loop: Header=BB6_3753 Depth=2
	s_andn2_b64 s[52:53], s[52:53], exec
	s_and_b64 s[56:57], s[56:57], exec
	s_mov_b64 vcc, -1
	s_or_b64 s[52:53], s[52:53], s[56:57]
	s_and_saveexec_b64 s[56:57], s[54:55]
	s_cbranch_execz .LBB6_3752
; %bb.3756:                             ;   in Loop: Header=BB6_3753 Depth=2
	s_sleep 1
	s_trap 2
	ds_read_b64 v[2:3], v0
	v_accvgpr_read_b32 v0, a22
	v_accvgpr_read_b32 v1, a23
	s_andn2_b64 s[52:53], s[52:53], exec
	s_waitcnt lgkmcnt(0)
	v_cmp_ge_u64_e32 vcc, v[2:3], v[0:1]
	s_orn2_b64 vcc, vcc, exec
	s_branch .LBB6_3752
.LBB6_3757:                             ;   in Loop: Header=BB6_3653 Depth=1
	s_or_b64 exec, exec, s[48:49]
	s_and_saveexec_b64 vcc, s[50:51]
	s_xor_b64 vcc, exec, vcc
	s_cbranch_execz .LBB6_3759
; %bb.3758:                             ;   in Loop: Header=BB6_3653 Depth=1
	ds_write_b32 v0, v57
	s_trap 2
.LBB6_3759:                             ;   in Loop: Header=BB6_3653 Depth=1
	s_or_b64 exec, exec, s[46:47]
	;;#ASMSTART
	s_wakeup
	;;#ASMEND
.LBB6_3760:                             ;   in Loop: Header=BB6_3653 Depth=1
	s_or_b64 exec, exec, s[44:45]
.LBB6_3761:                             ;   in Loop: Header=BB6_3653 Depth=1
	s_andn2_saveexec_b64 vcc, s[42:43]
	s_cbranch_execz .LBB6_3763
; %bb.3762:                             ;   in Loop: Header=BB6_3653 Depth=1
	s_waitcnt vmcnt(0) lgkmcnt(0)
	buffer_wbinvl1_vol
	s_barrier
.LBB6_3763:                             ;   in Loop: Header=BB6_3653 Depth=1
	s_or_b64 exec, exec, vcc
.LBB6_3764:                             ;   in Loop: Header=BB6_3653 Depth=1
	s_or_b64 exec, exec, s[40:41]
	v_and_b32_e32 v2, 16, v62
	v_cmp_ne_u32_e32 vcc, 0, v2
	s_and_b64 vcc, vcc, s[20:21]
	s_and_saveexec_b64 s[20:21], vcc
	s_cbranch_execz .LBB6_3766
; %bb.3765:                             ;   in Loop: Header=BB6_3653 Depth=1
	s_waitcnt vmcnt(0) lgkmcnt(0)
	buffer_wbinvl1_vol
.LBB6_3766:                             ;   in Loop: Header=BB6_3653 Depth=1
	s_or_b64 exec, exec, s[20:21]
	v_cmp_ne_u32_e32 vcc, 0, v2
	s_and_saveexec_b64 s[20:21], vcc
	s_cbranch_execz .LBB6_3770
; %bb.3767:                             ;   in Loop: Header=BB6_3653 Depth=1
	s_and_saveexec_b64 vcc, s[18:19]
	s_cbranch_execz .LBB6_3769
; %bb.3768:                             ;   in Loop: Header=BB6_3653 Depth=1
	v_accvgpr_read_b32 v0, a26
	v_accvgpr_read_b32 v1, a27
	flat_store_dword v[0:1], v57
.LBB6_3769:                             ;   in Loop: Header=BB6_3653 Depth=1
	s_or_b64 exec, exec, vcc
	v_add_co_u32_e32 v44, vcc, 1, v44
	v_addc_co_u32_e32 v45, vcc, 0, v45, vcc
	flat_store_dwordx2 v[60:61], v[44:45]
.LBB6_3770:                             ;   in Loop: Header=BB6_3653 Depth=1
	s_or_b64 exec, exec, s[20:21]
	v_mov_b32_e32 v2, v12
.LBB6_3771:                             ;   in Loop: Header=BB6_3653 Depth=1
	s_or_b64 exec, exec, s[38:39]
	s_and_saveexec_b64 s[38:39], s[36:37]
	s_cbranch_execz .LBB6_3652
; %bb.3772:                             ;   in Loop: Header=BB6_3653 Depth=1
	v_and_b32_e32 v0, 8, v62
	v_cmp_ne_u32_e32 vcc, 0, v0
	s_mov_b64 s[36:37], -1
	s_and_saveexec_b64 s[20:21], vcc
	s_cbranch_execz .LBB6_3784
; %bb.3773:                             ;   in Loop: Header=BB6_3653 Depth=1
	v_add_co_u32_e32 v4, vcc, 8, v36
	v_addc_co_u32_e32 v5, vcc, 0, v37, vcc
	v_add_co_u32_e32 v22, vcc, 1, v44
	v_addc_co_u32_e32 v23, vcc, 0, v45, vcc
	v_cmp_lt_u64_e32 vcc, v[4:5], v[22:23]
	v_mov_b32_e32 v3, 1
	s_and_saveexec_b64 s[36:37], vcc
	s_cbranch_execz .LBB6_3783
; %bb.3774:                             ;   in Loop: Header=BB6_3653 Depth=1
	s_mov_b64 s[40:41], 0
	v_mov_b32_e32 v3, 0
                                        ; implicit-def: $sgpr42_sgpr43
	s_branch .LBB6_3778
.LBB6_3775:                             ;   in Loop: Header=BB6_3778 Depth=2
	s_or_b64 exec, exec, s[50:51]
	v_mov_b32_e32 v4, 0
	s_orn2_b64 s[48:49], s[48:49], exec
.LBB6_3776:                             ;   in Loop: Header=BB6_3778 Depth=2
	s_or_b64 exec, exec, s[46:47]
	s_andn2_b64 vcc, s[42:43], exec
	s_and_b64 s[42:43], s[48:49], exec
	s_or_b64 s[42:43], vcc, s[42:43]
	v_mov_b32_e32 v3, v4
.LBB6_3777:                             ;   in Loop: Header=BB6_3778 Depth=2
	s_or_b64 exec, exec, s[44:45]
	s_waitcnt vmcnt(0) lgkmcnt(0)
	v_add_co_u32_e32 v4, vcc, 8, v36
	v_addc_co_u32_e32 v5, vcc, 0, v37, vcc
	v_cmp_ge_u64_e32 vcc, v[4:5], v[22:23]
	s_xor_b64 s[44:45], s[42:43], -1
	s_or_b64 vcc, s[44:45], vcc
	s_and_b64 vcc, exec, vcc
	s_or_b64 s[40:41], vcc, s[40:41]
	s_andn2_b64 exec, exec, s[40:41]
	s_cbranch_execz .LBB6_3782
.LBB6_3778:                             ;   Parent Loop BB6_3653 Depth=1
                                        ; =>  This Inner Loop Header: Depth=2
	s_sleep 1
	flat_load_dwordx2 v[36:37], v[60:61] glc
	v_and_b32_e32 v0, 64, v62
	v_cmp_eq_u32_e32 vcc, 0, v0
	s_andn2_b64 s[42:43], s[42:43], exec
	s_and_saveexec_b64 s[44:45], vcc
	s_cbranch_execz .LBB6_3777
; %bb.3779:                             ;   in Loop: Header=BB6_3778 Depth=2
	v_add_u32_e32 v4, 1, v3
	v_cmp_lt_i32_e32 vcc, s59, v3
	s_mov_b64 s[48:49], -1
	s_and_saveexec_b64 s[46:47], vcc
	s_cbranch_execz .LBB6_3776
; %bb.3780:                             ;   in Loop: Header=BB6_3778 Depth=2
	s_trap 2
	ds_read_b64 v[4:5], v0
	s_waitcnt vmcnt(0) lgkmcnt(0)
	flat_load_dword v3, v[4:5] glc
	s_waitcnt vmcnt(0) lgkmcnt(0)
	buffer_invl2
	buffer_wbinvl1_vol
	v_cmp_ne_u32_e32 vcc, 0, v3
	s_and_saveexec_b64 s[50:51], vcc
	s_cbranch_execz .LBB6_3775
; %bb.3781:                             ;   in Loop: Header=BB6_3778 Depth=2
	v_or_b32_e32 v62, 64, v62
	s_xor_b64 s[48:49], exec, -1
	ds_write_b32 v0, v3
	s_trap 2
	s_branch .LBB6_3775
.LBB6_3782:                             ;   in Loop: Header=BB6_3653 Depth=1
	s_or_b64 exec, exec, s[40:41]
	v_and_b32_e32 v3, 8, v62
.LBB6_3783:                             ;   in Loop: Header=BB6_3653 Depth=1
	s_or_b64 exec, exec, s[36:37]
	v_cmp_eq_u32_e32 vcc, 0, v3
	s_orn2_b64 s[36:37], vcc, exec
	;;#ASMSTART
	s_wakeup
	;;#ASMEND
.LBB6_3784:                             ;   in Loop: Header=BB6_3653 Depth=1
	s_or_b64 exec, exec, s[20:21]
	v_sub_u32_e32 v0, v20, v2
	s_xor_b64 s[20:21], s[36:37], -1
	v_min_i32_e32 v20, v12, v0
	s_and_saveexec_b64 s[36:37], s[20:21]
	s_cbranch_execz .LBB6_3794
; %bb.3785:                             ;   in Loop: Header=BB6_3653 Depth=1
	v_and_b32_e32 v0, 0x100, v62
	v_cmp_ne_u32_e32 vcc, 0, v0
	v_and_b32_e32 v4, 7, v44
	s_mov_b64 s[20:21], -1
                                        ; implicit-def: $vgpr2_vgpr3
	s_and_saveexec_b64 s[40:41], vcc
	s_cbranch_execz .LBB6_3789
; %bb.3786:                             ;   in Loop: Header=BB6_3653 Depth=1
	v_mad_u64_u32 v[22:23], s[20:21], v4, 24, v[42:43]
	flat_load_dword v0, v[22:23]
	v_ashrrev_i32_e32 v21, 31, v20
	flat_store_dwordx2 v[22:23], v[20:21] offset:8
                                        ; implicit-def: $vgpr2_vgpr3
	s_waitcnt vmcnt(0) lgkmcnt(0)
	v_cmp_ne_u32_e32 vcc, 1, v0
	v_cmp_eq_u32_e64 s[20:21], 1, v0
	s_and_saveexec_b64 s[42:43], s[20:21]
	s_cbranch_execz .LBB6_3788
; %bb.3787:                             ;   in Loop: Header=BB6_3653 Depth=1
	flat_load_dword v2, v[22:23] offset:4 glc
	s_waitcnt vmcnt(0) lgkmcnt(0)
	v_ashrrev_i32_e32 v3, 31, v2
.LBB6_3788:                             ;   in Loop: Header=BB6_3653 Depth=1
	s_or_b64 exec, exec, s[42:43]
	s_orn2_b64 s[20:21], vcc, exec
.LBB6_3789:                             ;   in Loop: Header=BB6_3653 Depth=1
	s_or_b64 exec, exec, s[40:41]
	s_and_saveexec_b64 vcc, s[20:21]
; %bb.3790:                             ;   in Loop: Header=BB6_3653 Depth=1
	v_accvgpr_read_b32 v0, a18
	v_mad_i64_i32 v[2:3], s[20:21], v4, v0, 0
; %bb.3791:                             ;   in Loop: Header=BB6_3653 Depth=1
	s_or_b64 exec, exec, vcc
	v_accvgpr_read_b32 v0, a20
	v_accvgpr_read_b32 v1, a21
	v_add_co_u32_e32 v2, vcc, v0, v2
	v_addc_co_u32_e32 v3, vcc, v1, v3, vcc
	ds_write_b64 v0, v[2:3] offset:784
	v_and_b32_e32 v0, 0x2000, v62
	v_cmp_ne_u32_e32 vcc, 0, v0
	s_and_saveexec_b64 s[20:21], vcc
	s_cbranch_execz .LBB6_3793
; %bb.3792:                             ;   in Loop: Header=BB6_3653 Depth=1
	ds_read_b64 v[2:3], v0 offset:584
	s_waitcnt lgkmcnt(0)
	v_add_co_u32_e32 v2, vcc, 1, v2
	v_addc_co_u32_e32 v3, vcc, 0, v3, vcc
	ds_write_b64 v0, v[2:3] offset:584
.LBB6_3793:                             ;   in Loop: Header=BB6_3653 Depth=1
	s_or_b64 exec, exec, s[20:21]
	v_add_co_u32_e32 v44, vcc, 1, v44
	v_addc_co_u32_e32 v45, vcc, 0, v45, vcc
.LBB6_3794:                             ;   in Loop: Header=BB6_3653 Depth=1
	s_or_b64 exec, exec, s[36:37]
	s_and_saveexec_b64 s[20:21], s[10:11]
	s_cbranch_execz .LBB6_3813
; %bb.3795:                             ;   in Loop: Header=BB6_3653 Depth=1
	s_and_saveexec_b64 vcc, s[30:31]
	s_xor_b64 s[36:37], exec, vcc
	s_cbranch_execz .LBB6_3810
; %bb.3796:                             ;   in Loop: Header=BB6_3653 Depth=1
	s_and_saveexec_b64 s[40:41], s[12:13]
	s_cbranch_execz .LBB6_3809
; %bb.3797:                             ;   in Loop: Header=BB6_3653 Depth=1
	s_mov_b64 s[44:45], exec
	v_mbcnt_lo_u32_b32 v0, s44, 0
	v_mbcnt_hi_u32_b32 v0, s45, v0
	v_cmp_eq_u32_e32 vcc, 0, v0
	s_waitcnt vmcnt(0) lgkmcnt(0)
	buffer_wbinvl1_vol
	s_and_saveexec_b64 s[42:43], vcc
	s_cbranch_execz .LBB6_3799
; %bb.3798:                             ;   in Loop: Header=BB6_3653 Depth=1
	s_bcnt1_i32_b64 vcc_lo, s[44:45]
	v_mov_b32_e32 v12, vcc_lo
	ds_add_u64 v0, v[12:13]
	s_trap 2
.LBB6_3799:                             ;   in Loop: Header=BB6_3653 Depth=1
	s_or_b64 exec, exec, s[42:43]
	s_trap 2
	ds_read_b64 v[2:3], v0
	v_accvgpr_read_b32 v0, a22
	v_accvgpr_read_b32 v1, a23
	v_add_co_u32_e32 v0, vcc, v0, v10
	v_addc_co_u32_e32 v1, vcc, 0, v1, vcc
	v_accvgpr_write_b32 a23, v1
	v_accvgpr_write_b32 a22, v0
	s_waitcnt lgkmcnt(0)
	v_cmp_lt_u64_e32 vcc, v[2:3], v[0:1]
	s_and_saveexec_b64 s[42:43], vcc
	s_cbranch_execz .LBB6_3808
; %bb.3800:                             ;   in Loop: Header=BB6_3653 Depth=1
	s_mov_b32 s54, 0
	s_mov_b64 s[44:45], 0
                                        ; implicit-def: $sgpr46_sgpr47
                                        ; implicit-def: $sgpr48_sgpr49
	s_branch .LBB6_3802
.LBB6_3801:                             ;   in Loop: Header=BB6_3802 Depth=2
	s_or_b64 exec, exec, s[52:53]
	s_and_b64 vcc, exec, vcc
	s_or_b64 s[44:45], vcc, s[44:45]
	s_andn2_b64 vcc, s[46:47], exec
	s_and_b64 s[46:47], s[48:49], exec
	s_or_b64 s[46:47], vcc, s[46:47]
	s_andn2_b64 exec, exec, s[44:45]
	s_cbranch_execz .LBB6_3806
.LBB6_3802:                             ;   Parent Loop BB6_3653 Depth=1
                                        ; =>  This Inner Loop Header: Depth=2
	s_add_i32 s54, s54, 1
	s_cmpk_lg_i32 s54, 0x2710
	s_cselect_b64 s[50:51], -1, 0
	s_and_b64 vcc, exec, s[50:51]
                                        ; implicit-def: $sgpr52_sgpr53
	s_cbranch_vccnz .LBB6_3804
; %bb.3803:                             ;   in Loop: Header=BB6_3802 Depth=2
	s_trap 2
	ds_read_b64 v[2:3], v0
	s_andn2_b64 s[50:51], s[50:51], exec
	s_mov_b32 s54, 0
	s_mov_b64 s[52:53], -1
	s_waitcnt lgkmcnt(0)
	flat_load_dword v0, v[2:3] glc
	s_waitcnt vmcnt(0) lgkmcnt(0)
	buffer_invl2
	buffer_wbinvl1_vol
	v_cmp_eq_u32_e32 vcc, 0, v0
	s_and_b64 vcc, vcc, exec
	s_or_b64 s[50:51], s[50:51], vcc
.LBB6_3804:                             ;   in Loop: Header=BB6_3802 Depth=2
	s_andn2_b64 s[48:49], s[48:49], exec
	s_and_b64 s[52:53], s[52:53], exec
	s_mov_b64 vcc, -1
	s_or_b64 s[48:49], s[48:49], s[52:53]
	s_and_saveexec_b64 s[52:53], s[50:51]
	s_cbranch_execz .LBB6_3801
; %bb.3805:                             ;   in Loop: Header=BB6_3802 Depth=2
	s_sleep 1
	s_trap 2
	ds_read_b64 v[2:3], v0
	v_accvgpr_read_b32 v0, a22
	v_accvgpr_read_b32 v1, a23
	s_andn2_b64 s[48:49], s[48:49], exec
	s_waitcnt lgkmcnt(0)
	v_cmp_ge_u64_e32 vcc, v[2:3], v[0:1]
	s_orn2_b64 vcc, vcc, exec
	s_branch .LBB6_3801
.LBB6_3806:                             ;   in Loop: Header=BB6_3653 Depth=1
	s_or_b64 exec, exec, s[44:45]
	s_and_saveexec_b64 vcc, s[46:47]
	s_xor_b64 vcc, exec, vcc
	s_cbranch_execz .LBB6_3808
; %bb.3807:                             ;   in Loop: Header=BB6_3653 Depth=1
	ds_write_b32 v0, v57
	s_trap 2
.LBB6_3808:                             ;   in Loop: Header=BB6_3653 Depth=1
	s_or_b64 exec, exec, s[42:43]
	;;#ASMSTART
	s_wakeup
	;;#ASMEND
.LBB6_3809:                             ;   in Loop: Header=BB6_3653 Depth=1
	s_or_b64 exec, exec, s[40:41]
.LBB6_3810:                             ;   in Loop: Header=BB6_3653 Depth=1
	s_andn2_saveexec_b64 vcc, s[36:37]
	s_cbranch_execz .LBB6_3812
; %bb.3811:                             ;   in Loop: Header=BB6_3653 Depth=1
	s_waitcnt vmcnt(0) lgkmcnt(0)
	buffer_wbinvl1_vol
	s_barrier
.LBB6_3812:                             ;   in Loop: Header=BB6_3653 Depth=1
	s_or_b64 exec, exec, vcc
.LBB6_3813:                             ;   in Loop: Header=BB6_3653 Depth=1
	s_or_b64 exec, exec, s[20:21]
	s_trap 2
	ds_read_b32 v0, v0
	v_cmp_lt_i32_e32 vcc, 0, v20
	v_and_b32_e32 v2, 16, v62
	s_waitcnt lgkmcnt(0)
	v_readfirstlane_b32 s20, v0
	s_cmp_eq_u32 s20, 0
	s_cselect_b64 s[20:21], -1, 0
	s_and_b64 s[20:21], vcc, s[20:21]
	v_cmp_ne_u32_e32 vcc, 0, v2
	s_and_b64 vcc, vcc, s[20:21]
	s_and_saveexec_b64 s[20:21], vcc
	s_cbranch_execz .LBB6_3815
; %bb.3814:                             ;   in Loop: Header=BB6_3653 Depth=1
	s_waitcnt vmcnt(0)
	buffer_wbinvl1_vol
.LBB6_3815:                             ;   in Loop: Header=BB6_3653 Depth=1
	s_or_b64 exec, exec, s[20:21]
	v_cmp_ne_u32_e32 vcc, 0, v2
	s_and_saveexec_b64 s[20:21], vcc
	s_cbranch_execz .LBB6_3651
; %bb.3816:                             ;   in Loop: Header=BB6_3653 Depth=1
	s_and_saveexec_b64 vcc, s[18:19]
	s_cbranch_execz .LBB6_3650
; %bb.3817:                             ;   in Loop: Header=BB6_3653 Depth=1
	v_accvgpr_read_b32 v0, a26
	v_accvgpr_read_b32 v1, a27
	flat_store_dword v[0:1], v57
	s_branch .LBB6_3650
.LBB6_3818:
	s_or_b64 exec, exec, s[28:29]
.LBB6_3819:
	s_or_b64 exec, exec, s[24:25]
.LBB6_3820:
	s_or_b64 exec, exec, s[22:23]
	v_and_b32_e32 v0, 0x800, v62
	v_cmp_eq_u32_e32 vcc, 0, v0
	s_and_saveexec_b64 s[4:5], vcc
	s_cbranch_execz .LBB6_3855
; %bb.3821:
	v_and_b32_e32 v0, 48, v62
	v_cmp_ne_u32_e32 vcc, 0, v0
	s_and_saveexec_b64 s[6:7], vcc
	s_cbranch_execz .LBB6_3823
; %bb.3822:
	s_waitcnt vmcnt(0) lgkmcnt(0)
	flat_store_dwordx2 v[28:29], v[44:45] offset:104
.LBB6_3823:
	s_or_b64 exec, exec, s[6:7]
	s_movk_i32 s6, 0x88
	v_and_b32_e32 v0, 0x88, v62
	v_cmp_eq_u32_e32 vcc, s6, v0
	s_and_saveexec_b64 s[6:7], vcc
	s_cbranch_execz .LBB6_3835
; %bb.3824:
	s_waitcnt vmcnt(0) lgkmcnt(0)
	v_add_u32_e32 v0, -1, v44
	v_and_b32_e32 v0, 7, v0
	v_mad_u64_u32 v[0:1], s[10:11], v0, 24, v[42:43]
	v_add_co_u32_e32 v4, vcc, 8, v0
	v_addc_co_u32_e32 v5, vcc, 0, v1, vcc
	s_mov_b64 s[10:11], 0
	v_mov_b32_e32 v0, 0
	s_movk_i32 s24, 0x270e
                                        ; implicit-def: $sgpr12_sgpr13
	s_branch .LBB6_3829
.LBB6_3825:                             ;   in Loop: Header=BB6_3829 Depth=1
	s_or_b64 exec, exec, s[22:23]
	v_mov_b32_e32 v1, 0
	s_orn2_b64 s[20:21], s[20:21], exec
.LBB6_3826:                             ;   in Loop: Header=BB6_3829 Depth=1
	s_or_b64 exec, exec, s[18:19]
	s_and_b64 s[18:19], s[20:21], exec
	v_mov_b32_e32 v0, v1
.LBB6_3827:                             ;   in Loop: Header=BB6_3829 Depth=1
	s_or_b64 exec, exec, s[16:17]
	s_xor_b64 s[16:17], s[18:19], -1
	s_andn2_b64 s[12:13], s[12:13], exec
	s_and_b64 s[16:17], s[16:17], exec
	s_or_b64 s[12:13], s[12:13], s[16:17]
.LBB6_3828:                             ;   in Loop: Header=BB6_3829 Depth=1
	s_or_b64 exec, exec, s[14:15]
	s_and_b64 s[14:15], exec, s[12:13]
	s_or_b64 s[10:11], s[14:15], s[10:11]
	s_andn2_b64 exec, exec, s[10:11]
	s_cbranch_execz .LBB6_3834
.LBB6_3829:                             ; =>This Inner Loop Header: Depth=1
	flat_load_dwordx2 v[2:3], v[4:5] glc
	s_waitcnt vmcnt(0)
	s_or_b64 s[12:13], s[12:13], exec
	s_waitcnt lgkmcnt(0)
	v_cmp_ne_u64_e32 vcc, -1, v[2:3]
	s_and_saveexec_b64 s[14:15], vcc
	s_cbranch_execz .LBB6_3828
; %bb.3830:                             ;   in Loop: Header=BB6_3829 Depth=1
	v_and_b32_e32 v1, 64, v62
	v_cmp_eq_u32_e32 vcc, 0, v1
	s_mov_b64 s[18:19], 0
	s_and_saveexec_b64 s[16:17], vcc
	s_cbranch_execz .LBB6_3827
; %bb.3831:                             ;   in Loop: Header=BB6_3829 Depth=1
	v_add_u32_e32 v1, 1, v0
	v_cmp_lt_i32_e32 vcc, s24, v0
	s_mov_b64 s[20:21], -1
	s_and_saveexec_b64 s[18:19], vcc
	s_cbranch_execz .LBB6_3826
; %bb.3832:                             ;   in Loop: Header=BB6_3829 Depth=1
	s_trap 2
	ds_read_b64 v[0:1], v0
	s_waitcnt lgkmcnt(0)
	flat_load_dword v0, v[0:1] glc
	s_waitcnt vmcnt(0) lgkmcnt(0)
	buffer_invl2
	buffer_wbinvl1_vol
	v_cmp_ne_u32_e32 vcc, 0, v0
	s_and_saveexec_b64 s[22:23], vcc
	s_cbranch_execz .LBB6_3825
; %bb.3833:                             ;   in Loop: Header=BB6_3829 Depth=1
	v_or_b32_e32 v62, 64, v62
	s_xor_b64 s[20:21], exec, -1
	ds_write_b32 v0, v0
	s_trap 2
	s_branch .LBB6_3825
.LBB6_3834:
	s_or_b64 exec, exec, s[10:11]
.LBB6_3835:
	s_or_b64 exec, exec, s[6:7]
	v_and_b32_e32 v0, 0x2000, v62
	v_cmp_ne_u32_e32 vcc, 0, v0
	s_and_saveexec_b64 s[6:7], vcc
	s_cbranch_execz .LBB6_3837
; %bb.3836:
	s_trap 2
	ds_read_b64 v[0:1], v0
	v_accvgpr_read_b32 v2, a8
	v_accvgpr_read_b32 v3, a9
	s_waitcnt lgkmcnt(0)
	flat_store_dwordx2 v[2:3], v[0:1] offset:16
.LBB6_3837:
	s_or_b64 exec, exec, s[6:7]
	v_cmp_ne_u32_e32 vcc, 64, v27
	s_and_b64 exec, exec, vcc
	s_cbranch_execz .LBB6_3855
; %bb.3838:
	s_waitcnt vmcnt(0)
	v_cmp_ne_u32_sdwa s[6:7], v8, v27 src0_sel:WORD_0 src1_sel:DWORD
	s_and_saveexec_b64 s[10:11], s[6:7]
	s_xor_b64 s[6:7], exec, s[10:11]
	s_cbranch_execz .LBB6_3853
; %bb.3839:
	v_and_b32_e32 v0, 63, v31
	v_cmp_eq_u32_e32 vcc, 0, v0
	s_and_saveexec_b64 s[10:11], vcc
	s_cbranch_execz .LBB6_3852
; %bb.3840:
	s_mov_b64 s[14:15], exec
	v_mbcnt_lo_u32_b32 v0, s14, 0
	v_mbcnt_hi_u32_b32 v0, s15, v0
	v_cmp_eq_u32_e32 vcc, 0, v0
	s_waitcnt lgkmcnt(0)
	buffer_wbinvl1_vol
	s_and_saveexec_b64 s[12:13], vcc
	s_cbranch_execz .LBB6_3842
; %bb.3841:
	s_bcnt1_i32_b64 s14, s[14:15]
	v_mov_b32_e32 v0, s14
	v_mov_b32_e32 v1, 0
	ds_add_u64 v0, v[0:1]
	s_trap 2
.LBB6_3842:
	s_or_b64 exec, exec, s[12:13]
	v_ashrrev_i32_e32 v0, 31, v27
	v_lshrrev_b32_e32 v0, 26, v0
	v_add_u32_e32 v0, v27, v0
	v_ashrrev_i32_e32 v0, 6, v0
	s_trap 2
	ds_read_b64 v[2:3], v0
	v_accvgpr_read_b32 v4, a22
	v_ashrrev_i32_e32 v1, 31, v0
	v_accvgpr_read_b32 v5, a23
	v_add_co_u32_e32 v0, vcc, v4, v0
	v_addc_co_u32_e32 v1, vcc, v5, v1, vcc
	s_waitcnt lgkmcnt(0)
	v_cmp_lt_u64_e32 vcc, v[2:3], v[0:1]
	s_and_saveexec_b64 s[12:13], vcc
	s_cbranch_execz .LBB6_3851
; %bb.3843:
	s_mov_b32 s28, 0
	s_mov_b64 s[14:15], 0
                                        ; implicit-def: $sgpr16_sgpr17
                                        ; implicit-def: $sgpr18_sgpr19
	s_branch .LBB6_3845
.LBB6_3844:                             ;   in Loop: Header=BB6_3845 Depth=1
	s_or_b64 exec, exec, s[24:25]
	s_and_b64 s[20:21], exec, s[22:23]
	s_or_b64 s[14:15], s[20:21], s[14:15]
	s_andn2_b64 s[16:17], s[16:17], exec
	s_and_b64 s[20:21], s[18:19], exec
	s_or_b64 s[16:17], s[16:17], s[20:21]
	s_andn2_b64 exec, exec, s[14:15]
	s_cbranch_execz .LBB6_3849
.LBB6_3845:                             ; =>This Inner Loop Header: Depth=1
	s_add_i32 s28, s28, 1
	s_cmpk_lg_i32 s28, 0x2710
	s_cselect_b64 s[20:21], -1, 0
	s_and_b64 vcc, exec, s[20:21]
                                        ; implicit-def: $sgpr24_sgpr25
	s_cbranch_vccnz .LBB6_3847
; %bb.3846:                             ;   in Loop: Header=BB6_3845 Depth=1
	s_trap 2
	ds_read_b64 v[2:3], v0
	s_andn2_b64 s[20:21], s[20:21], exec
	s_mov_b32 s28, 0
	s_mov_b64 s[24:25], -1
	s_waitcnt lgkmcnt(0)
	flat_load_dword v2, v[2:3] glc
	s_waitcnt vmcnt(0) lgkmcnt(0)
	buffer_invl2
	buffer_wbinvl1_vol
	v_cmp_eq_u32_e32 vcc, 0, v2
	s_and_b64 s[22:23], vcc, exec
	s_or_b64 s[20:21], s[20:21], s[22:23]
.LBB6_3847:                             ;   in Loop: Header=BB6_3845 Depth=1
	s_andn2_b64 s[18:19], s[18:19], exec
	s_and_b64 s[24:25], s[24:25], exec
	s_mov_b64 s[22:23], -1
	s_or_b64 s[18:19], s[18:19], s[24:25]
	s_and_saveexec_b64 s[24:25], s[20:21]
	s_cbranch_execz .LBB6_3844
; %bb.3848:                             ;   in Loop: Header=BB6_3845 Depth=1
	s_sleep 1
	s_trap 2
	ds_read_b64 v[2:3], v0
	s_andn2_b64 s[18:19], s[18:19], exec
	s_waitcnt lgkmcnt(0)
	v_cmp_ge_u64_e32 vcc, v[2:3], v[0:1]
	s_orn2_b64 s[22:23], vcc, exec
	s_branch .LBB6_3844
.LBB6_3849:
	s_or_b64 exec, exec, s[14:15]
	s_and_saveexec_b64 s[14:15], s[16:17]
	s_xor_b64 s[14:15], exec, s[14:15]
	s_cbranch_execz .LBB6_3851
; %bb.3850:
	v_mov_b32_e32 v0, 1
	ds_write_b32 v0, v0
	s_trap 2
.LBB6_3851:
	s_or_b64 exec, exec, s[12:13]
	;;#ASMSTART
	s_wakeup
	;;#ASMEND
.LBB6_3852:
	s_or_b64 exec, exec, s[10:11]
.LBB6_3853:
	s_andn2_saveexec_b64 s[6:7], s[6:7]
	s_cbranch_execz .LBB6_3855
; %bb.3854:
	s_waitcnt lgkmcnt(0)
	buffer_wbinvl1_vol
	s_barrier
.LBB6_3855:
	s_or_b64 exec, exec, s[4:5]
.LBB6_3856:
	s_andn2_saveexec_b64 s[26:27], s[26:27]
	s_cbranch_execz .LBB6_3858
; %bb.3857:
	s_getpc_b64 s[4:5]
	s_add_u32 s4, s4, __PRETTY_FUNCTION__._ZN10PrimitivesI14__hip_fp8_e4m37FuncSumIS0_E12FanSymmetricILi1EELi0E11ProtoSimpleILi1ELi1ELi0ELi4ELi0ELi0EELi0ELb0ELi0ELi0ELi0EEC2EiiPKiS9_PKvPvmhhhP15ncclDevWorkCollP14ncclDevWorkP2pii@rel32@lo+4
	s_addc_u32 s5, s5, __PRETTY_FUNCTION__._ZN10PrimitivesI14__hip_fp8_e4m37FuncSumIS0_E12FanSymmetricILi1EELi0E11ProtoSimpleILi1ELi1ELi0ELi4ELi0ELi0EELi0ELb0ELi0ELi0ELi0EEC2EiiPKiS9_PKvPvmhhhP15ncclDevWorkCollP14ncclDevWorkP2pii@rel32@hi+12
	v_mov_b32_e32 v0, s4
	v_mov_b32_e32 v1, s5
	s_getpc_b64 s[6:7]
	s_add_u32 s6, s6, __assert_fail@rel32@lo+4
	s_addc_u32 s7, s7, __assert_fail@rel32@hi+12
	s_swappc_b64 s[30:31], s[6:7]
	; divergent unreachable
.LBB6_3858:
	s_or_b64 exec, exec, s[26:27]
	buffer_load_dword a41, off, s[0:3], s33 ; 4-byte Folded Reload
	buffer_load_dword a40, off, s[0:3], s33 offset:4 ; 4-byte Folded Reload
	buffer_load_dword a39, off, s[0:3], s33 offset:8 ; 4-byte Folded Reload
	;; [unrolled: 1-line block ×10, first 2 shown]
	s_waitcnt lgkmcnt(0)
	buffer_load_dword v61, off, s[0:3], s33 offset:44 ; 4-byte Folded Reload
	buffer_load_dword v60, off, s[0:3], s33 offset:48 ; 4-byte Folded Reload
	;; [unrolled: 1-line block ×14, first 2 shown]
	v_readlane_b32 s30, v63, 46
	v_readlane_b32 s31, v63, 47
	;; [unrolled: 1-line block ×49, first 2 shown]
	s_or_saveexec_b64 s[6:7], -1
	buffer_load_dword v63, off, s[0:3], s33 offset:100 ; 4-byte Folded Reload
	s_mov_b64 exec, s[6:7]
	s_addk_i32 s32, 0xe400
	s_mov_b32 s33, s4
	s_waitcnt vmcnt(0)
	s_setpc_b64 s[30:31]
.Lfunc_end6:
	.size	_ZN12_GLOBAL__N_17runRingI14__hip_fp8_e4m37FuncSumIS1_E11ProtoSimpleILi1ELi1ELi0ELi4ELi0ELi0EELi0ELi4ELi0EEEviiP15ncclDevWorkColl, .Lfunc_end6-_ZN12_GLOBAL__N_17runRingI14__hip_fp8_e4m37FuncSumIS1_E11ProtoSimpleILi1ELi1ELi0ELi4ELi0ELi0EELi0ELi4ELi0EEEviiP15ncclDevWorkColl
                                        ; -- End function
	.section	.AMDGPU.csdata,"",@progbits
; Function info:
; codeLenInByte = 124916
; NumSgprs: 84
; NumVgprs: 64
; NumAgprs: 42
; TotalNumVgprs: 106
; ScratchSize: 176
; MemoryBound: 1
	.text
	.p2align	2                               ; -- Begin function _Z47ncclDevFunc_Reduce_RING_SIMPLE_Sum_f8e4m3_0_0_4v
	.type	_Z47ncclDevFunc_Reduce_RING_SIMPLE_Sum_f8e4m3_0_0_4v,@function
_Z47ncclDevFunc_Reduce_RING_SIMPLE_Sum_f8e4m3_0_0_4v: ; @_Z47ncclDevFunc_Reduce_RING_SIMPLE_Sum_f8e4m3_0_0_4v
; %bb.0:
	s_waitcnt vmcnt(0) expcnt(0) lgkmcnt(0)
	s_mov_b32 s4, s33
	s_mov_b32 s33, s32
	s_or_saveexec_b64 s[6:7], -1
	buffer_store_dword v43, off, s[0:3], s33 offset:16 ; 4-byte Folded Spill
	s_mov_b64 exec, s[6:7]
	v_writelane_b32 v43, s4, 56
	s_addk_i32 s32, 0x800
	buffer_store_dword v40, off, s[0:3], s33 offset:12 ; 4-byte Folded Spill
	buffer_store_dword v41, off, s[0:3], s33 offset:8 ; 4-byte Folded Spill
	;; [unrolled: 1-line block ×3, first 2 shown]
	buffer_store_dword v63, off, s[0:3], s33 ; 4-byte Folded Spill
	v_writelane_b32 v43, s34, 0
	v_writelane_b32 v43, s35, 1
	;; [unrolled: 1-line block ×56, first 2 shown]
	s_trap 2
	ds_read_b32 v0, v0
	v_mov_b32_e32 v40, v31
	s_mov_b32 s82, s12
	s_mov_b64 s[80:81], s[8:9]
	s_waitcnt lgkmcnt(0)
	v_cmp_gt_i32_e32 vcc, 1, v0
	s_cbranch_vccnz .LBB7_8
; %bb.1:
	s_mov_b32 s83, 0
	v_and_b32_e32 v41, 0x3ff, v40
	s_mov_b64 s[84:85], src_shared_base
	v_mov_b32_e32 v42, 6
	s_branch .LBB7_3
.LBB7_2:                                ;   in Loop: Header=BB7_3 Depth=1
	s_or_b64 exec, exec, s[86:87]
	s_trap 2
	ds_read_b32 v0, v0
	s_add_i32 s83, s83, 1
	s_waitcnt lgkmcnt(0)
	v_cmp_lt_i32_e32 vcc, s83, v0
	s_cbranch_vccz .LBB7_8
.LBB7_3:                                ; =>This Inner Loop Header: Depth=1
	s_trap 2
	ds_read_b32 v0, v0
	s_cmp_eq_u32 s83, 0
	s_cbranch_scc1 .LBB7_6
; %bb.4:                                ;   in Loop: Header=BB7_3 Depth=1
	s_trap 2
	s_waitcnt lgkmcnt(0)
	ds_read_b32 v1, v0
	s_waitcnt lgkmcnt(0)
	v_xor_b32_e32 v1, v1, v0
	v_and_b32_e32 v1, 0xff0000, v1
	v_cmp_eq_u32_e32 vcc, 0, v1
	s_cbranch_vccnz .LBB7_6
; %bb.5:                                ;   in Loop: Header=BB7_3 Depth=1
	s_barrier
	ds_read_b32 v0, v0
.LBB7_6:                                ;   in Loop: Header=BB7_3 Depth=1
	s_waitcnt lgkmcnt(0)
	v_lshlrev_b32_sdwa v1, v42, v0 dst_sel:DWORD dst_unused:UNUSED_PAD src0_sel:DWORD src1_sel:BYTE_2
	v_cmp_lt_u32_e32 vcc, v41, v1
	s_and_saveexec_b64 s[86:87], vcc
	s_cbranch_execz .LBB7_2
; %bb.7:                                ;   in Loop: Header=BB7_3 Depth=1
	s_mov_b64 s[8:9], s[80:81]
	s_mov_b32 s12, s82
	v_mov_b32_e32 v31, v40
	v_mov_b32_e32 v0, v41
	v_mov_b32_e32 v3, s85
	s_getpc_b64 s[4:5]
	s_add_u32 s4, s4, _ZN12_GLOBAL__N_17runRingI14__hip_fp8_e4m37FuncSumIS1_E11ProtoSimpleILi1ELi1ELi0ELi4ELi0ELi0EELi0ELi4ELi0EEEviiP15ncclDevWorkColl@rel32@lo+4
	s_addc_u32 s5, s5, _ZN12_GLOBAL__N_17runRingI14__hip_fp8_e4m37FuncSumIS1_E11ProtoSimpleILi1ELi1ELi0ELi4ELi0ELi0EELi0ELi4ELi0EEEviiP15ncclDevWorkColl@rel32@hi+12
	s_swappc_b64 s[30:31], s[4:5]
	s_branch .LBB7_2
.LBB7_8:
	buffer_load_dword v63, off, s[0:3], s33 ; 4-byte Folded Reload
	buffer_load_dword v42, off, s[0:3], s33 offset:4 ; 4-byte Folded Reload
	buffer_load_dword v41, off, s[0:3], s33 offset:8 ; 4-byte Folded Reload
	;; [unrolled: 1-line block ×3, first 2 shown]
	v_readlane_b32 s30, v43, 54
	v_readlane_b32 s31, v43, 55
	;; [unrolled: 1-line block ×57, first 2 shown]
	s_or_saveexec_b64 s[6:7], -1
	buffer_load_dword v43, off, s[0:3], s33 offset:16 ; 4-byte Folded Reload
	s_mov_b64 exec, s[6:7]
	s_addk_i32 s32, 0xf800
	s_mov_b32 s33, s4
	s_waitcnt vmcnt(0)
	s_setpc_b64 s[30:31]
.Lfunc_end7:
	.size	_Z47ncclDevFunc_Reduce_RING_SIMPLE_Sum_f8e4m3_0_0_4v, .Lfunc_end7-_Z47ncclDevFunc_Reduce_RING_SIMPLE_Sum_f8e4m3_0_0_4v
                                        ; -- End function
	.section	.AMDGPU.csdata,"",@progbits
; Function info:
; codeLenInByte = 1276
; NumSgprs: 92
; NumVgprs: 64
; NumAgprs: 42
; TotalNumVgprs: 106
; ScratchSize: 208
; MemoryBound: 0
	.text
	.p2alignl 6, 3212836864
	.fill 256, 4, 3212836864
	.type	__const.__assert_fail.fmt,@object ; @__const.__assert_fail.fmt
	.section	.rodata.str1.16,"aMS",@progbits,1
	.p2align	4, 0x0
__const.__assert_fail.fmt:
	.asciz	"%s:%u: %s: Device-side assertion `%s' failed.\n"
	.size	__const.__assert_fail.fmt, 47

	.type	.str.1,@object                  ; @.str.1
	.section	.rodata.str1.1,"aMS",@progbits,1
.str.1:
	.asciz	"2*(nrecv+nsend) <= nthreads"
	.size	.str.1, 28

	.type	.str.2,@object                  ; @.str.2
.str.2:
	.asciz	"/root/src/amdgpu-assembly/repos/ROCm__rccl/hipify/src/device/prims_simple.h"
	.size	.str.2, 76

	.type	__PRETTY_FUNCTION__._ZN10PrimitivesI14__hip_fp8_e4m37FuncSumIS0_E12FanSymmetricILi1EELi0E11ProtoSimpleILi1ELi1ELi0ELi1ELi0ELi0EELi0ELb0ELi0ELi0ELi0EEC2EiiPKiS9_PKvPvmhhhP15ncclDevWorkCollP14ncclDevWorkP2pii,@object ; @__PRETTY_FUNCTION__._ZN10PrimitivesI14__hip_fp8_e4m37FuncSumIS0_E12FanSymmetricILi1EELi0E11ProtoSimpleILi1ELi1ELi0ELi1ELi0ELi0EELi0ELb0ELi0ELi0ELi0EEC2EiiPKiS9_PKvPvmhhhP15ncclDevWorkCollP14ncclDevWorkP2pii
__PRETTY_FUNCTION__._ZN10PrimitivesI14__hip_fp8_e4m37FuncSumIS0_E12FanSymmetricILi1EELi0E11ProtoSimpleILi1ELi1ELi0ELi1ELi0ELi0EELi0ELb0ELi0ELi0ELi0EEC2EiiPKiS9_PKvPvmhhhP15ncclDevWorkCollP14ncclDevWorkP2pii:
	.asciz	"Primitives<__hip_fp8_e4m3, FuncSum<__hip_fp8_e4m3>, FanSymmetric<1>, 0, ProtoSimple<1, 1, 0, 1>, 0>::Primitives(int, int, const int *, const int *, const void *, void *, uint64_t, uint8_t, uint8_t, uint8_t, struct ncclDevWorkColl *, struct ncclDevWorkP2p *, int, int) [T = __hip_fp8_e4m3, RedOp = FuncSum<__hip_fp8_e4m3>, Fan = FanSymmetric<1>, Direct = 0, Proto = ProtoSimple<1, 1, 0, 1>, P2p = 0, isNetOffload = false, Metadata = 0, Pipeline = 0, useAcc = 0]"
	.size	__PRETTY_FUNCTION__._ZN10PrimitivesI14__hip_fp8_e4m37FuncSumIS0_E12FanSymmetricILi1EELi0E11ProtoSimpleILi1ELi1ELi0ELi1ELi0ELi0EELi0ELb0ELi0ELi0ELi0EEC2EiiPKiS9_PKvPvmhhhP15ncclDevWorkCollP14ncclDevWorkP2pii, 461

	.type	__PRETTY_FUNCTION__._ZN10PrimitivesI14__hip_fp8_e4m37FuncSumIS0_E12FanSymmetricILi1EELi0E11ProtoSimpleILi1ELi1ELi0ELi2ELi0ELi0EELi0ELb0ELi0ELi0ELi0EEC2EiiPKiS9_PKvPvmhhhP15ncclDevWorkCollP14ncclDevWorkP2pii,@object ; @__PRETTY_FUNCTION__._ZN10PrimitivesI14__hip_fp8_e4m37FuncSumIS0_E12FanSymmetricILi1EELi0E11ProtoSimpleILi1ELi1ELi0ELi2ELi0ELi0EELi0ELb0ELi0ELi0ELi0EEC2EiiPKiS9_PKvPvmhhhP15ncclDevWorkCollP14ncclDevWorkP2pii
__PRETTY_FUNCTION__._ZN10PrimitivesI14__hip_fp8_e4m37FuncSumIS0_E12FanSymmetricILi1EELi0E11ProtoSimpleILi1ELi1ELi0ELi2ELi0ELi0EELi0ELb0ELi0ELi0ELi0EEC2EiiPKiS9_PKvPvmhhhP15ncclDevWorkCollP14ncclDevWorkP2pii:
	.asciz	"Primitives<__hip_fp8_e4m3, FuncSum<__hip_fp8_e4m3>, FanSymmetric<1>, 0, ProtoSimple<1, 1, 0, 2>, 0>::Primitives(int, int, const int *, const int *, const void *, void *, uint64_t, uint8_t, uint8_t, uint8_t, struct ncclDevWorkColl *, struct ncclDevWorkP2p *, int, int) [T = __hip_fp8_e4m3, RedOp = FuncSum<__hip_fp8_e4m3>, Fan = FanSymmetric<1>, Direct = 0, Proto = ProtoSimple<1, 1, 0, 2>, P2p = 0, isNetOffload = false, Metadata = 0, Pipeline = 0, useAcc = 0]"
	.size	__PRETTY_FUNCTION__._ZN10PrimitivesI14__hip_fp8_e4m37FuncSumIS0_E12FanSymmetricILi1EELi0E11ProtoSimpleILi1ELi1ELi0ELi2ELi0ELi0EELi0ELb0ELi0ELi0ELi0EEC2EiiPKiS9_PKvPvmhhhP15ncclDevWorkCollP14ncclDevWorkP2pii, 461

	.type	__PRETTY_FUNCTION__._ZN10PrimitivesI14__hip_fp8_e4m37FuncSumIS0_E12FanSymmetricILi1EELi0E11ProtoSimpleILi1ELi1ELi0ELi4ELi0ELi0EELi0ELb0ELi0ELi0ELi0EEC2EiiPKiS9_PKvPvmhhhP15ncclDevWorkCollP14ncclDevWorkP2pii,@object ; @__PRETTY_FUNCTION__._ZN10PrimitivesI14__hip_fp8_e4m37FuncSumIS0_E12FanSymmetricILi1EELi0E11ProtoSimpleILi1ELi1ELi0ELi4ELi0ELi0EELi0ELb0ELi0ELi0ELi0EEC2EiiPKiS9_PKvPvmhhhP15ncclDevWorkCollP14ncclDevWorkP2pii
__PRETTY_FUNCTION__._ZN10PrimitivesI14__hip_fp8_e4m37FuncSumIS0_E12FanSymmetricILi1EELi0E11ProtoSimpleILi1ELi1ELi0ELi4ELi0ELi0EELi0ELb0ELi0ELi0ELi0EEC2EiiPKiS9_PKvPvmhhhP15ncclDevWorkCollP14ncclDevWorkP2pii:
	.asciz	"Primitives<__hip_fp8_e4m3, FuncSum<__hip_fp8_e4m3>, FanSymmetric<1>, 0, ProtoSimple<1, 1, 0, 4>, 0>::Primitives(int, int, const int *, const int *, const void *, void *, uint64_t, uint8_t, uint8_t, uint8_t, struct ncclDevWorkColl *, struct ncclDevWorkP2p *, int, int) [T = __hip_fp8_e4m3, RedOp = FuncSum<__hip_fp8_e4m3>, Fan = FanSymmetric<1>, Direct = 0, Proto = ProtoSimple<1, 1, 0, 4>, P2p = 0, isNetOffload = false, Metadata = 0, Pipeline = 0, useAcc = 0]"
	.size	__PRETTY_FUNCTION__._ZN10PrimitivesI14__hip_fp8_e4m37FuncSumIS0_E12FanSymmetricILi1EELi0E11ProtoSimpleILi1ELi1ELi0ELi4ELi0ELi0EELi0ELb0ELi0ELi0ELi0EEC2EiiPKiS9_PKvPvmhhhP15ncclDevWorkCollP14ncclDevWorkP2pii, 461

	.type	__hip_cuid_9ac7ec6701746d23,@object ; @__hip_cuid_9ac7ec6701746d23
	.section	.bss,"aw",@nobits
	.globl	__hip_cuid_9ac7ec6701746d23
__hip_cuid_9ac7ec6701746d23:
	.byte	0                               ; 0x0
	.size	__hip_cuid_9ac7ec6701746d23, 1

	.ident	"AMD clang version 19.0.0git (https://github.com/RadeonOpenCompute/llvm-project roc-6.4.0 25133 c7fe45cf4b819c5991fe208aaa96edf142730f1d)"
	.section	".note.GNU-stack","",@progbits
	.addrsig
	.addrsig_sym _Z47ncclDevFunc_Reduce_RING_SIMPLE_Sum_f8e4m3_0_0_1v
	.addrsig_sym _Z47ncclDevFunc_Reduce_RING_SIMPLE_Sum_f8e4m3_0_0_2v
	.addrsig_sym _Z47ncclDevFunc_Reduce_RING_SIMPLE_Sum_f8e4m3_0_0_4v
	.addrsig_sym ncclShmem
	.addrsig_sym __hip_cuid_9ac7ec6701746d23
	.amdgpu_metadata
---
amdhsa.kernels:  []
amdhsa.target:   amdgcn-amd-amdhsa--gfx90a
amdhsa.version:
  - 1
  - 2
...

	.end_amdgpu_metadata
